;; amdgpu-corpus repo=ROCm/rocBLAS kind=compiled arch=gfx950 opt=O3
	.amdgcn_target "amdgcn-amd-amdhsa--gfx950"
	.amdhsa_code_object_version 6
	.section	.text._ZN12_GLOBAL__N_125rocblas_gemm_scale_kernelILi32ELi32EDF16_PDF16_EEviiT1_T2_llli,"axG",@progbits,_ZN12_GLOBAL__N_125rocblas_gemm_scale_kernelILi32ELi32EDF16_PDF16_EEviiT1_T2_llli,comdat
	.globl	_ZN12_GLOBAL__N_125rocblas_gemm_scale_kernelILi32ELi32EDF16_PDF16_EEviiT1_T2_llli ; -- Begin function _ZN12_GLOBAL__N_125rocblas_gemm_scale_kernelILi32ELi32EDF16_PDF16_EEviiT1_T2_llli
	.p2align	8
	.type	_ZN12_GLOBAL__N_125rocblas_gemm_scale_kernelILi32ELi32EDF16_PDF16_EEviiT1_T2_llli,@function
_ZN12_GLOBAL__N_125rocblas_gemm_scale_kernelILi32ELi32EDF16_PDF16_EEviiT1_T2_llli: ; @_ZN12_GLOBAL__N_125rocblas_gemm_scale_kernelILi32ELi32EDF16_PDF16_EEviiT1_T2_llli
; %bb.0:
	s_load_dwordx4 s[8:11], s[0:1], 0x0
	v_and_b32_e32 v1, 0x3ff, v0
	v_bfe_u32 v0, v0, 10, 10
	v_lshl_add_u32 v2, s2, 5, v1
	v_lshl_add_u32 v0, s3, 5, v0
	s_waitcnt lgkmcnt(0)
	v_cmp_gt_u32_e32 vcc, s8, v2
	v_cmp_gt_u32_e64 s[2:3], s9, v0
	s_and_b64 s[2:3], vcc, s[2:3]
	s_and_saveexec_b64 s[6:7], s[2:3]
	s_cbranch_execz .LBB0_4
; %bb.1:
	s_load_dwordx8 s[12:19], s[0:1], 0x10
	v_mov_b32_e32 v3, 0
	s_waitcnt lgkmcnt(0)
	s_mul_i32 s1, s19, s4
	s_mul_hi_u32 s2, s18, s4
	s_mul_i32 s0, s18, s4
	s_add_i32 s1, s2, s1
	s_lshl_b64 s[0:1], s[0:1], 1
	s_add_u32 s2, s12, s0
	v_mad_u64_u32 v[4:5], s[4:5], s16, v0, 0
	s_addc_u32 s3, s13, s1
	s_lshl_b64 s[0:1], s[14:15], 1
	v_mov_b32_e32 v6, v5
	s_add_u32 s0, s2, s0
	v_mad_u64_u32 v[0:1], s[4:5], s17, v0, v[6:7]
	s_addc_u32 s1, s3, s1
	v_cmp_eq_f16_e64 s[2:3], s10, 0
	v_mov_b32_e32 v5, v0
	s_and_b64 vcc, exec, s[2:3]
	v_lshl_add_u64 v[0:1], v[4:5], 1, s[0:1]
	v_mov_b32_e32 v4, v3
	s_cbranch_vccnz .LBB0_3
; %bb.2:
	v_lshl_add_u64 v[4:5], v[2:3], 1, v[0:1]
	global_load_ushort v4, v[4:5], off
	s_waitcnt vmcnt(0)
	v_mul_f16_e32 v4, s10, v4
.LBB0_3:
	v_lshl_add_u64 v[0:1], v[2:3], 1, v[0:1]
	global_store_short v[0:1], v4, off
.LBB0_4:
	s_endpgm
	.section	.rodata,"a",@progbits
	.p2align	6, 0x0
	.amdhsa_kernel _ZN12_GLOBAL__N_125rocblas_gemm_scale_kernelILi32ELi32EDF16_PDF16_EEviiT1_T2_llli
		.amdhsa_group_segment_fixed_size 0
		.amdhsa_private_segment_fixed_size 0
		.amdhsa_kernarg_size 52
		.amdhsa_user_sgpr_count 2
		.amdhsa_user_sgpr_dispatch_ptr 0
		.amdhsa_user_sgpr_queue_ptr 0
		.amdhsa_user_sgpr_kernarg_segment_ptr 1
		.amdhsa_user_sgpr_dispatch_id 0
		.amdhsa_user_sgpr_kernarg_preload_length 0
		.amdhsa_user_sgpr_kernarg_preload_offset 0
		.amdhsa_user_sgpr_private_segment_size 0
		.amdhsa_uses_dynamic_stack 0
		.amdhsa_enable_private_segment 0
		.amdhsa_system_sgpr_workgroup_id_x 1
		.amdhsa_system_sgpr_workgroup_id_y 1
		.amdhsa_system_sgpr_workgroup_id_z 1
		.amdhsa_system_sgpr_workgroup_info 0
		.amdhsa_system_vgpr_workitem_id 1
		.amdhsa_next_free_vgpr 8
		.amdhsa_next_free_sgpr 20
		.amdhsa_accum_offset 8
		.amdhsa_reserve_vcc 1
		.amdhsa_float_round_mode_32 0
		.amdhsa_float_round_mode_16_64 0
		.amdhsa_float_denorm_mode_32 3
		.amdhsa_float_denorm_mode_16_64 3
		.amdhsa_dx10_clamp 1
		.amdhsa_ieee_mode 1
		.amdhsa_fp16_overflow 0
		.amdhsa_tg_split 0
		.amdhsa_exception_fp_ieee_invalid_op 0
		.amdhsa_exception_fp_denorm_src 0
		.amdhsa_exception_fp_ieee_div_zero 0
		.amdhsa_exception_fp_ieee_overflow 0
		.amdhsa_exception_fp_ieee_underflow 0
		.amdhsa_exception_fp_ieee_inexact 0
		.amdhsa_exception_int_div_zero 0
	.end_amdhsa_kernel
	.section	.text._ZN12_GLOBAL__N_125rocblas_gemm_scale_kernelILi32ELi32EDF16_PDF16_EEviiT1_T2_llli,"axG",@progbits,_ZN12_GLOBAL__N_125rocblas_gemm_scale_kernelILi32ELi32EDF16_PDF16_EEviiT1_T2_llli,comdat
.Lfunc_end0:
	.size	_ZN12_GLOBAL__N_125rocblas_gemm_scale_kernelILi32ELi32EDF16_PDF16_EEviiT1_T2_llli, .Lfunc_end0-_ZN12_GLOBAL__N_125rocblas_gemm_scale_kernelILi32ELi32EDF16_PDF16_EEviiT1_T2_llli
                                        ; -- End function
	.set _ZN12_GLOBAL__N_125rocblas_gemm_scale_kernelILi32ELi32EDF16_PDF16_EEviiT1_T2_llli.num_vgpr, 8
	.set _ZN12_GLOBAL__N_125rocblas_gemm_scale_kernelILi32ELi32EDF16_PDF16_EEviiT1_T2_llli.num_agpr, 0
	.set _ZN12_GLOBAL__N_125rocblas_gemm_scale_kernelILi32ELi32EDF16_PDF16_EEviiT1_T2_llli.numbered_sgpr, 20
	.set _ZN12_GLOBAL__N_125rocblas_gemm_scale_kernelILi32ELi32EDF16_PDF16_EEviiT1_T2_llli.num_named_barrier, 0
	.set _ZN12_GLOBAL__N_125rocblas_gemm_scale_kernelILi32ELi32EDF16_PDF16_EEviiT1_T2_llli.private_seg_size, 0
	.set _ZN12_GLOBAL__N_125rocblas_gemm_scale_kernelILi32ELi32EDF16_PDF16_EEviiT1_T2_llli.uses_vcc, 1
	.set _ZN12_GLOBAL__N_125rocblas_gemm_scale_kernelILi32ELi32EDF16_PDF16_EEviiT1_T2_llli.uses_flat_scratch, 0
	.set _ZN12_GLOBAL__N_125rocblas_gemm_scale_kernelILi32ELi32EDF16_PDF16_EEviiT1_T2_llli.has_dyn_sized_stack, 0
	.set _ZN12_GLOBAL__N_125rocblas_gemm_scale_kernelILi32ELi32EDF16_PDF16_EEviiT1_T2_llli.has_recursion, 0
	.set _ZN12_GLOBAL__N_125rocblas_gemm_scale_kernelILi32ELi32EDF16_PDF16_EEviiT1_T2_llli.has_indirect_call, 0
	.section	.AMDGPU.csdata,"",@progbits
; Kernel info:
; codeLenInByte = 220
; TotalNumSgprs: 26
; NumVgprs: 8
; NumAgprs: 0
; TotalNumVgprs: 8
; ScratchSize: 0
; MemoryBound: 0
; FloatMode: 240
; IeeeMode: 1
; LDSByteSize: 0 bytes/workgroup (compile time only)
; SGPRBlocks: 3
; VGPRBlocks: 0
; NumSGPRsForWavesPerEU: 26
; NumVGPRsForWavesPerEU: 8
; AccumOffset: 8
; Occupancy: 8
; WaveLimiterHint : 0
; COMPUTE_PGM_RSRC2:SCRATCH_EN: 0
; COMPUTE_PGM_RSRC2:USER_SGPR: 2
; COMPUTE_PGM_RSRC2:TRAP_HANDLER: 0
; COMPUTE_PGM_RSRC2:TGID_X_EN: 1
; COMPUTE_PGM_RSRC2:TGID_Y_EN: 1
; COMPUTE_PGM_RSRC2:TGID_Z_EN: 1
; COMPUTE_PGM_RSRC2:TIDIG_COMP_CNT: 1
; COMPUTE_PGM_RSRC3_GFX90A:ACCUM_OFFSET: 1
; COMPUTE_PGM_RSRC3_GFX90A:TG_SPLIT: 0
	.section	.text._ZN12_GLOBAL__N_120gemm_ex_scale_kernelILi32ELi32EDF16_PKDF16_PDF16_EEviiT1_T2_lllT3_llli,"axG",@progbits,_ZN12_GLOBAL__N_120gemm_ex_scale_kernelILi32ELi32EDF16_PKDF16_PDF16_EEviiT1_T2_lllT3_llli,comdat
	.globl	_ZN12_GLOBAL__N_120gemm_ex_scale_kernelILi32ELi32EDF16_PKDF16_PDF16_EEviiT1_T2_lllT3_llli ; -- Begin function _ZN12_GLOBAL__N_120gemm_ex_scale_kernelILi32ELi32EDF16_PKDF16_PDF16_EEviiT1_T2_lllT3_llli
	.p2align	8
	.type	_ZN12_GLOBAL__N_120gemm_ex_scale_kernelILi32ELi32EDF16_PKDF16_PDF16_EEviiT1_T2_lllT3_llli,@function
_ZN12_GLOBAL__N_120gemm_ex_scale_kernelILi32ELi32EDF16_PKDF16_PDF16_EEviiT1_T2_lllT3_llli: ; @_ZN12_GLOBAL__N_120gemm_ex_scale_kernelILi32ELi32EDF16_PKDF16_PDF16_EEviiT1_T2_lllT3_llli
; %bb.0:
	s_load_dwordx4 s[24:27], s[0:1], 0x0
	v_and_b32_e32 v1, 0x3ff, v0
	v_bfe_u32 v0, v0, 10, 10
	v_lshl_add_u32 v2, s2, 5, v1
	v_lshl_add_u32 v4, s3, 5, v0
	s_waitcnt lgkmcnt(0)
	v_cmp_gt_u32_e32 vcc, s24, v2
	v_cmp_gt_u32_e64 s[2:3], s25, v4
	s_and_b64 s[2:3], vcc, s[2:3]
	s_and_saveexec_b64 s[6:7], s[2:3]
	s_cbranch_execz .LBB1_5
; %bb.1:
	v_cmp_neq_f16_e64 s[2:3], s26, 0
	v_mov_b32_e32 v3, 0
	s_and_b64 vcc, exec, s[2:3]
	s_cbranch_vccnz .LBB1_6
; %bb.2:
	v_mov_b32_e32 v1, 0
	v_mov_b32_e32 v0, v2
	s_load_dwordx16 s[8:23], s[0:1], 0x10
	s_cbranch_execnz .LBB1_4
.LBB1_3:
	s_waitcnt lgkmcnt(0)
	s_mul_i32 s0, s15, s4
	s_mul_hi_u32 s1, s14, s4
	s_add_i32 s1, s1, s0
	s_mul_i32 s0, s14, s4
	s_lshl_b64 s[0:1], s[0:1], 1
	s_add_u32 s2, s8, s0
	s_addc_u32 s3, s9, s1
	s_lshl_b64 s[0:1], s[10:11], 1
	s_add_u32 s0, s2, s0
	s_addc_u32 s1, s3, s1
	v_mad_u64_u32 v[6:7], s[2:3], s12, v4, 0
	v_mov_b32_e32 v8, v7
	v_mad_u64_u32 v[8:9], s[2:3], s13, v4, v[8:9]
	v_mov_b32_e32 v7, v8
	v_lshl_add_u64 v[6:7], v[6:7], 1, s[0:1]
	v_lshl_add_u64 v[2:3], v[2:3], 1, v[6:7]
	global_load_ushort v2, v[2:3], off
	s_waitcnt vmcnt(0)
	v_mul_f16_e32 v3, s26, v2
.LBB1_4:
	s_waitcnt lgkmcnt(0)
	s_mul_i32 s0, s23, s4
	s_mul_hi_u32 s1, s22, s4
	s_add_i32 s1, s1, s0
	s_mul_i32 s0, s22, s4
	s_lshl_b64 s[0:1], s[0:1], 1
	s_add_u32 s2, s16, s0
	s_addc_u32 s3, s17, s1
	s_lshl_b64 s[0:1], s[18:19], 1
	s_add_u32 s0, s2, s0
	s_addc_u32 s1, s3, s1
	v_mad_u64_u32 v[6:7], s[2:3], s20, v4, 0
	v_mov_b32_e32 v2, v7
	v_mad_u64_u32 v[4:5], s[2:3], s21, v4, v[2:3]
	v_mov_b32_e32 v7, v4
	v_lshl_add_u64 v[4:5], v[6:7], 1, s[0:1]
	v_lshl_add_u64 v[0:1], v[0:1], 1, v[4:5]
	global_store_short v[0:1], v3, off
.LBB1_5:
	s_endpgm
.LBB1_6:
	v_mov_b64_e32 v[0:1], v[2:3]
	s_load_dwordx16 s[8:23], s[0:1], 0x10
	s_branch .LBB1_3
	.section	.rodata,"a",@progbits
	.p2align	6, 0x0
	.amdhsa_kernel _ZN12_GLOBAL__N_120gemm_ex_scale_kernelILi32ELi32EDF16_PKDF16_PDF16_EEviiT1_T2_lllT3_llli
		.amdhsa_group_segment_fixed_size 0
		.amdhsa_private_segment_fixed_size 0
		.amdhsa_kernarg_size 84
		.amdhsa_user_sgpr_count 2
		.amdhsa_user_sgpr_dispatch_ptr 0
		.amdhsa_user_sgpr_queue_ptr 0
		.amdhsa_user_sgpr_kernarg_segment_ptr 1
		.amdhsa_user_sgpr_dispatch_id 0
		.amdhsa_user_sgpr_kernarg_preload_length 0
		.amdhsa_user_sgpr_kernarg_preload_offset 0
		.amdhsa_user_sgpr_private_segment_size 0
		.amdhsa_uses_dynamic_stack 0
		.amdhsa_enable_private_segment 0
		.amdhsa_system_sgpr_workgroup_id_x 1
		.amdhsa_system_sgpr_workgroup_id_y 1
		.amdhsa_system_sgpr_workgroup_id_z 1
		.amdhsa_system_sgpr_workgroup_info 0
		.amdhsa_system_vgpr_workitem_id 1
		.amdhsa_next_free_vgpr 10
		.amdhsa_next_free_sgpr 28
		.amdhsa_accum_offset 12
		.amdhsa_reserve_vcc 1
		.amdhsa_float_round_mode_32 0
		.amdhsa_float_round_mode_16_64 0
		.amdhsa_float_denorm_mode_32 3
		.amdhsa_float_denorm_mode_16_64 3
		.amdhsa_dx10_clamp 1
		.amdhsa_ieee_mode 1
		.amdhsa_fp16_overflow 0
		.amdhsa_tg_split 0
		.amdhsa_exception_fp_ieee_invalid_op 0
		.amdhsa_exception_fp_denorm_src 0
		.amdhsa_exception_fp_ieee_div_zero 0
		.amdhsa_exception_fp_ieee_overflow 0
		.amdhsa_exception_fp_ieee_underflow 0
		.amdhsa_exception_fp_ieee_inexact 0
		.amdhsa_exception_int_div_zero 0
	.end_amdhsa_kernel
	.section	.text._ZN12_GLOBAL__N_120gemm_ex_scale_kernelILi32ELi32EDF16_PKDF16_PDF16_EEviiT1_T2_lllT3_llli,"axG",@progbits,_ZN12_GLOBAL__N_120gemm_ex_scale_kernelILi32ELi32EDF16_PKDF16_PDF16_EEviiT1_T2_lllT3_llli,comdat
.Lfunc_end1:
	.size	_ZN12_GLOBAL__N_120gemm_ex_scale_kernelILi32ELi32EDF16_PKDF16_PDF16_EEviiT1_T2_lllT3_llli, .Lfunc_end1-_ZN12_GLOBAL__N_120gemm_ex_scale_kernelILi32ELi32EDF16_PKDF16_PDF16_EEviiT1_T2_lllT3_llli
                                        ; -- End function
	.set _ZN12_GLOBAL__N_120gemm_ex_scale_kernelILi32ELi32EDF16_PKDF16_PDF16_EEviiT1_T2_lllT3_llli.num_vgpr, 10
	.set _ZN12_GLOBAL__N_120gemm_ex_scale_kernelILi32ELi32EDF16_PKDF16_PDF16_EEviiT1_T2_lllT3_llli.num_agpr, 0
	.set _ZN12_GLOBAL__N_120gemm_ex_scale_kernelILi32ELi32EDF16_PKDF16_PDF16_EEviiT1_T2_lllT3_llli.numbered_sgpr, 28
	.set _ZN12_GLOBAL__N_120gemm_ex_scale_kernelILi32ELi32EDF16_PKDF16_PDF16_EEviiT1_T2_lllT3_llli.num_named_barrier, 0
	.set _ZN12_GLOBAL__N_120gemm_ex_scale_kernelILi32ELi32EDF16_PKDF16_PDF16_EEviiT1_T2_lllT3_llli.private_seg_size, 0
	.set _ZN12_GLOBAL__N_120gemm_ex_scale_kernelILi32ELi32EDF16_PKDF16_PDF16_EEviiT1_T2_lllT3_llli.uses_vcc, 1
	.set _ZN12_GLOBAL__N_120gemm_ex_scale_kernelILi32ELi32EDF16_PKDF16_PDF16_EEviiT1_T2_lllT3_llli.uses_flat_scratch, 0
	.set _ZN12_GLOBAL__N_120gemm_ex_scale_kernelILi32ELi32EDF16_PKDF16_PDF16_EEviiT1_T2_lllT3_llli.has_dyn_sized_stack, 0
	.set _ZN12_GLOBAL__N_120gemm_ex_scale_kernelILi32ELi32EDF16_PKDF16_PDF16_EEviiT1_T2_lllT3_llli.has_recursion, 0
	.set _ZN12_GLOBAL__N_120gemm_ex_scale_kernelILi32ELi32EDF16_PKDF16_PDF16_EEviiT1_T2_lllT3_llli.has_indirect_call, 0
	.section	.AMDGPU.csdata,"",@progbits
; Kernel info:
; codeLenInByte = 320
; TotalNumSgprs: 34
; NumVgprs: 10
; NumAgprs: 0
; TotalNumVgprs: 10
; ScratchSize: 0
; MemoryBound: 0
; FloatMode: 240
; IeeeMode: 1
; LDSByteSize: 0 bytes/workgroup (compile time only)
; SGPRBlocks: 4
; VGPRBlocks: 1
; NumSGPRsForWavesPerEU: 34
; NumVGPRsForWavesPerEU: 10
; AccumOffset: 12
; Occupancy: 8
; WaveLimiterHint : 0
; COMPUTE_PGM_RSRC2:SCRATCH_EN: 0
; COMPUTE_PGM_RSRC2:USER_SGPR: 2
; COMPUTE_PGM_RSRC2:TRAP_HANDLER: 0
; COMPUTE_PGM_RSRC2:TGID_X_EN: 1
; COMPUTE_PGM_RSRC2:TGID_Y_EN: 1
; COMPUTE_PGM_RSRC2:TGID_Z_EN: 1
; COMPUTE_PGM_RSRC2:TIDIG_COMP_CNT: 1
; COMPUTE_PGM_RSRC3_GFX90A:ACCUM_OFFSET: 2
; COMPUTE_PGM_RSRC3_GFX90A:TG_SPLIT: 0
	.section	.text._ZN12_GLOBAL__N_127rocblas_gemm_batched_kernelIDF16_Li16ELi16ELi64ELi64ELi4ELi64ELi4ELi4ELi64ELc78ELc78EKDF16_S1_DF16_EEvlllT_PT11_llS4_llS2_PT12_llPT13_lli,"axG",@progbits,_ZN12_GLOBAL__N_127rocblas_gemm_batched_kernelIDF16_Li16ELi16ELi64ELi64ELi4ELi64ELi4ELi4ELi64ELc78ELc78EKDF16_S1_DF16_EEvlllT_PT11_llS4_llS2_PT12_llPT13_lli,comdat
	.globl	_ZN12_GLOBAL__N_127rocblas_gemm_batched_kernelIDF16_Li16ELi16ELi64ELi64ELi4ELi64ELi4ELi4ELi64ELc78ELc78EKDF16_S1_DF16_EEvlllT_PT11_llS4_llS2_PT12_llPT13_lli ; -- Begin function _ZN12_GLOBAL__N_127rocblas_gemm_batched_kernelIDF16_Li16ELi16ELi64ELi64ELi4ELi64ELi4ELi4ELi64ELc78ELc78EKDF16_S1_DF16_EEvlllT_PT11_llS4_llS2_PT12_llPT13_lli
	.p2align	8
	.type	_ZN12_GLOBAL__N_127rocblas_gemm_batched_kernelIDF16_Li16ELi16ELi64ELi64ELi4ELi64ELi4ELi4ELi64ELc78ELc78EKDF16_S1_DF16_EEvlllT_PT11_llS4_llS2_PT12_llPT13_lli,@function
_ZN12_GLOBAL__N_127rocblas_gemm_batched_kernelIDF16_Li16ELi16ELi64ELi64ELi4ELi64ELi4ELi4ELi64ELc78ELc78EKDF16_S1_DF16_EEvlllT_PT11_llS4_llS2_PT12_llPT13_lli: ; @_ZN12_GLOBAL__N_127rocblas_gemm_batched_kernelIDF16_Li16ELi16ELi64ELi64ELi4ELi64ELi4ELi4ELi64ELc78ELc78EKDF16_S1_DF16_EEvlllT_PT11_llS4_llS2_PT12_llPT13_lli
; %bb.0:
	s_load_dwordx2 s[16:17], s[0:1], 0x10
	s_mov_b32 s6, s3
	v_mov_b32_e32 v3, 0
	s_ashr_i32 s3, s2, 31
	s_ashr_i32 s7, s6, 31
	s_waitcnt lgkmcnt(0)
	v_cmp_lt_i64_e64 s[8:9], s[16:17], 1
	v_bfe_u32 v2, v0, 10, 10
	v_and_b32_e32 v0, 0x3ff, v0
	v_mov_b32_e32 v1, v3
	s_lshl_b64 s[2:3], s[2:3], 6
	s_lshl_b64 s[6:7], s[6:7], 6
	s_and_b64 vcc, exec, s[8:9]
	s_cbranch_vccnz .LBB2_3
; %bb.1:
	v_lshl_add_u32 v10, v2, 4, v0
	s_load_dwordx8 s[8:15], s[0:1], 0x20
	s_load_dwordx4 s[20:23], s[0:1], 0x40
	v_lshrrev_b32_e32 v4, 2, v10
	v_mov_b32_e32 v5, v3
	v_and_b32_e32 v8, 63, v10
	v_lshl_add_u64 v[6:7], v[4:5], 0, s[6:7]
	v_and_b32_e32 v5, 3, v0
	v_lshrrev_b32_e32 v12, 6, v10
	v_lshlrev_b32_e32 v10, 1, v8
	v_lshl_or_b32 v18, v12, 7, v10
	v_lshlrev_b32_e32 v10, 1, v5
	v_lshl_or_b32 v4, v4, 3, v10
	v_add_u32_e32 v19, 0x200, v4
	v_mov_b32_e32 v4, 0x200
	v_lshl_add_u32 v21, v2, 3, v4
	s_waitcnt lgkmcnt(0)
	v_mad_u64_u32 v[4:5], s[18:19], s20, v6, 0
	s_mul_i32 s5, s23, s4
	s_mul_hi_u32 s18, s22, s4
	v_mul_lo_u32 v11, s21, v6
	v_mul_lo_u32 v7, s20, v7
	s_add_i32 s19, s18, s5
	s_mul_i32 s18, s22, s4
	v_add3_u32 v5, v5, v7, v11
	s_lshl_b64 s[18:19], s[18:19], 1
	v_lshl_add_u64 v[4:5], v[4:5], 1, s[18:19]
	v_mov_b32_e32 v11, v3
	v_lshl_add_u64 v[4:5], v[4:5], 0, v[10:11]
	v_mov_b64_e32 v[6:7], s[2:3]
	v_lshl_add_u64 v[4:5], s[14:15], 0, v[4:5]
	s_mul_i32 s5, s13, s4
	s_mul_hi_u32 s13, s12, s4
	v_mad_u64_u32 v[6:7], s[14:15], s10, v12, v[6:7]
	s_add_i32 s13, s13, s5
	s_mul_i32 s12, s12, s4
	v_mov_b32_e32 v10, v7
	s_lshl_b64 s[12:13], s[12:13], 1
	v_mad_u64_u32 v[10:11], s[14:15], s11, v12, v[10:11]
	v_mov_b32_e32 v9, v3
	v_mov_b32_e32 v7, v10
	s_add_u32 s8, s8, s12
	v_lshl_add_u64 v[6:7], v[6:7], 0, v[8:9]
	s_addc_u32 s9, s9, s13
	v_lshlrev_b32_e32 v20, 1, v0
	v_lshl_add_u64 v[6:7], v[6:7], 1, s[8:9]
	s_lshl_b64 s[8:9], s[10:11], 3
	s_mov_b64 s[10:11], 0
	s_mov_b32 s5, 0x5040100
	v_mov_b64_e32 v[8:9], s[16:17]
	v_mov_b32_e32 v10, v3
	v_mov_b32_e32 v11, v3
	;; [unrolled: 1-line block ×8, first 2 shown]
.LBB2_2:                                ; =>This Inner Loop Header: Depth=1
	global_load_ushort v22, v[6:7], off
	global_load_ushort v23, v[4:5], off
	s_add_u32 s10, s10, 4
	s_addc_u32 s11, s11, 0
	v_cmp_lt_i64_e32 vcc, s[10:11], v[8:9]
	v_lshl_add_u64 v[4:5], v[4:5], 0, 8
	v_lshl_add_u64 v[6:7], v[6:7], 0, s[8:9]
	s_and_b64 vcc, exec, vcc
	s_waitcnt vmcnt(1)
	ds_write_b16 v18, v22
	s_waitcnt vmcnt(0)
	ds_write_b16 v19, v23
	s_waitcnt lgkmcnt(0)
	s_barrier
	ds_read2_b64 v[22:25], v21 offset1:16
	ds_read2_b64 v[26:29], v21 offset0:32 offset1:48
	ds_read_u16 v30, v20
	ds_read_u16 v31, v20 offset:32
	ds_read_u16 v32, v20 offset:64
	;; [unrolled: 1-line block ×15, first 2 shown]
	s_waitcnt lgkmcnt(14)
	v_perm_b32 v30, v30, v31, s5
	s_waitcnt lgkmcnt(12)
	v_perm_b32 v32, v32, v33, s5
	;; [unrolled: 2-line block ×4, first 2 shown]
	v_pk_fma_f16 v17, v30, v22, v17 op_sel_hi:[1,0,1]
	v_pk_fma_f16 v16, v32, v22, v16 op_sel_hi:[1,0,1]
	;; [unrolled: 1-line block ×8, first 2 shown]
	s_waitcnt lgkmcnt(6)
	v_perm_b32 v34, v38, v39, s5
	s_waitcnt lgkmcnt(4)
	v_perm_b32 v36, v40, v41, s5
	v_pk_fma_f16 v17, v31, v22, v17 op_sel:[0,1,0]
	v_pk_fma_f16 v16, v33, v22, v16 op_sel:[0,1,0]
	v_pk_fma_f16 v15, v31, v24, v15 op_sel:[0,1,0]
	v_pk_fma_f16 v14, v33, v24, v14 op_sel:[0,1,0]
	v_pk_fma_f16 v13, v31, v26, v13 op_sel:[0,1,0]
	v_pk_fma_f16 v12, v33, v26, v12 op_sel:[0,1,0]
	v_pk_fma_f16 v11, v31, v28, v11 op_sel:[0,1,0]
	v_pk_fma_f16 v10, v33, v28, v10 op_sel:[0,1,0]
	s_waitcnt lgkmcnt(2)
	v_perm_b32 v35, v42, v43, s5
	s_waitcnt lgkmcnt(0)
	v_perm_b32 v37, v44, v45, s5
	v_pk_fma_f16 v17, v34, v23, v17 op_sel_hi:[1,0,1]
	v_pk_fma_f16 v16, v36, v23, v16 op_sel_hi:[1,0,1]
	;; [unrolled: 1-line block ×8, first 2 shown]
	v_pk_fma_f16 v17, v35, v23, v17 op_sel:[0,1,0]
	v_pk_fma_f16 v16, v37, v23, v16 op_sel:[0,1,0]
	;; [unrolled: 1-line block ×8, first 2 shown]
	s_barrier
	s_cbranch_vccnz .LBB2_2
	s_branch .LBB2_4
.LBB2_3:
	v_mov_b32_e32 v17, v3
	v_mov_b32_e32 v16, v3
	;; [unrolled: 1-line block ×8, first 2 shown]
.LBB2_4:
	s_load_dwordx4 s[16:19], s[0:1], 0x78
	s_load_dword s5, s[0:1], 0x18
	s_load_dword s20, s[0:1], 0x50
	s_load_dwordx8 s[8:15], s[0:1], 0x58
	v_lshl_add_u64 v[2:3], s[6:7], 0, v[2:3]
	s_waitcnt lgkmcnt(0)
	s_mul_i32 s0, s19, s4
	s_mul_hi_u32 s1, s18, s4
	s_add_i32 s1, s1, s0
	s_mul_i32 s0, s18, s4
	s_lshl_b64 s[0:1], s[0:1], 1
	s_add_u32 s0, s14, s0
	v_cmp_neq_f16_e64 s[6:7], s20, 0
	v_lshl_add_u64 v[0:1], s[2:3], 0, v[0:1]
	s_addc_u32 s1, s15, s1
	s_and_b64 vcc, exec, s[6:7]
	v_mul_lo_u32 v20, v3, s16
	v_mul_lo_u32 v21, v2, s17
	v_lshrrev_b32_e32 v19, 16, v17
	v_lshlrev_b64 v[0:1], 1, v[0:1]
	v_lshrrev_b32_e32 v18, 16, v16
	v_lshrrev_b32_e32 v9, 16, v15
	;; [unrolled: 1-line block ×7, first 2 shown]
	s_cbranch_vccnz .LBB2_8
; %bb.5:
	v_mad_u64_u32 v[22:23], s[2:3], v2, s16, 0
	v_add3_u32 v23, v23, v21, v20
	v_lshl_add_u64 v[22:23], v[22:23], 1, s[0:1]
	v_mul_f16_sdwa v26, s5, v17 dst_sel:DWORD dst_unused:UNUSED_PAD src0_sel:DWORD src1_sel:WORD_1
	v_lshl_add_u64 v[24:25], v[22:23], 0, v[0:1]
	global_store_short v[24:25], v26, off
	v_mul_f16_e32 v26, s5, v17
	global_store_short v[24:25], v26, off offset:32
	v_mul_f16_sdwa v26, s5, v16 dst_sel:DWORD dst_unused:UNUSED_PAD src0_sel:DWORD src1_sel:WORD_1
	s_lshl_b64 s[2:3], s[16:17], 5
	global_store_short v[24:25], v26, off offset:64
	v_mul_f16_e32 v26, s5, v16
	v_lshl_add_u64 v[22:23], v[22:23], 0, s[2:3]
	global_store_short v[24:25], v26, off offset:96
	v_mul_f16_sdwa v26, s5, v15 dst_sel:DWORD dst_unused:UNUSED_PAD src0_sel:DWORD src1_sel:WORD_1
	v_lshl_add_u64 v[24:25], v[22:23], 0, v[0:1]
	global_store_short v[24:25], v26, off
	v_mul_f16_e32 v26, s5, v15
	global_store_short v[24:25], v26, off offset:32
	v_mul_f16_sdwa v26, s5, v14 dst_sel:DWORD dst_unused:UNUSED_PAD src0_sel:DWORD src1_sel:WORD_1
	global_store_short v[24:25], v26, off offset:64
	v_mul_f16_e32 v26, s5, v14
	v_lshl_add_u64 v[22:23], v[22:23], 0, s[2:3]
	global_store_short v[24:25], v26, off offset:96
	v_mul_f16_sdwa v26, s5, v13 dst_sel:DWORD dst_unused:UNUSED_PAD src0_sel:DWORD src1_sel:WORD_1
	v_lshl_add_u64 v[24:25], v[22:23], 0, v[0:1]
	global_store_short v[24:25], v26, off
	v_mul_f16_e32 v26, s5, v13
	global_store_short v[24:25], v26, off offset:32
	v_mul_f16_sdwa v26, s5, v12 dst_sel:DWORD dst_unused:UNUSED_PAD src0_sel:DWORD src1_sel:WORD_1
	;; [unrolled: 10-line block ×3, first 2 shown]
	global_store_short v[22:23], v24, off offset:64
	v_mul_f16_e32 v24, s5, v10
	global_store_short v[22:23], v24, off offset:96
	s_cbranch_execnz .LBB2_7
.LBB2_6:
	s_mul_i32 s2, s13, s4
	s_mul_hi_u32 s3, s12, s4
	s_add_i32 s3, s3, s2
	s_mul_i32 s2, s12, s4
	s_lshl_b64 s[2:3], s[2:3], 1
	s_add_u32 s2, s8, s2
	v_mul_lo_u32 v3, v3, s10
	v_mul_lo_u32 v24, v2, s11
	v_mad_u64_u32 v[22:23], s[6:7], v2, s10, 0
	s_addc_u32 s3, s9, s3
	v_add3_u32 v23, v23, v24, v3
	v_lshl_add_u64 v[22:23], v[22:23], 1, s[2:3]
	v_lshl_add_u64 v[24:25], v[22:23], 0, v[0:1]
	global_load_ushort v26, v[24:25], off
	v_mad_u64_u32 v[2:3], s[2:3], v2, s16, 0
	v_add3_u32 v3, v3, v21, v20
	v_lshl_add_u64 v[2:3], v[2:3], 1, s[0:1]
	v_lshl_add_u64 v[20:21], v[2:3], 0, v[0:1]
	s_lshl_b64 s[0:1], s[10:11], 5
	s_lshl_b64 s[2:3], s[16:17], 5
	v_lshl_add_u64 v[2:3], v[2:3], 0, s[2:3]
	s_waitcnt vmcnt(0)
	v_mul_f16_e32 v26, s20, v26
	v_fma_f16 v19, s5, v19, v26
	global_store_short v[20:21], v19, off
	global_load_ushort v19, v[24:25], off offset:32
	s_waitcnt vmcnt(0)
	v_mul_f16_e32 v19, s20, v19
	v_fma_f16 v17, s5, v17, v19
	global_store_short v[20:21], v17, off offset:32
	global_load_ushort v17, v[24:25], off offset:64
	s_waitcnt vmcnt(0)
	v_mul_f16_e32 v17, s20, v17
	v_fma_f16 v17, s5, v18, v17
	global_store_short v[20:21], v17, off offset:64
	global_load_ushort v17, v[24:25], off offset:96
	v_lshl_add_u64 v[18:19], v[22:23], 0, s[0:1]
	v_lshl_add_u64 v[22:23], v[18:19], 0, v[0:1]
	s_waitcnt vmcnt(0)
	v_mul_f16_e32 v17, s20, v17
	v_fma_f16 v16, s5, v16, v17
	global_store_short v[20:21], v16, off offset:96
	global_load_ushort v20, v[22:23], off
	v_lshl_add_u64 v[16:17], v[2:3], 0, v[0:1]
	v_lshl_add_u64 v[2:3], v[2:3], 0, s[2:3]
	s_waitcnt vmcnt(0)
	v_mul_f16_e32 v20, s20, v20
	v_fma_f16 v9, s5, v9, v20
	global_store_short v[16:17], v9, off
	global_load_ushort v9, v[22:23], off offset:32
	s_waitcnt vmcnt(0)
	v_mul_f16_e32 v9, s20, v9
	v_fma_f16 v9, s5, v15, v9
	global_store_short v[16:17], v9, off offset:32
	global_load_ushort v9, v[22:23], off offset:64
	s_waitcnt vmcnt(0)
	v_mul_f16_e32 v9, s20, v9
	v_fma_f16 v8, s5, v8, v9
	global_store_short v[16:17], v8, off offset:64
	global_load_ushort v15, v[22:23], off offset:96
	v_lshl_add_u64 v[8:9], v[18:19], 0, s[0:1]
	v_lshl_add_u64 v[18:19], v[8:9], 0, v[0:1]
	s_waitcnt vmcnt(0)
	v_mul_f16_e32 v15, s20, v15
	v_fma_f16 v14, s5, v14, v15
	global_store_short v[16:17], v14, off offset:96
	global_load_ushort v16, v[18:19], off
	v_lshl_add_u64 v[14:15], v[2:3], 0, v[0:1]
	v_lshl_add_u64 v[2:3], v[2:3], 0, s[2:3]
	s_waitcnt vmcnt(0)
	v_mul_f16_e32 v16, s20, v16
	v_fma_f16 v7, s5, v7, v16
	global_store_short v[14:15], v7, off
	global_load_ushort v7, v[18:19], off offset:32
	s_waitcnt vmcnt(0)
	v_mul_f16_e32 v7, s20, v7
	v_fma_f16 v7, s5, v13, v7
	global_store_short v[14:15], v7, off offset:32
	global_load_ushort v7, v[18:19], off offset:64
	s_waitcnt vmcnt(0)
	v_mul_f16_e32 v7, s20, v7
	v_fma_f16 v6, s5, v6, v7
	global_store_short v[14:15], v6, off offset:64
	global_load_ushort v13, v[18:19], off offset:96
	v_lshl_add_u64 v[6:7], v[8:9], 0, s[0:1]
	v_lshl_add_u64 v[6:7], v[6:7], 0, v[0:1]
	;; [unrolled: 1-line block ×3, first 2 shown]
	s_waitcnt vmcnt(0)
	v_mul_f16_e32 v8, s20, v13
	v_fma_f16 v8, s5, v12, v8
	global_store_short v[14:15], v8, off offset:96
	global_load_ushort v8, v[6:7], off
	s_waitcnt vmcnt(0)
	v_mul_f16_e32 v8, s20, v8
	v_fma_f16 v5, s5, v5, v8
	global_store_short v[0:1], v5, off
	global_load_ushort v2, v[6:7], off offset:32
	s_waitcnt vmcnt(0)
	v_mul_f16_e32 v2, s20, v2
	v_fma_f16 v2, s5, v11, v2
	global_store_short v[0:1], v2, off offset:32
	global_load_ushort v2, v[6:7], off offset:64
	s_waitcnt vmcnt(0)
	v_mul_f16_e32 v2, s20, v2
	v_fma_f16 v2, s5, v4, v2
	global_store_short v[0:1], v2, off offset:64
	;; [unrolled: 5-line block ×3, first 2 shown]
.LBB2_7:
	s_endpgm
.LBB2_8:
	s_branch .LBB2_6
	.section	.rodata,"a",@progbits
	.p2align	6, 0x0
	.amdhsa_kernel _ZN12_GLOBAL__N_127rocblas_gemm_batched_kernelIDF16_Li16ELi16ELi64ELi64ELi4ELi64ELi4ELi4ELi64ELc78ELc78EKDF16_S1_DF16_EEvlllT_PT11_llS4_llS2_PT12_llPT13_lli
		.amdhsa_group_segment_fixed_size 1024
		.amdhsa_private_segment_fixed_size 0
		.amdhsa_kernarg_size 140
		.amdhsa_user_sgpr_count 2
		.amdhsa_user_sgpr_dispatch_ptr 0
		.amdhsa_user_sgpr_queue_ptr 0
		.amdhsa_user_sgpr_kernarg_segment_ptr 1
		.amdhsa_user_sgpr_dispatch_id 0
		.amdhsa_user_sgpr_kernarg_preload_length 0
		.amdhsa_user_sgpr_kernarg_preload_offset 0
		.amdhsa_user_sgpr_private_segment_size 0
		.amdhsa_uses_dynamic_stack 0
		.amdhsa_enable_private_segment 0
		.amdhsa_system_sgpr_workgroup_id_x 1
		.amdhsa_system_sgpr_workgroup_id_y 1
		.amdhsa_system_sgpr_workgroup_id_z 1
		.amdhsa_system_sgpr_workgroup_info 0
		.amdhsa_system_vgpr_workitem_id 1
		.amdhsa_next_free_vgpr 46
		.amdhsa_next_free_sgpr 24
		.amdhsa_accum_offset 48
		.amdhsa_reserve_vcc 1
		.amdhsa_float_round_mode_32 0
		.amdhsa_float_round_mode_16_64 0
		.amdhsa_float_denorm_mode_32 3
		.amdhsa_float_denorm_mode_16_64 3
		.amdhsa_dx10_clamp 1
		.amdhsa_ieee_mode 1
		.amdhsa_fp16_overflow 0
		.amdhsa_tg_split 0
		.amdhsa_exception_fp_ieee_invalid_op 0
		.amdhsa_exception_fp_denorm_src 0
		.amdhsa_exception_fp_ieee_div_zero 0
		.amdhsa_exception_fp_ieee_overflow 0
		.amdhsa_exception_fp_ieee_underflow 0
		.amdhsa_exception_fp_ieee_inexact 0
		.amdhsa_exception_int_div_zero 0
	.end_amdhsa_kernel
	.section	.text._ZN12_GLOBAL__N_127rocblas_gemm_batched_kernelIDF16_Li16ELi16ELi64ELi64ELi4ELi64ELi4ELi4ELi64ELc78ELc78EKDF16_S1_DF16_EEvlllT_PT11_llS4_llS2_PT12_llPT13_lli,"axG",@progbits,_ZN12_GLOBAL__N_127rocblas_gemm_batched_kernelIDF16_Li16ELi16ELi64ELi64ELi4ELi64ELi4ELi4ELi64ELc78ELc78EKDF16_S1_DF16_EEvlllT_PT11_llS4_llS2_PT12_llPT13_lli,comdat
.Lfunc_end2:
	.size	_ZN12_GLOBAL__N_127rocblas_gemm_batched_kernelIDF16_Li16ELi16ELi64ELi64ELi4ELi64ELi4ELi4ELi64ELc78ELc78EKDF16_S1_DF16_EEvlllT_PT11_llS4_llS2_PT12_llPT13_lli, .Lfunc_end2-_ZN12_GLOBAL__N_127rocblas_gemm_batched_kernelIDF16_Li16ELi16ELi64ELi64ELi4ELi64ELi4ELi4ELi64ELc78ELc78EKDF16_S1_DF16_EEvlllT_PT11_llS4_llS2_PT12_llPT13_lli
                                        ; -- End function
	.set _ZN12_GLOBAL__N_127rocblas_gemm_batched_kernelIDF16_Li16ELi16ELi64ELi64ELi4ELi64ELi4ELi4ELi64ELc78ELc78EKDF16_S1_DF16_EEvlllT_PT11_llS4_llS2_PT12_llPT13_lli.num_vgpr, 46
	.set _ZN12_GLOBAL__N_127rocblas_gemm_batched_kernelIDF16_Li16ELi16ELi64ELi64ELi4ELi64ELi4ELi4ELi64ELc78ELc78EKDF16_S1_DF16_EEvlllT_PT11_llS4_llS2_PT12_llPT13_lli.num_agpr, 0
	.set _ZN12_GLOBAL__N_127rocblas_gemm_batched_kernelIDF16_Li16ELi16ELi64ELi64ELi4ELi64ELi4ELi4ELi64ELc78ELc78EKDF16_S1_DF16_EEvlllT_PT11_llS4_llS2_PT12_llPT13_lli.numbered_sgpr, 24
	.set _ZN12_GLOBAL__N_127rocblas_gemm_batched_kernelIDF16_Li16ELi16ELi64ELi64ELi4ELi64ELi4ELi4ELi64ELc78ELc78EKDF16_S1_DF16_EEvlllT_PT11_llS4_llS2_PT12_llPT13_lli.num_named_barrier, 0
	.set _ZN12_GLOBAL__N_127rocblas_gemm_batched_kernelIDF16_Li16ELi16ELi64ELi64ELi4ELi64ELi4ELi4ELi64ELc78ELc78EKDF16_S1_DF16_EEvlllT_PT11_llS4_llS2_PT12_llPT13_lli.private_seg_size, 0
	.set _ZN12_GLOBAL__N_127rocblas_gemm_batched_kernelIDF16_Li16ELi16ELi64ELi64ELi4ELi64ELi4ELi4ELi64ELc78ELc78EKDF16_S1_DF16_EEvlllT_PT11_llS4_llS2_PT12_llPT13_lli.uses_vcc, 1
	.set _ZN12_GLOBAL__N_127rocblas_gemm_batched_kernelIDF16_Li16ELi16ELi64ELi64ELi4ELi64ELi4ELi4ELi64ELc78ELc78EKDF16_S1_DF16_EEvlllT_PT11_llS4_llS2_PT12_llPT13_lli.uses_flat_scratch, 0
	.set _ZN12_GLOBAL__N_127rocblas_gemm_batched_kernelIDF16_Li16ELi16ELi64ELi64ELi4ELi64ELi4ELi4ELi64ELc78ELc78EKDF16_S1_DF16_EEvlllT_PT11_llS4_llS2_PT12_llPT13_lli.has_dyn_sized_stack, 0
	.set _ZN12_GLOBAL__N_127rocblas_gemm_batched_kernelIDF16_Li16ELi16ELi64ELi64ELi4ELi64ELi4ELi4ELi64ELc78ELc78EKDF16_S1_DF16_EEvlllT_PT11_llS4_llS2_PT12_llPT13_lli.has_recursion, 0
	.set _ZN12_GLOBAL__N_127rocblas_gemm_batched_kernelIDF16_Li16ELi16ELi64ELi64ELi4ELi64ELi4ELi4ELi64ELc78ELc78EKDF16_S1_DF16_EEvlllT_PT11_llS4_llS2_PT12_llPT13_lli.has_indirect_call, 0
	.section	.AMDGPU.csdata,"",@progbits
; Kernel info:
; codeLenInByte = 2204
; TotalNumSgprs: 30
; NumVgprs: 46
; NumAgprs: 0
; TotalNumVgprs: 46
; ScratchSize: 0
; MemoryBound: 0
; FloatMode: 240
; IeeeMode: 1
; LDSByteSize: 1024 bytes/workgroup (compile time only)
; SGPRBlocks: 3
; VGPRBlocks: 5
; NumSGPRsForWavesPerEU: 30
; NumVGPRsForWavesPerEU: 46
; AccumOffset: 48
; Occupancy: 8
; WaveLimiterHint : 0
; COMPUTE_PGM_RSRC2:SCRATCH_EN: 0
; COMPUTE_PGM_RSRC2:USER_SGPR: 2
; COMPUTE_PGM_RSRC2:TRAP_HANDLER: 0
; COMPUTE_PGM_RSRC2:TGID_X_EN: 1
; COMPUTE_PGM_RSRC2:TGID_Y_EN: 1
; COMPUTE_PGM_RSRC2:TGID_Z_EN: 1
; COMPUTE_PGM_RSRC2:TIDIG_COMP_CNT: 1
; COMPUTE_PGM_RSRC3_GFX90A:ACCUM_OFFSET: 11
; COMPUTE_PGM_RSRC3_GFX90A:TG_SPLIT: 0
	.section	.text._ZN12_GLOBAL__N_127rocblas_gemm_batched_kernelIDF16_Li16ELi16ELi64ELi64ELi4ELi64ELi4ELi4ELi64ELc84ELc78EKDF16_S1_DF16_EEvlllT_PT11_llS4_llS2_PT12_llPT13_lli,"axG",@progbits,_ZN12_GLOBAL__N_127rocblas_gemm_batched_kernelIDF16_Li16ELi16ELi64ELi64ELi4ELi64ELi4ELi4ELi64ELc84ELc78EKDF16_S1_DF16_EEvlllT_PT11_llS4_llS2_PT12_llPT13_lli,comdat
	.globl	_ZN12_GLOBAL__N_127rocblas_gemm_batched_kernelIDF16_Li16ELi16ELi64ELi64ELi4ELi64ELi4ELi4ELi64ELc84ELc78EKDF16_S1_DF16_EEvlllT_PT11_llS4_llS2_PT12_llPT13_lli ; -- Begin function _ZN12_GLOBAL__N_127rocblas_gemm_batched_kernelIDF16_Li16ELi16ELi64ELi64ELi4ELi64ELi4ELi4ELi64ELc84ELc78EKDF16_S1_DF16_EEvlllT_PT11_llS4_llS2_PT12_llPT13_lli
	.p2align	8
	.type	_ZN12_GLOBAL__N_127rocblas_gemm_batched_kernelIDF16_Li16ELi16ELi64ELi64ELi4ELi64ELi4ELi4ELi64ELc84ELc78EKDF16_S1_DF16_EEvlllT_PT11_llS4_llS2_PT12_llPT13_lli,@function
_ZN12_GLOBAL__N_127rocblas_gemm_batched_kernelIDF16_Li16ELi16ELi64ELi64ELi4ELi64ELi4ELi4ELi64ELc84ELc78EKDF16_S1_DF16_EEvlllT_PT11_llS4_llS2_PT12_llPT13_lli: ; @_ZN12_GLOBAL__N_127rocblas_gemm_batched_kernelIDF16_Li16ELi16ELi64ELi64ELi4ELi64ELi4ELi4ELi64ELc84ELc78EKDF16_S1_DF16_EEvlllT_PT11_llS4_llS2_PT12_llPT13_lli
; %bb.0:
	s_load_dwordx2 s[16:17], s[0:1], 0x10
	s_mov_b32 s6, s3
	v_mov_b32_e32 v3, 0
	s_ashr_i32 s3, s2, 31
	s_ashr_i32 s7, s6, 31
	s_waitcnt lgkmcnt(0)
	v_cmp_lt_i64_e64 s[8:9], s[16:17], 1
	v_bfe_u32 v2, v0, 10, 10
	v_and_b32_e32 v0, 0x3ff, v0
	v_mov_b32_e32 v1, v3
	s_lshl_b64 s[2:3], s[2:3], 6
	s_lshl_b64 s[6:7], s[6:7], 6
	s_and_b64 vcc, exec, s[8:9]
	s_cbranch_vccnz .LBB3_3
; %bb.1:
	v_lshl_add_u32 v10, v2, 4, v0
	s_load_dwordx8 s[8:15], s[0:1], 0x20
	s_load_dwordx4 s[20:23], s[0:1], 0x40
	v_lshrrev_b32_e32 v4, 2, v10
	v_mov_b32_e32 v5, v3
	v_and_b32_e32 v8, 63, v10
	v_lshl_add_u64 v[6:7], v[4:5], 0, s[6:7]
	v_and_b32_e32 v5, 3, v0
	v_lshrrev_b32_e32 v12, 6, v10
	v_lshlrev_b32_e32 v10, 1, v8
	v_lshl_or_b32 v18, v12, 7, v10
	v_lshlrev_b32_e32 v10, 1, v5
	v_lshl_or_b32 v4, v4, 3, v10
	v_add_u32_e32 v19, 0x200, v4
	v_mov_b32_e32 v4, 0x200
	v_mov_b32_e32 v9, v3
	v_lshl_add_u32 v21, v2, 3, v4
	s_waitcnt lgkmcnt(0)
	v_mul_lo_u32 v11, s21, v6
	v_mul_lo_u32 v7, s20, v7
	v_mad_u64_u32 v[4:5], s[18:19], s20, v6, 0
	v_add3_u32 v5, v5, v7, v11
	v_lshl_add_u64 v[6:7], s[2:3], 0, v[8:9]
	s_mul_i32 s5, s23, s4
	s_mul_hi_u32 s18, s22, s4
	v_mul_lo_u32 v8, s11, v6
	v_mul_lo_u32 v9, s10, v7
	v_mad_u64_u32 v[6:7], s[10:11], s10, v6, 0
	s_add_i32 s19, s18, s5
	s_mul_i32 s5, s13, s4
	s_mul_hi_u32 s10, s12, s4
	s_mul_i32 s18, s22, s4
	s_add_i32 s11, s10, s5
	s_mul_i32 s10, s12, s4
	s_lshl_b64 s[18:19], s[18:19], 1
	v_add3_u32 v7, v7, v9, v8
	s_lshl_b64 s[10:11], s[10:11], 1
	v_lshl_add_u64 v[4:5], v[4:5], 1, s[18:19]
	v_mov_b32_e32 v11, v3
	v_lshl_add_u64 v[6:7], v[6:7], 1, s[10:11]
	v_lshlrev_b32_e32 v8, 1, v12
	v_mov_b32_e32 v9, v3
	v_lshl_add_u64 v[4:5], v[4:5], 0, v[10:11]
	v_lshl_add_u64 v[6:7], v[6:7], 0, v[8:9]
	v_lshlrev_b32_e32 v20, 1, v0
	v_lshl_add_u64 v[4:5], s[14:15], 0, v[4:5]
	v_lshl_add_u64 v[6:7], s[8:9], 0, v[6:7]
	s_mov_b64 s[8:9], 0
	s_mov_b32 s5, 0x5040100
	v_mov_b64_e32 v[8:9], s[16:17]
	v_mov_b32_e32 v10, v3
	v_mov_b32_e32 v12, v3
	v_mov_b32_e32 v13, v3
	v_mov_b32_e32 v14, v3
	v_mov_b32_e32 v15, v3
	v_mov_b32_e32 v16, v3
	v_mov_b32_e32 v17, v3
.LBB3_2:                                ; =>This Inner Loop Header: Depth=1
	global_load_ushort v22, v[6:7], off
	global_load_ushort v23, v[4:5], off
	s_add_u32 s8, s8, 4
	s_addc_u32 s9, s9, 0
	v_cmp_lt_i64_e32 vcc, s[8:9], v[8:9]
	v_lshl_add_u64 v[4:5], v[4:5], 0, 8
	v_lshl_add_u64 v[6:7], v[6:7], 0, 8
	s_and_b64 vcc, exec, vcc
	s_waitcnt vmcnt(1)
	ds_write_b16 v18, v22
	s_waitcnt vmcnt(0)
	ds_write_b16 v19, v23
	s_waitcnt lgkmcnt(0)
	s_barrier
	ds_read2_b64 v[22:25], v21 offset1:16
	ds_read2_b64 v[26:29], v21 offset0:32 offset1:48
	ds_read_u16 v30, v20
	ds_read_u16 v31, v20 offset:32
	ds_read_u16 v32, v20 offset:64
	;; [unrolled: 1-line block ×15, first 2 shown]
	s_waitcnt lgkmcnt(14)
	v_perm_b32 v30, v30, v31, s5
	s_waitcnt lgkmcnt(12)
	v_perm_b32 v32, v32, v33, s5
	;; [unrolled: 2-line block ×4, first 2 shown]
	v_pk_fma_f16 v17, v30, v22, v17 op_sel_hi:[1,0,1]
	v_pk_fma_f16 v16, v32, v22, v16 op_sel_hi:[1,0,1]
	;; [unrolled: 1-line block ×8, first 2 shown]
	s_waitcnt lgkmcnt(6)
	v_perm_b32 v34, v38, v39, s5
	s_waitcnt lgkmcnt(4)
	v_perm_b32 v36, v40, v41, s5
	v_pk_fma_f16 v17, v31, v22, v17 op_sel:[0,1,0]
	v_pk_fma_f16 v16, v33, v22, v16 op_sel:[0,1,0]
	;; [unrolled: 1-line block ×8, first 2 shown]
	s_waitcnt lgkmcnt(2)
	v_perm_b32 v35, v42, v43, s5
	s_waitcnt lgkmcnt(0)
	v_perm_b32 v37, v44, v45, s5
	v_pk_fma_f16 v17, v34, v23, v17 op_sel_hi:[1,0,1]
	v_pk_fma_f16 v16, v36, v23, v16 op_sel_hi:[1,0,1]
	;; [unrolled: 1-line block ×8, first 2 shown]
	v_pk_fma_f16 v17, v35, v23, v17 op_sel:[0,1,0]
	v_pk_fma_f16 v16, v37, v23, v16 op_sel:[0,1,0]
	;; [unrolled: 1-line block ×8, first 2 shown]
	s_barrier
	s_cbranch_vccnz .LBB3_2
	s_branch .LBB3_4
.LBB3_3:
	v_mov_b32_e32 v17, v3
	v_mov_b32_e32 v16, v3
	;; [unrolled: 1-line block ×8, first 2 shown]
.LBB3_4:
	s_load_dwordx4 s[16:19], s[0:1], 0x78
	s_load_dword s5, s[0:1], 0x18
	s_load_dword s20, s[0:1], 0x50
	s_load_dwordx8 s[8:15], s[0:1], 0x58
	v_lshl_add_u64 v[2:3], s[6:7], 0, v[2:3]
	s_waitcnt lgkmcnt(0)
	s_mul_i32 s0, s19, s4
	s_mul_hi_u32 s1, s18, s4
	s_add_i32 s1, s1, s0
	s_mul_i32 s0, s18, s4
	s_lshl_b64 s[0:1], s[0:1], 1
	s_add_u32 s0, s14, s0
	v_cmp_neq_f16_e64 s[6:7], s20, 0
	v_lshl_add_u64 v[0:1], s[2:3], 0, v[0:1]
	s_addc_u32 s1, s15, s1
	s_and_b64 vcc, exec, s[6:7]
	v_mul_lo_u32 v20, v3, s16
	v_mul_lo_u32 v21, v2, s17
	v_lshrrev_b32_e32 v19, 16, v17
	v_lshlrev_b64 v[0:1], 1, v[0:1]
	v_lshrrev_b32_e32 v18, 16, v16
	v_lshrrev_b32_e32 v9, 16, v15
	;; [unrolled: 1-line block ×7, first 2 shown]
	s_cbranch_vccnz .LBB3_8
; %bb.5:
	v_mad_u64_u32 v[22:23], s[2:3], v2, s16, 0
	v_add3_u32 v23, v23, v21, v20
	v_lshl_add_u64 v[22:23], v[22:23], 1, s[0:1]
	v_mul_f16_sdwa v26, s5, v17 dst_sel:DWORD dst_unused:UNUSED_PAD src0_sel:DWORD src1_sel:WORD_1
	v_lshl_add_u64 v[24:25], v[22:23], 0, v[0:1]
	global_store_short v[24:25], v26, off
	v_mul_f16_e32 v26, s5, v17
	global_store_short v[24:25], v26, off offset:32
	v_mul_f16_sdwa v26, s5, v16 dst_sel:DWORD dst_unused:UNUSED_PAD src0_sel:DWORD src1_sel:WORD_1
	s_lshl_b64 s[2:3], s[16:17], 5
	global_store_short v[24:25], v26, off offset:64
	v_mul_f16_e32 v26, s5, v16
	v_lshl_add_u64 v[22:23], v[22:23], 0, s[2:3]
	global_store_short v[24:25], v26, off offset:96
	v_mul_f16_sdwa v26, s5, v15 dst_sel:DWORD dst_unused:UNUSED_PAD src0_sel:DWORD src1_sel:WORD_1
	v_lshl_add_u64 v[24:25], v[22:23], 0, v[0:1]
	global_store_short v[24:25], v26, off
	v_mul_f16_e32 v26, s5, v15
	global_store_short v[24:25], v26, off offset:32
	v_mul_f16_sdwa v26, s5, v14 dst_sel:DWORD dst_unused:UNUSED_PAD src0_sel:DWORD src1_sel:WORD_1
	global_store_short v[24:25], v26, off offset:64
	v_mul_f16_e32 v26, s5, v14
	v_lshl_add_u64 v[22:23], v[22:23], 0, s[2:3]
	global_store_short v[24:25], v26, off offset:96
	v_mul_f16_sdwa v26, s5, v13 dst_sel:DWORD dst_unused:UNUSED_PAD src0_sel:DWORD src1_sel:WORD_1
	v_lshl_add_u64 v[24:25], v[22:23], 0, v[0:1]
	global_store_short v[24:25], v26, off
	v_mul_f16_e32 v26, s5, v13
	global_store_short v[24:25], v26, off offset:32
	v_mul_f16_sdwa v26, s5, v12 dst_sel:DWORD dst_unused:UNUSED_PAD src0_sel:DWORD src1_sel:WORD_1
	;; [unrolled: 10-line block ×3, first 2 shown]
	global_store_short v[22:23], v24, off offset:64
	v_mul_f16_e32 v24, s5, v10
	global_store_short v[22:23], v24, off offset:96
	s_cbranch_execnz .LBB3_7
.LBB3_6:
	s_mul_i32 s2, s13, s4
	s_mul_hi_u32 s3, s12, s4
	s_add_i32 s3, s3, s2
	s_mul_i32 s2, s12, s4
	s_lshl_b64 s[2:3], s[2:3], 1
	s_add_u32 s2, s8, s2
	v_mul_lo_u32 v3, v3, s10
	v_mul_lo_u32 v24, v2, s11
	v_mad_u64_u32 v[22:23], s[6:7], v2, s10, 0
	s_addc_u32 s3, s9, s3
	v_add3_u32 v23, v23, v24, v3
	v_lshl_add_u64 v[22:23], v[22:23], 1, s[2:3]
	v_lshl_add_u64 v[24:25], v[22:23], 0, v[0:1]
	global_load_ushort v26, v[24:25], off
	v_mad_u64_u32 v[2:3], s[2:3], v2, s16, 0
	v_add3_u32 v3, v3, v21, v20
	v_lshl_add_u64 v[2:3], v[2:3], 1, s[0:1]
	v_lshl_add_u64 v[20:21], v[2:3], 0, v[0:1]
	s_lshl_b64 s[0:1], s[10:11], 5
	s_lshl_b64 s[2:3], s[16:17], 5
	v_lshl_add_u64 v[2:3], v[2:3], 0, s[2:3]
	s_waitcnt vmcnt(0)
	v_mul_f16_e32 v26, s20, v26
	v_fma_f16 v19, s5, v19, v26
	global_store_short v[20:21], v19, off
	global_load_ushort v19, v[24:25], off offset:32
	s_waitcnt vmcnt(0)
	v_mul_f16_e32 v19, s20, v19
	v_fma_f16 v17, s5, v17, v19
	global_store_short v[20:21], v17, off offset:32
	global_load_ushort v17, v[24:25], off offset:64
	s_waitcnt vmcnt(0)
	v_mul_f16_e32 v17, s20, v17
	v_fma_f16 v17, s5, v18, v17
	global_store_short v[20:21], v17, off offset:64
	global_load_ushort v17, v[24:25], off offset:96
	v_lshl_add_u64 v[18:19], v[22:23], 0, s[0:1]
	v_lshl_add_u64 v[22:23], v[18:19], 0, v[0:1]
	s_waitcnt vmcnt(0)
	v_mul_f16_e32 v17, s20, v17
	v_fma_f16 v16, s5, v16, v17
	global_store_short v[20:21], v16, off offset:96
	global_load_ushort v20, v[22:23], off
	v_lshl_add_u64 v[16:17], v[2:3], 0, v[0:1]
	v_lshl_add_u64 v[2:3], v[2:3], 0, s[2:3]
	s_waitcnt vmcnt(0)
	v_mul_f16_e32 v20, s20, v20
	v_fma_f16 v9, s5, v9, v20
	global_store_short v[16:17], v9, off
	global_load_ushort v9, v[22:23], off offset:32
	s_waitcnt vmcnt(0)
	v_mul_f16_e32 v9, s20, v9
	v_fma_f16 v9, s5, v15, v9
	global_store_short v[16:17], v9, off offset:32
	global_load_ushort v9, v[22:23], off offset:64
	s_waitcnt vmcnt(0)
	v_mul_f16_e32 v9, s20, v9
	v_fma_f16 v8, s5, v8, v9
	global_store_short v[16:17], v8, off offset:64
	global_load_ushort v15, v[22:23], off offset:96
	v_lshl_add_u64 v[8:9], v[18:19], 0, s[0:1]
	v_lshl_add_u64 v[18:19], v[8:9], 0, v[0:1]
	s_waitcnt vmcnt(0)
	v_mul_f16_e32 v15, s20, v15
	v_fma_f16 v14, s5, v14, v15
	global_store_short v[16:17], v14, off offset:96
	global_load_ushort v16, v[18:19], off
	v_lshl_add_u64 v[14:15], v[2:3], 0, v[0:1]
	v_lshl_add_u64 v[2:3], v[2:3], 0, s[2:3]
	s_waitcnt vmcnt(0)
	v_mul_f16_e32 v16, s20, v16
	v_fma_f16 v7, s5, v7, v16
	global_store_short v[14:15], v7, off
	global_load_ushort v7, v[18:19], off offset:32
	s_waitcnt vmcnt(0)
	v_mul_f16_e32 v7, s20, v7
	v_fma_f16 v7, s5, v13, v7
	global_store_short v[14:15], v7, off offset:32
	global_load_ushort v7, v[18:19], off offset:64
	s_waitcnt vmcnt(0)
	v_mul_f16_e32 v7, s20, v7
	v_fma_f16 v6, s5, v6, v7
	global_store_short v[14:15], v6, off offset:64
	global_load_ushort v13, v[18:19], off offset:96
	v_lshl_add_u64 v[6:7], v[8:9], 0, s[0:1]
	v_lshl_add_u64 v[6:7], v[6:7], 0, v[0:1]
	;; [unrolled: 1-line block ×3, first 2 shown]
	s_waitcnt vmcnt(0)
	v_mul_f16_e32 v8, s20, v13
	v_fma_f16 v8, s5, v12, v8
	global_store_short v[14:15], v8, off offset:96
	global_load_ushort v8, v[6:7], off
	s_waitcnt vmcnt(0)
	v_mul_f16_e32 v8, s20, v8
	v_fma_f16 v5, s5, v5, v8
	global_store_short v[0:1], v5, off
	global_load_ushort v2, v[6:7], off offset:32
	s_waitcnt vmcnt(0)
	v_mul_f16_e32 v2, s20, v2
	v_fma_f16 v2, s5, v11, v2
	global_store_short v[0:1], v2, off offset:32
	global_load_ushort v2, v[6:7], off offset:64
	s_waitcnt vmcnt(0)
	v_mul_f16_e32 v2, s20, v2
	v_fma_f16 v2, s5, v4, v2
	global_store_short v[0:1], v2, off offset:64
	;; [unrolled: 5-line block ×3, first 2 shown]
.LBB3_7:
	s_endpgm
.LBB3_8:
	s_branch .LBB3_6
	.section	.rodata,"a",@progbits
	.p2align	6, 0x0
	.amdhsa_kernel _ZN12_GLOBAL__N_127rocblas_gemm_batched_kernelIDF16_Li16ELi16ELi64ELi64ELi4ELi64ELi4ELi4ELi64ELc84ELc78EKDF16_S1_DF16_EEvlllT_PT11_llS4_llS2_PT12_llPT13_lli
		.amdhsa_group_segment_fixed_size 1024
		.amdhsa_private_segment_fixed_size 0
		.amdhsa_kernarg_size 140
		.amdhsa_user_sgpr_count 2
		.amdhsa_user_sgpr_dispatch_ptr 0
		.amdhsa_user_sgpr_queue_ptr 0
		.amdhsa_user_sgpr_kernarg_segment_ptr 1
		.amdhsa_user_sgpr_dispatch_id 0
		.amdhsa_user_sgpr_kernarg_preload_length 0
		.amdhsa_user_sgpr_kernarg_preload_offset 0
		.amdhsa_user_sgpr_private_segment_size 0
		.amdhsa_uses_dynamic_stack 0
		.amdhsa_enable_private_segment 0
		.amdhsa_system_sgpr_workgroup_id_x 1
		.amdhsa_system_sgpr_workgroup_id_y 1
		.amdhsa_system_sgpr_workgroup_id_z 1
		.amdhsa_system_sgpr_workgroup_info 0
		.amdhsa_system_vgpr_workitem_id 1
		.amdhsa_next_free_vgpr 46
		.amdhsa_next_free_sgpr 24
		.amdhsa_accum_offset 48
		.amdhsa_reserve_vcc 1
		.amdhsa_float_round_mode_32 0
		.amdhsa_float_round_mode_16_64 0
		.amdhsa_float_denorm_mode_32 3
		.amdhsa_float_denorm_mode_16_64 3
		.amdhsa_dx10_clamp 1
		.amdhsa_ieee_mode 1
		.amdhsa_fp16_overflow 0
		.amdhsa_tg_split 0
		.amdhsa_exception_fp_ieee_invalid_op 0
		.amdhsa_exception_fp_denorm_src 0
		.amdhsa_exception_fp_ieee_div_zero 0
		.amdhsa_exception_fp_ieee_overflow 0
		.amdhsa_exception_fp_ieee_underflow 0
		.amdhsa_exception_fp_ieee_inexact 0
		.amdhsa_exception_int_div_zero 0
	.end_amdhsa_kernel
	.section	.text._ZN12_GLOBAL__N_127rocblas_gemm_batched_kernelIDF16_Li16ELi16ELi64ELi64ELi4ELi64ELi4ELi4ELi64ELc84ELc78EKDF16_S1_DF16_EEvlllT_PT11_llS4_llS2_PT12_llPT13_lli,"axG",@progbits,_ZN12_GLOBAL__N_127rocblas_gemm_batched_kernelIDF16_Li16ELi16ELi64ELi64ELi4ELi64ELi4ELi4ELi64ELc84ELc78EKDF16_S1_DF16_EEvlllT_PT11_llS4_llS2_PT12_llPT13_lli,comdat
.Lfunc_end3:
	.size	_ZN12_GLOBAL__N_127rocblas_gemm_batched_kernelIDF16_Li16ELi16ELi64ELi64ELi4ELi64ELi4ELi4ELi64ELc84ELc78EKDF16_S1_DF16_EEvlllT_PT11_llS4_llS2_PT12_llPT13_lli, .Lfunc_end3-_ZN12_GLOBAL__N_127rocblas_gemm_batched_kernelIDF16_Li16ELi16ELi64ELi64ELi4ELi64ELi4ELi4ELi64ELc84ELc78EKDF16_S1_DF16_EEvlllT_PT11_llS4_llS2_PT12_llPT13_lli
                                        ; -- End function
	.set _ZN12_GLOBAL__N_127rocblas_gemm_batched_kernelIDF16_Li16ELi16ELi64ELi64ELi4ELi64ELi4ELi4ELi64ELc84ELc78EKDF16_S1_DF16_EEvlllT_PT11_llS4_llS2_PT12_llPT13_lli.num_vgpr, 46
	.set _ZN12_GLOBAL__N_127rocblas_gemm_batched_kernelIDF16_Li16ELi16ELi64ELi64ELi4ELi64ELi4ELi4ELi64ELc84ELc78EKDF16_S1_DF16_EEvlllT_PT11_llS4_llS2_PT12_llPT13_lli.num_agpr, 0
	.set _ZN12_GLOBAL__N_127rocblas_gemm_batched_kernelIDF16_Li16ELi16ELi64ELi64ELi4ELi64ELi4ELi4ELi64ELc84ELc78EKDF16_S1_DF16_EEvlllT_PT11_llS4_llS2_PT12_llPT13_lli.numbered_sgpr, 24
	.set _ZN12_GLOBAL__N_127rocblas_gemm_batched_kernelIDF16_Li16ELi16ELi64ELi64ELi4ELi64ELi4ELi4ELi64ELc84ELc78EKDF16_S1_DF16_EEvlllT_PT11_llS4_llS2_PT12_llPT13_lli.num_named_barrier, 0
	.set _ZN12_GLOBAL__N_127rocblas_gemm_batched_kernelIDF16_Li16ELi16ELi64ELi64ELi4ELi64ELi4ELi4ELi64ELc84ELc78EKDF16_S1_DF16_EEvlllT_PT11_llS4_llS2_PT12_llPT13_lli.private_seg_size, 0
	.set _ZN12_GLOBAL__N_127rocblas_gemm_batched_kernelIDF16_Li16ELi16ELi64ELi64ELi4ELi64ELi4ELi4ELi64ELc84ELc78EKDF16_S1_DF16_EEvlllT_PT11_llS4_llS2_PT12_llPT13_lli.uses_vcc, 1
	.set _ZN12_GLOBAL__N_127rocblas_gemm_batched_kernelIDF16_Li16ELi16ELi64ELi64ELi4ELi64ELi4ELi4ELi64ELc84ELc78EKDF16_S1_DF16_EEvlllT_PT11_llS4_llS2_PT12_llPT13_lli.uses_flat_scratch, 0
	.set _ZN12_GLOBAL__N_127rocblas_gemm_batched_kernelIDF16_Li16ELi16ELi64ELi64ELi4ELi64ELi4ELi4ELi64ELc84ELc78EKDF16_S1_DF16_EEvlllT_PT11_llS4_llS2_PT12_llPT13_lli.has_dyn_sized_stack, 0
	.set _ZN12_GLOBAL__N_127rocblas_gemm_batched_kernelIDF16_Li16ELi16ELi64ELi64ELi4ELi64ELi4ELi4ELi64ELc84ELc78EKDF16_S1_DF16_EEvlllT_PT11_llS4_llS2_PT12_llPT13_lli.has_recursion, 0
	.set _ZN12_GLOBAL__N_127rocblas_gemm_batched_kernelIDF16_Li16ELi16ELi64ELi64ELi4ELi64ELi4ELi4ELi64ELc84ELc78EKDF16_S1_DF16_EEvlllT_PT11_llS4_llS2_PT12_llPT13_lli.has_indirect_call, 0
	.section	.AMDGPU.csdata,"",@progbits
; Kernel info:
; codeLenInByte = 2216
; TotalNumSgprs: 30
; NumVgprs: 46
; NumAgprs: 0
; TotalNumVgprs: 46
; ScratchSize: 0
; MemoryBound: 0
; FloatMode: 240
; IeeeMode: 1
; LDSByteSize: 1024 bytes/workgroup (compile time only)
; SGPRBlocks: 3
; VGPRBlocks: 5
; NumSGPRsForWavesPerEU: 30
; NumVGPRsForWavesPerEU: 46
; AccumOffset: 48
; Occupancy: 8
; WaveLimiterHint : 0
; COMPUTE_PGM_RSRC2:SCRATCH_EN: 0
; COMPUTE_PGM_RSRC2:USER_SGPR: 2
; COMPUTE_PGM_RSRC2:TRAP_HANDLER: 0
; COMPUTE_PGM_RSRC2:TGID_X_EN: 1
; COMPUTE_PGM_RSRC2:TGID_Y_EN: 1
; COMPUTE_PGM_RSRC2:TGID_Z_EN: 1
; COMPUTE_PGM_RSRC2:TIDIG_COMP_CNT: 1
; COMPUTE_PGM_RSRC3_GFX90A:ACCUM_OFFSET: 11
; COMPUTE_PGM_RSRC3_GFX90A:TG_SPLIT: 0
	.section	.text._ZN12_GLOBAL__N_127rocblas_gemm_batched_kernelIDF16_Li16ELi16ELi64ELi64ELi4ELi64ELi4ELi4ELi64ELc78ELc84EKDF16_S1_DF16_EEvlllT_PT11_llS4_llS2_PT12_llPT13_lli,"axG",@progbits,_ZN12_GLOBAL__N_127rocblas_gemm_batched_kernelIDF16_Li16ELi16ELi64ELi64ELi4ELi64ELi4ELi4ELi64ELc78ELc84EKDF16_S1_DF16_EEvlllT_PT11_llS4_llS2_PT12_llPT13_lli,comdat
	.globl	_ZN12_GLOBAL__N_127rocblas_gemm_batched_kernelIDF16_Li16ELi16ELi64ELi64ELi4ELi64ELi4ELi4ELi64ELc78ELc84EKDF16_S1_DF16_EEvlllT_PT11_llS4_llS2_PT12_llPT13_lli ; -- Begin function _ZN12_GLOBAL__N_127rocblas_gemm_batched_kernelIDF16_Li16ELi16ELi64ELi64ELi4ELi64ELi4ELi4ELi64ELc78ELc84EKDF16_S1_DF16_EEvlllT_PT11_llS4_llS2_PT12_llPT13_lli
	.p2align	8
	.type	_ZN12_GLOBAL__N_127rocblas_gemm_batched_kernelIDF16_Li16ELi16ELi64ELi64ELi4ELi64ELi4ELi4ELi64ELc78ELc84EKDF16_S1_DF16_EEvlllT_PT11_llS4_llS2_PT12_llPT13_lli,@function
_ZN12_GLOBAL__N_127rocblas_gemm_batched_kernelIDF16_Li16ELi16ELi64ELi64ELi4ELi64ELi4ELi4ELi64ELc78ELc84EKDF16_S1_DF16_EEvlllT_PT11_llS4_llS2_PT12_llPT13_lli: ; @_ZN12_GLOBAL__N_127rocblas_gemm_batched_kernelIDF16_Li16ELi16ELi64ELi64ELi4ELi64ELi4ELi4ELi64ELc78ELc84EKDF16_S1_DF16_EEvlllT_PT11_llS4_llS2_PT12_llPT13_lli
; %bb.0:
	s_load_dwordx2 s[16:17], s[0:1], 0x10
	s_mov_b32 s6, s3
	v_mov_b32_e32 v3, 0
	s_ashr_i32 s3, s2, 31
	s_ashr_i32 s7, s6, 31
	s_waitcnt lgkmcnt(0)
	v_cmp_lt_i64_e64 s[8:9], s[16:17], 1
	v_bfe_u32 v2, v0, 10, 10
	v_and_b32_e32 v0, 0x3ff, v0
	v_mov_b32_e32 v1, v3
	s_lshl_b64 s[2:3], s[2:3], 6
	s_lshl_b64 s[6:7], s[6:7], 6
	s_and_b64 vcc, exec, s[8:9]
	s_cbranch_vccnz .LBB4_3
; %bb.1:
	s_load_dwordx8 s[8:15], s[0:1], 0x20
	s_load_dwordx4 s[20:23], s[0:1], 0x40
	v_lshl_add_u32 v8, v2, 4, v0
	v_and_b32_e32 v6, 63, v8
	v_lshrrev_b32_e32 v4, 2, v8
	v_and_b32_e32 v9, 3, v0
	v_lshrrev_b32_e32 v11, 6, v8
	v_lshlrev_b32_e32 v8, 1, v6
	v_lshl_or_b32 v18, v11, 7, v8
	v_lshlrev_b32_e32 v8, 1, v9
	v_mov_b32_e32 v5, v3
	v_lshl_or_b32 v8, v4, 3, v8
	s_waitcnt lgkmcnt(0)
	s_mul_i32 s5, s23, s4
	s_mul_hi_u32 s18, s22, s4
	v_add_u32_e32 v19, 0x200, v8
	v_mov_b32_e32 v8, 0x200
	s_add_i32 s19, s18, s5
	s_mul_i32 s18, s22, s4
	v_mad_u64_u32 v[4:5], s[22:23], s20, v9, v[4:5]
	v_lshl_add_u32 v21, v2, 3, v8
	v_mov_b32_e32 v8, v5
	s_lshl_b64 s[18:19], s[18:19], 1
	v_mad_u64_u32 v[8:9], s[22:23], s21, v9, v[8:9]
	v_mov_b32_e32 v5, v8
	s_add_u32 s14, s14, s18
	v_mov_b64_e32 v[8:9], s[2:3]
	s_addc_u32 s15, s15, s19
	s_mul_i32 s5, s13, s4
	s_mul_hi_u32 s13, s12, s4
	v_mad_u64_u32 v[8:9], s[18:19], s10, v11, v[8:9]
	v_lshl_add_u64 v[4:5], v[4:5], 0, s[6:7]
	s_add_i32 s13, s13, s5
	s_mul_i32 s12, s12, s4
	v_mov_b32_e32 v10, v9
	v_lshl_add_u64 v[4:5], v[4:5], 1, s[14:15]
	s_lshl_b64 s[14:15], s[20:21], 3
	s_lshl_b64 s[12:13], s[12:13], 1
	v_mad_u64_u32 v[10:11], s[18:19], s11, v11, v[10:11]
	v_mov_b32_e32 v7, v3
	v_mov_b32_e32 v9, v10
	s_add_u32 s8, s8, s12
	v_lshl_add_u64 v[6:7], v[8:9], 0, v[6:7]
	s_addc_u32 s9, s9, s13
	v_lshlrev_b32_e32 v20, 1, v0
	v_lshl_add_u64 v[6:7], v[6:7], 1, s[8:9]
	s_lshl_b64 s[8:9], s[10:11], 3
	s_mov_b64 s[10:11], 0
	s_mov_b32 s5, 0x5040100
	v_mov_b64_e32 v[8:9], s[16:17]
	v_mov_b32_e32 v10, v3
	v_mov_b32_e32 v11, v3
	v_mov_b32_e32 v12, v3
	v_mov_b32_e32 v13, v3
	v_mov_b32_e32 v14, v3
	v_mov_b32_e32 v15, v3
	v_mov_b32_e32 v16, v3
	v_mov_b32_e32 v17, v3
.LBB4_2:                                ; =>This Inner Loop Header: Depth=1
	global_load_ushort v22, v[6:7], off
	global_load_ushort v23, v[4:5], off
	s_add_u32 s10, s10, 4
	s_addc_u32 s11, s11, 0
	v_cmp_lt_i64_e32 vcc, s[10:11], v[8:9]
	v_lshl_add_u64 v[4:5], v[4:5], 0, s[14:15]
	v_lshl_add_u64 v[6:7], v[6:7], 0, s[8:9]
	s_and_b64 vcc, exec, vcc
	s_waitcnt vmcnt(1)
	ds_write_b16 v18, v22
	s_waitcnt vmcnt(0)
	ds_write_b16 v19, v23
	s_waitcnt lgkmcnt(0)
	s_barrier
	ds_read2_b64 v[22:25], v21 offset1:16
	ds_read2_b64 v[26:29], v21 offset0:32 offset1:48
	ds_read_u16 v30, v20
	ds_read_u16 v31, v20 offset:32
	ds_read_u16 v32, v20 offset:64
	;; [unrolled: 1-line block ×15, first 2 shown]
	s_waitcnt lgkmcnt(14)
	v_perm_b32 v30, v30, v31, s5
	s_waitcnt lgkmcnt(12)
	v_perm_b32 v32, v32, v33, s5
	;; [unrolled: 2-line block ×4, first 2 shown]
	v_pk_fma_f16 v17, v30, v22, v17 op_sel_hi:[1,0,1]
	v_pk_fma_f16 v16, v32, v22, v16 op_sel_hi:[1,0,1]
	;; [unrolled: 1-line block ×8, first 2 shown]
	s_waitcnt lgkmcnt(6)
	v_perm_b32 v34, v38, v39, s5
	s_waitcnt lgkmcnt(4)
	v_perm_b32 v36, v40, v41, s5
	v_pk_fma_f16 v17, v31, v22, v17 op_sel:[0,1,0]
	v_pk_fma_f16 v16, v33, v22, v16 op_sel:[0,1,0]
	;; [unrolled: 1-line block ×8, first 2 shown]
	s_waitcnt lgkmcnt(2)
	v_perm_b32 v35, v42, v43, s5
	s_waitcnt lgkmcnt(0)
	v_perm_b32 v37, v44, v45, s5
	v_pk_fma_f16 v17, v34, v23, v17 op_sel_hi:[1,0,1]
	v_pk_fma_f16 v16, v36, v23, v16 op_sel_hi:[1,0,1]
	;; [unrolled: 1-line block ×8, first 2 shown]
	v_pk_fma_f16 v17, v35, v23, v17 op_sel:[0,1,0]
	v_pk_fma_f16 v16, v37, v23, v16 op_sel:[0,1,0]
	;; [unrolled: 1-line block ×8, first 2 shown]
	s_barrier
	s_cbranch_vccnz .LBB4_2
	s_branch .LBB4_4
.LBB4_3:
	v_mov_b32_e32 v17, v3
	v_mov_b32_e32 v16, v3
	;; [unrolled: 1-line block ×8, first 2 shown]
.LBB4_4:
	s_load_dwordx4 s[16:19], s[0:1], 0x78
	s_load_dword s5, s[0:1], 0x18
	s_load_dword s20, s[0:1], 0x50
	s_load_dwordx8 s[8:15], s[0:1], 0x58
	v_lshl_add_u64 v[2:3], s[6:7], 0, v[2:3]
	s_waitcnt lgkmcnt(0)
	s_mul_i32 s0, s19, s4
	s_mul_hi_u32 s1, s18, s4
	s_add_i32 s1, s1, s0
	s_mul_i32 s0, s18, s4
	s_lshl_b64 s[0:1], s[0:1], 1
	s_add_u32 s0, s14, s0
	v_cmp_neq_f16_e64 s[6:7], s20, 0
	v_lshl_add_u64 v[0:1], s[2:3], 0, v[0:1]
	s_addc_u32 s1, s15, s1
	s_and_b64 vcc, exec, s[6:7]
	v_mul_lo_u32 v20, v3, s16
	v_mul_lo_u32 v21, v2, s17
	v_lshrrev_b32_e32 v19, 16, v17
	v_lshlrev_b64 v[0:1], 1, v[0:1]
	v_lshrrev_b32_e32 v18, 16, v16
	v_lshrrev_b32_e32 v9, 16, v15
	;; [unrolled: 1-line block ×7, first 2 shown]
	s_cbranch_vccnz .LBB4_8
; %bb.5:
	v_mad_u64_u32 v[22:23], s[2:3], v2, s16, 0
	v_add3_u32 v23, v23, v21, v20
	v_lshl_add_u64 v[22:23], v[22:23], 1, s[0:1]
	v_mul_f16_sdwa v26, s5, v17 dst_sel:DWORD dst_unused:UNUSED_PAD src0_sel:DWORD src1_sel:WORD_1
	v_lshl_add_u64 v[24:25], v[22:23], 0, v[0:1]
	global_store_short v[24:25], v26, off
	v_mul_f16_e32 v26, s5, v17
	global_store_short v[24:25], v26, off offset:32
	v_mul_f16_sdwa v26, s5, v16 dst_sel:DWORD dst_unused:UNUSED_PAD src0_sel:DWORD src1_sel:WORD_1
	s_lshl_b64 s[2:3], s[16:17], 5
	global_store_short v[24:25], v26, off offset:64
	v_mul_f16_e32 v26, s5, v16
	v_lshl_add_u64 v[22:23], v[22:23], 0, s[2:3]
	global_store_short v[24:25], v26, off offset:96
	v_mul_f16_sdwa v26, s5, v15 dst_sel:DWORD dst_unused:UNUSED_PAD src0_sel:DWORD src1_sel:WORD_1
	v_lshl_add_u64 v[24:25], v[22:23], 0, v[0:1]
	global_store_short v[24:25], v26, off
	v_mul_f16_e32 v26, s5, v15
	global_store_short v[24:25], v26, off offset:32
	v_mul_f16_sdwa v26, s5, v14 dst_sel:DWORD dst_unused:UNUSED_PAD src0_sel:DWORD src1_sel:WORD_1
	global_store_short v[24:25], v26, off offset:64
	v_mul_f16_e32 v26, s5, v14
	v_lshl_add_u64 v[22:23], v[22:23], 0, s[2:3]
	global_store_short v[24:25], v26, off offset:96
	v_mul_f16_sdwa v26, s5, v13 dst_sel:DWORD dst_unused:UNUSED_PAD src0_sel:DWORD src1_sel:WORD_1
	v_lshl_add_u64 v[24:25], v[22:23], 0, v[0:1]
	global_store_short v[24:25], v26, off
	v_mul_f16_e32 v26, s5, v13
	global_store_short v[24:25], v26, off offset:32
	v_mul_f16_sdwa v26, s5, v12 dst_sel:DWORD dst_unused:UNUSED_PAD src0_sel:DWORD src1_sel:WORD_1
	;; [unrolled: 10-line block ×3, first 2 shown]
	global_store_short v[22:23], v24, off offset:64
	v_mul_f16_e32 v24, s5, v10
	global_store_short v[22:23], v24, off offset:96
	s_cbranch_execnz .LBB4_7
.LBB4_6:
	s_mul_i32 s2, s13, s4
	s_mul_hi_u32 s3, s12, s4
	s_add_i32 s3, s3, s2
	s_mul_i32 s2, s12, s4
	s_lshl_b64 s[2:3], s[2:3], 1
	s_add_u32 s2, s8, s2
	v_mul_lo_u32 v3, v3, s10
	v_mul_lo_u32 v24, v2, s11
	v_mad_u64_u32 v[22:23], s[6:7], v2, s10, 0
	s_addc_u32 s3, s9, s3
	v_add3_u32 v23, v23, v24, v3
	v_lshl_add_u64 v[22:23], v[22:23], 1, s[2:3]
	v_lshl_add_u64 v[24:25], v[22:23], 0, v[0:1]
	global_load_ushort v26, v[24:25], off
	v_mad_u64_u32 v[2:3], s[2:3], v2, s16, 0
	v_add3_u32 v3, v3, v21, v20
	v_lshl_add_u64 v[2:3], v[2:3], 1, s[0:1]
	v_lshl_add_u64 v[20:21], v[2:3], 0, v[0:1]
	s_lshl_b64 s[0:1], s[10:11], 5
	s_lshl_b64 s[2:3], s[16:17], 5
	v_lshl_add_u64 v[2:3], v[2:3], 0, s[2:3]
	s_waitcnt vmcnt(0)
	v_mul_f16_e32 v26, s20, v26
	v_fma_f16 v19, s5, v19, v26
	global_store_short v[20:21], v19, off
	global_load_ushort v19, v[24:25], off offset:32
	s_waitcnt vmcnt(0)
	v_mul_f16_e32 v19, s20, v19
	v_fma_f16 v17, s5, v17, v19
	global_store_short v[20:21], v17, off offset:32
	global_load_ushort v17, v[24:25], off offset:64
	s_waitcnt vmcnt(0)
	v_mul_f16_e32 v17, s20, v17
	v_fma_f16 v17, s5, v18, v17
	global_store_short v[20:21], v17, off offset:64
	global_load_ushort v17, v[24:25], off offset:96
	v_lshl_add_u64 v[18:19], v[22:23], 0, s[0:1]
	v_lshl_add_u64 v[22:23], v[18:19], 0, v[0:1]
	s_waitcnt vmcnt(0)
	v_mul_f16_e32 v17, s20, v17
	v_fma_f16 v16, s5, v16, v17
	global_store_short v[20:21], v16, off offset:96
	global_load_ushort v20, v[22:23], off
	v_lshl_add_u64 v[16:17], v[2:3], 0, v[0:1]
	v_lshl_add_u64 v[2:3], v[2:3], 0, s[2:3]
	s_waitcnt vmcnt(0)
	v_mul_f16_e32 v20, s20, v20
	v_fma_f16 v9, s5, v9, v20
	global_store_short v[16:17], v9, off
	global_load_ushort v9, v[22:23], off offset:32
	s_waitcnt vmcnt(0)
	v_mul_f16_e32 v9, s20, v9
	v_fma_f16 v9, s5, v15, v9
	global_store_short v[16:17], v9, off offset:32
	global_load_ushort v9, v[22:23], off offset:64
	s_waitcnt vmcnt(0)
	v_mul_f16_e32 v9, s20, v9
	v_fma_f16 v8, s5, v8, v9
	global_store_short v[16:17], v8, off offset:64
	global_load_ushort v15, v[22:23], off offset:96
	v_lshl_add_u64 v[8:9], v[18:19], 0, s[0:1]
	v_lshl_add_u64 v[18:19], v[8:9], 0, v[0:1]
	s_waitcnt vmcnt(0)
	v_mul_f16_e32 v15, s20, v15
	v_fma_f16 v14, s5, v14, v15
	global_store_short v[16:17], v14, off offset:96
	global_load_ushort v16, v[18:19], off
	v_lshl_add_u64 v[14:15], v[2:3], 0, v[0:1]
	v_lshl_add_u64 v[2:3], v[2:3], 0, s[2:3]
	s_waitcnt vmcnt(0)
	v_mul_f16_e32 v16, s20, v16
	v_fma_f16 v7, s5, v7, v16
	global_store_short v[14:15], v7, off
	global_load_ushort v7, v[18:19], off offset:32
	s_waitcnt vmcnt(0)
	v_mul_f16_e32 v7, s20, v7
	v_fma_f16 v7, s5, v13, v7
	global_store_short v[14:15], v7, off offset:32
	global_load_ushort v7, v[18:19], off offset:64
	s_waitcnt vmcnt(0)
	v_mul_f16_e32 v7, s20, v7
	v_fma_f16 v6, s5, v6, v7
	global_store_short v[14:15], v6, off offset:64
	global_load_ushort v13, v[18:19], off offset:96
	v_lshl_add_u64 v[6:7], v[8:9], 0, s[0:1]
	v_lshl_add_u64 v[6:7], v[6:7], 0, v[0:1]
	;; [unrolled: 1-line block ×3, first 2 shown]
	s_waitcnt vmcnt(0)
	v_mul_f16_e32 v8, s20, v13
	v_fma_f16 v8, s5, v12, v8
	global_store_short v[14:15], v8, off offset:96
	global_load_ushort v8, v[6:7], off
	s_waitcnt vmcnt(0)
	v_mul_f16_e32 v8, s20, v8
	v_fma_f16 v5, s5, v5, v8
	global_store_short v[0:1], v5, off
	global_load_ushort v2, v[6:7], off offset:32
	s_waitcnt vmcnt(0)
	v_mul_f16_e32 v2, s20, v2
	v_fma_f16 v2, s5, v11, v2
	global_store_short v[0:1], v2, off offset:32
	global_load_ushort v2, v[6:7], off offset:64
	s_waitcnt vmcnt(0)
	v_mul_f16_e32 v2, s20, v2
	v_fma_f16 v2, s5, v4, v2
	global_store_short v[0:1], v2, off offset:64
	global_load_ushort v2, v[6:7], off offset:96
	s_waitcnt vmcnt(0)
	v_mul_f16_e32 v2, s20, v2
	v_fma_f16 v2, s5, v10, v2
	global_store_short v[0:1], v2, off offset:96
.LBB4_7:
	s_endpgm
.LBB4_8:
	s_branch .LBB4_6
	.section	.rodata,"a",@progbits
	.p2align	6, 0x0
	.amdhsa_kernel _ZN12_GLOBAL__N_127rocblas_gemm_batched_kernelIDF16_Li16ELi16ELi64ELi64ELi4ELi64ELi4ELi4ELi64ELc78ELc84EKDF16_S1_DF16_EEvlllT_PT11_llS4_llS2_PT12_llPT13_lli
		.amdhsa_group_segment_fixed_size 1024
		.amdhsa_private_segment_fixed_size 0
		.amdhsa_kernarg_size 140
		.amdhsa_user_sgpr_count 2
		.amdhsa_user_sgpr_dispatch_ptr 0
		.amdhsa_user_sgpr_queue_ptr 0
		.amdhsa_user_sgpr_kernarg_segment_ptr 1
		.amdhsa_user_sgpr_dispatch_id 0
		.amdhsa_user_sgpr_kernarg_preload_length 0
		.amdhsa_user_sgpr_kernarg_preload_offset 0
		.amdhsa_user_sgpr_private_segment_size 0
		.amdhsa_uses_dynamic_stack 0
		.amdhsa_enable_private_segment 0
		.amdhsa_system_sgpr_workgroup_id_x 1
		.amdhsa_system_sgpr_workgroup_id_y 1
		.amdhsa_system_sgpr_workgroup_id_z 1
		.amdhsa_system_sgpr_workgroup_info 0
		.amdhsa_system_vgpr_workitem_id 1
		.amdhsa_next_free_vgpr 46
		.amdhsa_next_free_sgpr 24
		.amdhsa_accum_offset 48
		.amdhsa_reserve_vcc 1
		.amdhsa_float_round_mode_32 0
		.amdhsa_float_round_mode_16_64 0
		.amdhsa_float_denorm_mode_32 3
		.amdhsa_float_denorm_mode_16_64 3
		.amdhsa_dx10_clamp 1
		.amdhsa_ieee_mode 1
		.amdhsa_fp16_overflow 0
		.amdhsa_tg_split 0
		.amdhsa_exception_fp_ieee_invalid_op 0
		.amdhsa_exception_fp_denorm_src 0
		.amdhsa_exception_fp_ieee_div_zero 0
		.amdhsa_exception_fp_ieee_overflow 0
		.amdhsa_exception_fp_ieee_underflow 0
		.amdhsa_exception_fp_ieee_inexact 0
		.amdhsa_exception_int_div_zero 0
	.end_amdhsa_kernel
	.section	.text._ZN12_GLOBAL__N_127rocblas_gemm_batched_kernelIDF16_Li16ELi16ELi64ELi64ELi4ELi64ELi4ELi4ELi64ELc78ELc84EKDF16_S1_DF16_EEvlllT_PT11_llS4_llS2_PT12_llPT13_lli,"axG",@progbits,_ZN12_GLOBAL__N_127rocblas_gemm_batched_kernelIDF16_Li16ELi16ELi64ELi64ELi4ELi64ELi4ELi4ELi64ELc78ELc84EKDF16_S1_DF16_EEvlllT_PT11_llS4_llS2_PT12_llPT13_lli,comdat
.Lfunc_end4:
	.size	_ZN12_GLOBAL__N_127rocblas_gemm_batched_kernelIDF16_Li16ELi16ELi64ELi64ELi4ELi64ELi4ELi4ELi64ELc78ELc84EKDF16_S1_DF16_EEvlllT_PT11_llS4_llS2_PT12_llPT13_lli, .Lfunc_end4-_ZN12_GLOBAL__N_127rocblas_gemm_batched_kernelIDF16_Li16ELi16ELi64ELi64ELi4ELi64ELi4ELi4ELi64ELc78ELc84EKDF16_S1_DF16_EEvlllT_PT11_llS4_llS2_PT12_llPT13_lli
                                        ; -- End function
	.set _ZN12_GLOBAL__N_127rocblas_gemm_batched_kernelIDF16_Li16ELi16ELi64ELi64ELi4ELi64ELi4ELi4ELi64ELc78ELc84EKDF16_S1_DF16_EEvlllT_PT11_llS4_llS2_PT12_llPT13_lli.num_vgpr, 46
	.set _ZN12_GLOBAL__N_127rocblas_gemm_batched_kernelIDF16_Li16ELi16ELi64ELi64ELi4ELi64ELi4ELi4ELi64ELc78ELc84EKDF16_S1_DF16_EEvlllT_PT11_llS4_llS2_PT12_llPT13_lli.num_agpr, 0
	.set _ZN12_GLOBAL__N_127rocblas_gemm_batched_kernelIDF16_Li16ELi16ELi64ELi64ELi4ELi64ELi4ELi4ELi64ELc78ELc84EKDF16_S1_DF16_EEvlllT_PT11_llS4_llS2_PT12_llPT13_lli.numbered_sgpr, 24
	.set _ZN12_GLOBAL__N_127rocblas_gemm_batched_kernelIDF16_Li16ELi16ELi64ELi64ELi4ELi64ELi4ELi4ELi64ELc78ELc84EKDF16_S1_DF16_EEvlllT_PT11_llS4_llS2_PT12_llPT13_lli.num_named_barrier, 0
	.set _ZN12_GLOBAL__N_127rocblas_gemm_batched_kernelIDF16_Li16ELi16ELi64ELi64ELi4ELi64ELi4ELi4ELi64ELc78ELc84EKDF16_S1_DF16_EEvlllT_PT11_llS4_llS2_PT12_llPT13_lli.private_seg_size, 0
	.set _ZN12_GLOBAL__N_127rocblas_gemm_batched_kernelIDF16_Li16ELi16ELi64ELi64ELi4ELi64ELi4ELi4ELi64ELc78ELc84EKDF16_S1_DF16_EEvlllT_PT11_llS4_llS2_PT12_llPT13_lli.uses_vcc, 1
	.set _ZN12_GLOBAL__N_127rocblas_gemm_batched_kernelIDF16_Li16ELi16ELi64ELi64ELi4ELi64ELi4ELi4ELi64ELc78ELc84EKDF16_S1_DF16_EEvlllT_PT11_llS4_llS2_PT12_llPT13_lli.uses_flat_scratch, 0
	.set _ZN12_GLOBAL__N_127rocblas_gemm_batched_kernelIDF16_Li16ELi16ELi64ELi64ELi4ELi64ELi4ELi4ELi64ELc78ELc84EKDF16_S1_DF16_EEvlllT_PT11_llS4_llS2_PT12_llPT13_lli.has_dyn_sized_stack, 0
	.set _ZN12_GLOBAL__N_127rocblas_gemm_batched_kernelIDF16_Li16ELi16ELi64ELi64ELi4ELi64ELi4ELi4ELi64ELc78ELc84EKDF16_S1_DF16_EEvlllT_PT11_llS4_llS2_PT12_llPT13_lli.has_recursion, 0
	.set _ZN12_GLOBAL__N_127rocblas_gemm_batched_kernelIDF16_Li16ELi16ELi64ELi64ELi4ELi64ELi4ELi4ELi64ELc78ELc84EKDF16_S1_DF16_EEvlllT_PT11_llS4_llS2_PT12_llPT13_lli.has_indirect_call, 0
	.section	.AMDGPU.csdata,"",@progbits
; Kernel info:
; codeLenInByte = 2188
; TotalNumSgprs: 30
; NumVgprs: 46
; NumAgprs: 0
; TotalNumVgprs: 46
; ScratchSize: 0
; MemoryBound: 0
; FloatMode: 240
; IeeeMode: 1
; LDSByteSize: 1024 bytes/workgroup (compile time only)
; SGPRBlocks: 3
; VGPRBlocks: 5
; NumSGPRsForWavesPerEU: 30
; NumVGPRsForWavesPerEU: 46
; AccumOffset: 48
; Occupancy: 8
; WaveLimiterHint : 0
; COMPUTE_PGM_RSRC2:SCRATCH_EN: 0
; COMPUTE_PGM_RSRC2:USER_SGPR: 2
; COMPUTE_PGM_RSRC2:TRAP_HANDLER: 0
; COMPUTE_PGM_RSRC2:TGID_X_EN: 1
; COMPUTE_PGM_RSRC2:TGID_Y_EN: 1
; COMPUTE_PGM_RSRC2:TGID_Z_EN: 1
; COMPUTE_PGM_RSRC2:TIDIG_COMP_CNT: 1
; COMPUTE_PGM_RSRC3_GFX90A:ACCUM_OFFSET: 11
; COMPUTE_PGM_RSRC3_GFX90A:TG_SPLIT: 0
	.section	.text._ZN12_GLOBAL__N_127rocblas_gemm_batched_kernelIDF16_Li16ELi16ELi64ELi64ELi4ELi64ELi4ELi4ELi64ELc84ELc84EKDF16_S1_DF16_EEvlllT_PT11_llS4_llS2_PT12_llPT13_lli,"axG",@progbits,_ZN12_GLOBAL__N_127rocblas_gemm_batched_kernelIDF16_Li16ELi16ELi64ELi64ELi4ELi64ELi4ELi4ELi64ELc84ELc84EKDF16_S1_DF16_EEvlllT_PT11_llS4_llS2_PT12_llPT13_lli,comdat
	.globl	_ZN12_GLOBAL__N_127rocblas_gemm_batched_kernelIDF16_Li16ELi16ELi64ELi64ELi4ELi64ELi4ELi4ELi64ELc84ELc84EKDF16_S1_DF16_EEvlllT_PT11_llS4_llS2_PT12_llPT13_lli ; -- Begin function _ZN12_GLOBAL__N_127rocblas_gemm_batched_kernelIDF16_Li16ELi16ELi64ELi64ELi4ELi64ELi4ELi4ELi64ELc84ELc84EKDF16_S1_DF16_EEvlllT_PT11_llS4_llS2_PT12_llPT13_lli
	.p2align	8
	.type	_ZN12_GLOBAL__N_127rocblas_gemm_batched_kernelIDF16_Li16ELi16ELi64ELi64ELi4ELi64ELi4ELi4ELi64ELc84ELc84EKDF16_S1_DF16_EEvlllT_PT11_llS4_llS2_PT12_llPT13_lli,@function
_ZN12_GLOBAL__N_127rocblas_gemm_batched_kernelIDF16_Li16ELi16ELi64ELi64ELi4ELi64ELi4ELi4ELi64ELc84ELc84EKDF16_S1_DF16_EEvlllT_PT11_llS4_llS2_PT12_llPT13_lli: ; @_ZN12_GLOBAL__N_127rocblas_gemm_batched_kernelIDF16_Li16ELi16ELi64ELi64ELi4ELi64ELi4ELi4ELi64ELc84ELc84EKDF16_S1_DF16_EEvlllT_PT11_llS4_llS2_PT12_llPT13_lli
; %bb.0:
	s_load_dwordx2 s[16:17], s[0:1], 0x10
	s_mov_b32 s6, s3
	v_mov_b32_e32 v3, 0
	s_ashr_i32 s3, s2, 31
	s_ashr_i32 s7, s6, 31
	s_waitcnt lgkmcnt(0)
	v_cmp_lt_i64_e64 s[8:9], s[16:17], 1
	v_bfe_u32 v2, v0, 10, 10
	v_and_b32_e32 v0, 0x3ff, v0
	v_mov_b32_e32 v1, v3
	s_lshl_b64 s[2:3], s[2:3], 6
	s_lshl_b64 s[6:7], s[6:7], 6
	s_and_b64 vcc, exec, s[8:9]
	s_cbranch_vccnz .LBB5_3
; %bb.1:
	s_load_dwordx8 s[8:15], s[0:1], 0x20
	s_load_dwordx4 s[20:23], s[0:1], 0x40
	v_lshl_add_u32 v8, v2, 4, v0
	v_and_b32_e32 v6, 63, v8
	v_lshrrev_b32_e32 v4, 2, v8
	v_and_b32_e32 v9, 3, v0
	v_lshrrev_b32_e32 v10, 6, v8
	v_lshlrev_b32_e32 v8, 1, v6
	v_lshl_or_b32 v18, v10, 7, v8
	v_lshlrev_b32_e32 v8, 1, v9
	v_mov_b32_e32 v5, v3
	v_lshl_or_b32 v8, v4, 3, v8
	s_waitcnt lgkmcnt(0)
	s_mul_i32 s5, s23, s4
	s_mul_hi_u32 s18, s22, s4
	v_add_u32_e32 v19, 0x200, v8
	v_mov_b32_e32 v8, 0x200
	s_add_i32 s19, s18, s5
	s_mul_i32 s18, s22, s4
	v_mad_u64_u32 v[4:5], s[22:23], s20, v9, v[4:5]
	v_mov_b32_e32 v7, v3
	v_lshl_add_u32 v21, v2, 3, v8
	v_mov_b32_e32 v8, v5
	v_mad_u64_u32 v[8:9], s[22:23], s21, v9, v[8:9]
	v_lshl_add_u64 v[6:7], s[2:3], 0, v[6:7]
	s_lshl_b64 s[18:19], s[18:19], 1
	v_mov_b32_e32 v5, v8
	v_mul_lo_u32 v8, s11, v6
	v_mul_lo_u32 v9, s10, v7
	v_mad_u64_u32 v[6:7], s[10:11], s10, v6, 0
	s_add_u32 s14, s14, s18
	s_mul_i32 s5, s13, s4
	s_mul_hi_u32 s10, s12, s4
	s_addc_u32 s15, s15, s19
	s_add_i32 s11, s10, s5
	s_mul_i32 s10, s12, s4
	v_add3_u32 v7, v7, v9, v8
	s_lshl_b64 s[10:11], s[10:11], 1
	v_lshl_add_u64 v[6:7], v[6:7], 1, s[10:11]
	v_lshlrev_b32_e32 v8, 1, v10
	v_mov_b32_e32 v9, v3
	v_lshl_add_u64 v[4:5], v[4:5], 0, s[6:7]
	v_lshl_add_u64 v[6:7], v[6:7], 0, v[8:9]
	v_lshlrev_b32_e32 v20, 1, v0
	v_lshl_add_u64 v[4:5], v[4:5], 1, s[14:15]
	s_lshl_b64 s[14:15], s[20:21], 3
	v_lshl_add_u64 v[6:7], s[8:9], 0, v[6:7]
	s_mov_b64 s[8:9], 0
	s_mov_b32 s5, 0x5040100
	v_mov_b64_e32 v[8:9], s[16:17]
	v_mov_b32_e32 v10, v3
	v_mov_b32_e32 v11, v3
	;; [unrolled: 1-line block ×8, first 2 shown]
.LBB5_2:                                ; =>This Inner Loop Header: Depth=1
	global_load_ushort v22, v[6:7], off
	global_load_ushort v23, v[4:5], off
	s_add_u32 s8, s8, 4
	s_addc_u32 s9, s9, 0
	v_cmp_lt_i64_e32 vcc, s[8:9], v[8:9]
	v_lshl_add_u64 v[4:5], v[4:5], 0, s[14:15]
	v_lshl_add_u64 v[6:7], v[6:7], 0, 8
	s_and_b64 vcc, exec, vcc
	s_waitcnt vmcnt(1)
	ds_write_b16 v18, v22
	s_waitcnt vmcnt(0)
	ds_write_b16 v19, v23
	s_waitcnt lgkmcnt(0)
	s_barrier
	ds_read2_b64 v[22:25], v21 offset1:16
	ds_read2_b64 v[26:29], v21 offset0:32 offset1:48
	ds_read_u16 v30, v20
	ds_read_u16 v31, v20 offset:32
	ds_read_u16 v32, v20 offset:64
	;; [unrolled: 1-line block ×15, first 2 shown]
	s_waitcnt lgkmcnt(14)
	v_perm_b32 v30, v30, v31, s5
	s_waitcnt lgkmcnt(12)
	v_perm_b32 v32, v32, v33, s5
	;; [unrolled: 2-line block ×4, first 2 shown]
	v_pk_fma_f16 v17, v30, v22, v17 op_sel_hi:[1,0,1]
	v_pk_fma_f16 v16, v32, v22, v16 op_sel_hi:[1,0,1]
	;; [unrolled: 1-line block ×8, first 2 shown]
	s_waitcnt lgkmcnt(6)
	v_perm_b32 v34, v38, v39, s5
	s_waitcnt lgkmcnt(4)
	v_perm_b32 v36, v40, v41, s5
	v_pk_fma_f16 v17, v31, v22, v17 op_sel:[0,1,0]
	v_pk_fma_f16 v16, v33, v22, v16 op_sel:[0,1,0]
	;; [unrolled: 1-line block ×8, first 2 shown]
	s_waitcnt lgkmcnt(2)
	v_perm_b32 v35, v42, v43, s5
	s_waitcnt lgkmcnt(0)
	v_perm_b32 v37, v44, v45, s5
	v_pk_fma_f16 v17, v34, v23, v17 op_sel_hi:[1,0,1]
	v_pk_fma_f16 v16, v36, v23, v16 op_sel_hi:[1,0,1]
	;; [unrolled: 1-line block ×8, first 2 shown]
	v_pk_fma_f16 v17, v35, v23, v17 op_sel:[0,1,0]
	v_pk_fma_f16 v16, v37, v23, v16 op_sel:[0,1,0]
	v_pk_fma_f16 v15, v35, v25, v15 op_sel:[0,1,0]
	v_pk_fma_f16 v14, v37, v25, v14 op_sel:[0,1,0]
	v_pk_fma_f16 v13, v35, v27, v13 op_sel:[0,1,0]
	v_pk_fma_f16 v12, v37, v27, v12 op_sel:[0,1,0]
	v_pk_fma_f16 v11, v35, v29, v11 op_sel:[0,1,0]
	v_pk_fma_f16 v10, v37, v29, v10 op_sel:[0,1,0]
	s_barrier
	s_cbranch_vccnz .LBB5_2
	s_branch .LBB5_4
.LBB5_3:
	v_mov_b32_e32 v17, v3
	v_mov_b32_e32 v16, v3
	;; [unrolled: 1-line block ×8, first 2 shown]
.LBB5_4:
	s_load_dwordx4 s[16:19], s[0:1], 0x78
	s_load_dword s5, s[0:1], 0x18
	s_load_dword s20, s[0:1], 0x50
	s_load_dwordx8 s[8:15], s[0:1], 0x58
	v_lshl_add_u64 v[2:3], s[6:7], 0, v[2:3]
	s_waitcnt lgkmcnt(0)
	s_mul_i32 s0, s19, s4
	s_mul_hi_u32 s1, s18, s4
	s_add_i32 s1, s1, s0
	s_mul_i32 s0, s18, s4
	s_lshl_b64 s[0:1], s[0:1], 1
	s_add_u32 s0, s14, s0
	v_cmp_neq_f16_e64 s[6:7], s20, 0
	v_lshl_add_u64 v[0:1], s[2:3], 0, v[0:1]
	s_addc_u32 s1, s15, s1
	s_and_b64 vcc, exec, s[6:7]
	v_mul_lo_u32 v20, v3, s16
	v_mul_lo_u32 v21, v2, s17
	v_lshrrev_b32_e32 v19, 16, v17
	v_lshlrev_b64 v[0:1], 1, v[0:1]
	v_lshrrev_b32_e32 v18, 16, v16
	v_lshrrev_b32_e32 v9, 16, v15
	v_lshrrev_b32_e32 v8, 16, v14
	v_lshrrev_b32_e32 v7, 16, v13
	v_lshrrev_b32_e32 v6, 16, v12
	v_lshrrev_b32_e32 v5, 16, v11
	v_lshrrev_b32_e32 v4, 16, v10
	s_cbranch_vccnz .LBB5_8
; %bb.5:
	v_mad_u64_u32 v[22:23], s[2:3], v2, s16, 0
	v_add3_u32 v23, v23, v21, v20
	v_lshl_add_u64 v[22:23], v[22:23], 1, s[0:1]
	v_mul_f16_sdwa v26, s5, v17 dst_sel:DWORD dst_unused:UNUSED_PAD src0_sel:DWORD src1_sel:WORD_1
	v_lshl_add_u64 v[24:25], v[22:23], 0, v[0:1]
	global_store_short v[24:25], v26, off
	v_mul_f16_e32 v26, s5, v17
	global_store_short v[24:25], v26, off offset:32
	v_mul_f16_sdwa v26, s5, v16 dst_sel:DWORD dst_unused:UNUSED_PAD src0_sel:DWORD src1_sel:WORD_1
	s_lshl_b64 s[2:3], s[16:17], 5
	global_store_short v[24:25], v26, off offset:64
	v_mul_f16_e32 v26, s5, v16
	v_lshl_add_u64 v[22:23], v[22:23], 0, s[2:3]
	global_store_short v[24:25], v26, off offset:96
	v_mul_f16_sdwa v26, s5, v15 dst_sel:DWORD dst_unused:UNUSED_PAD src0_sel:DWORD src1_sel:WORD_1
	v_lshl_add_u64 v[24:25], v[22:23], 0, v[0:1]
	global_store_short v[24:25], v26, off
	v_mul_f16_e32 v26, s5, v15
	global_store_short v[24:25], v26, off offset:32
	v_mul_f16_sdwa v26, s5, v14 dst_sel:DWORD dst_unused:UNUSED_PAD src0_sel:DWORD src1_sel:WORD_1
	global_store_short v[24:25], v26, off offset:64
	v_mul_f16_e32 v26, s5, v14
	v_lshl_add_u64 v[22:23], v[22:23], 0, s[2:3]
	global_store_short v[24:25], v26, off offset:96
	v_mul_f16_sdwa v26, s5, v13 dst_sel:DWORD dst_unused:UNUSED_PAD src0_sel:DWORD src1_sel:WORD_1
	v_lshl_add_u64 v[24:25], v[22:23], 0, v[0:1]
	global_store_short v[24:25], v26, off
	v_mul_f16_e32 v26, s5, v13
	global_store_short v[24:25], v26, off offset:32
	v_mul_f16_sdwa v26, s5, v12 dst_sel:DWORD dst_unused:UNUSED_PAD src0_sel:DWORD src1_sel:WORD_1
	;; [unrolled: 10-line block ×3, first 2 shown]
	global_store_short v[22:23], v24, off offset:64
	v_mul_f16_e32 v24, s5, v10
	global_store_short v[22:23], v24, off offset:96
	s_cbranch_execnz .LBB5_7
.LBB5_6:
	s_mul_i32 s2, s13, s4
	s_mul_hi_u32 s3, s12, s4
	s_add_i32 s3, s3, s2
	s_mul_i32 s2, s12, s4
	s_lshl_b64 s[2:3], s[2:3], 1
	s_add_u32 s2, s8, s2
	v_mul_lo_u32 v3, v3, s10
	v_mul_lo_u32 v24, v2, s11
	v_mad_u64_u32 v[22:23], s[6:7], v2, s10, 0
	s_addc_u32 s3, s9, s3
	v_add3_u32 v23, v23, v24, v3
	v_lshl_add_u64 v[22:23], v[22:23], 1, s[2:3]
	v_lshl_add_u64 v[24:25], v[22:23], 0, v[0:1]
	global_load_ushort v26, v[24:25], off
	v_mad_u64_u32 v[2:3], s[2:3], v2, s16, 0
	v_add3_u32 v3, v3, v21, v20
	v_lshl_add_u64 v[2:3], v[2:3], 1, s[0:1]
	v_lshl_add_u64 v[20:21], v[2:3], 0, v[0:1]
	s_lshl_b64 s[0:1], s[10:11], 5
	s_lshl_b64 s[2:3], s[16:17], 5
	v_lshl_add_u64 v[2:3], v[2:3], 0, s[2:3]
	s_waitcnt vmcnt(0)
	v_mul_f16_e32 v26, s20, v26
	v_fma_f16 v19, s5, v19, v26
	global_store_short v[20:21], v19, off
	global_load_ushort v19, v[24:25], off offset:32
	s_waitcnt vmcnt(0)
	v_mul_f16_e32 v19, s20, v19
	v_fma_f16 v17, s5, v17, v19
	global_store_short v[20:21], v17, off offset:32
	global_load_ushort v17, v[24:25], off offset:64
	s_waitcnt vmcnt(0)
	v_mul_f16_e32 v17, s20, v17
	v_fma_f16 v17, s5, v18, v17
	global_store_short v[20:21], v17, off offset:64
	global_load_ushort v17, v[24:25], off offset:96
	v_lshl_add_u64 v[18:19], v[22:23], 0, s[0:1]
	v_lshl_add_u64 v[22:23], v[18:19], 0, v[0:1]
	s_waitcnt vmcnt(0)
	v_mul_f16_e32 v17, s20, v17
	v_fma_f16 v16, s5, v16, v17
	global_store_short v[20:21], v16, off offset:96
	global_load_ushort v20, v[22:23], off
	v_lshl_add_u64 v[16:17], v[2:3], 0, v[0:1]
	v_lshl_add_u64 v[2:3], v[2:3], 0, s[2:3]
	s_waitcnt vmcnt(0)
	v_mul_f16_e32 v20, s20, v20
	v_fma_f16 v9, s5, v9, v20
	global_store_short v[16:17], v9, off
	global_load_ushort v9, v[22:23], off offset:32
	s_waitcnt vmcnt(0)
	v_mul_f16_e32 v9, s20, v9
	v_fma_f16 v9, s5, v15, v9
	global_store_short v[16:17], v9, off offset:32
	global_load_ushort v9, v[22:23], off offset:64
	s_waitcnt vmcnt(0)
	v_mul_f16_e32 v9, s20, v9
	v_fma_f16 v8, s5, v8, v9
	global_store_short v[16:17], v8, off offset:64
	global_load_ushort v15, v[22:23], off offset:96
	v_lshl_add_u64 v[8:9], v[18:19], 0, s[0:1]
	v_lshl_add_u64 v[18:19], v[8:9], 0, v[0:1]
	s_waitcnt vmcnt(0)
	v_mul_f16_e32 v15, s20, v15
	v_fma_f16 v14, s5, v14, v15
	global_store_short v[16:17], v14, off offset:96
	global_load_ushort v16, v[18:19], off
	v_lshl_add_u64 v[14:15], v[2:3], 0, v[0:1]
	v_lshl_add_u64 v[2:3], v[2:3], 0, s[2:3]
	s_waitcnt vmcnt(0)
	v_mul_f16_e32 v16, s20, v16
	v_fma_f16 v7, s5, v7, v16
	global_store_short v[14:15], v7, off
	global_load_ushort v7, v[18:19], off offset:32
	s_waitcnt vmcnt(0)
	v_mul_f16_e32 v7, s20, v7
	v_fma_f16 v7, s5, v13, v7
	global_store_short v[14:15], v7, off offset:32
	global_load_ushort v7, v[18:19], off offset:64
	s_waitcnt vmcnt(0)
	v_mul_f16_e32 v7, s20, v7
	v_fma_f16 v6, s5, v6, v7
	global_store_short v[14:15], v6, off offset:64
	global_load_ushort v13, v[18:19], off offset:96
	v_lshl_add_u64 v[6:7], v[8:9], 0, s[0:1]
	v_lshl_add_u64 v[6:7], v[6:7], 0, v[0:1]
	;; [unrolled: 1-line block ×3, first 2 shown]
	s_waitcnt vmcnt(0)
	v_mul_f16_e32 v8, s20, v13
	v_fma_f16 v8, s5, v12, v8
	global_store_short v[14:15], v8, off offset:96
	global_load_ushort v8, v[6:7], off
	s_waitcnt vmcnt(0)
	v_mul_f16_e32 v8, s20, v8
	v_fma_f16 v5, s5, v5, v8
	global_store_short v[0:1], v5, off
	global_load_ushort v2, v[6:7], off offset:32
	s_waitcnt vmcnt(0)
	v_mul_f16_e32 v2, s20, v2
	v_fma_f16 v2, s5, v11, v2
	global_store_short v[0:1], v2, off offset:32
	global_load_ushort v2, v[6:7], off offset:64
	s_waitcnt vmcnt(0)
	v_mul_f16_e32 v2, s20, v2
	v_fma_f16 v2, s5, v4, v2
	global_store_short v[0:1], v2, off offset:64
	;; [unrolled: 5-line block ×3, first 2 shown]
.LBB5_7:
	s_endpgm
.LBB5_8:
	s_branch .LBB5_6
	.section	.rodata,"a",@progbits
	.p2align	6, 0x0
	.amdhsa_kernel _ZN12_GLOBAL__N_127rocblas_gemm_batched_kernelIDF16_Li16ELi16ELi64ELi64ELi4ELi64ELi4ELi4ELi64ELc84ELc84EKDF16_S1_DF16_EEvlllT_PT11_llS4_llS2_PT12_llPT13_lli
		.amdhsa_group_segment_fixed_size 1024
		.amdhsa_private_segment_fixed_size 0
		.amdhsa_kernarg_size 140
		.amdhsa_user_sgpr_count 2
		.amdhsa_user_sgpr_dispatch_ptr 0
		.amdhsa_user_sgpr_queue_ptr 0
		.amdhsa_user_sgpr_kernarg_segment_ptr 1
		.amdhsa_user_sgpr_dispatch_id 0
		.amdhsa_user_sgpr_kernarg_preload_length 0
		.amdhsa_user_sgpr_kernarg_preload_offset 0
		.amdhsa_user_sgpr_private_segment_size 0
		.amdhsa_uses_dynamic_stack 0
		.amdhsa_enable_private_segment 0
		.amdhsa_system_sgpr_workgroup_id_x 1
		.amdhsa_system_sgpr_workgroup_id_y 1
		.amdhsa_system_sgpr_workgroup_id_z 1
		.amdhsa_system_sgpr_workgroup_info 0
		.amdhsa_system_vgpr_workitem_id 1
		.amdhsa_next_free_vgpr 46
		.amdhsa_next_free_sgpr 24
		.amdhsa_accum_offset 48
		.amdhsa_reserve_vcc 1
		.amdhsa_float_round_mode_32 0
		.amdhsa_float_round_mode_16_64 0
		.amdhsa_float_denorm_mode_32 3
		.amdhsa_float_denorm_mode_16_64 3
		.amdhsa_dx10_clamp 1
		.amdhsa_ieee_mode 1
		.amdhsa_fp16_overflow 0
		.amdhsa_tg_split 0
		.amdhsa_exception_fp_ieee_invalid_op 0
		.amdhsa_exception_fp_denorm_src 0
		.amdhsa_exception_fp_ieee_div_zero 0
		.amdhsa_exception_fp_ieee_overflow 0
		.amdhsa_exception_fp_ieee_underflow 0
		.amdhsa_exception_fp_ieee_inexact 0
		.amdhsa_exception_int_div_zero 0
	.end_amdhsa_kernel
	.section	.text._ZN12_GLOBAL__N_127rocblas_gemm_batched_kernelIDF16_Li16ELi16ELi64ELi64ELi4ELi64ELi4ELi4ELi64ELc84ELc84EKDF16_S1_DF16_EEvlllT_PT11_llS4_llS2_PT12_llPT13_lli,"axG",@progbits,_ZN12_GLOBAL__N_127rocblas_gemm_batched_kernelIDF16_Li16ELi16ELi64ELi64ELi4ELi64ELi4ELi4ELi64ELc84ELc84EKDF16_S1_DF16_EEvlllT_PT11_llS4_llS2_PT12_llPT13_lli,comdat
.Lfunc_end5:
	.size	_ZN12_GLOBAL__N_127rocblas_gemm_batched_kernelIDF16_Li16ELi16ELi64ELi64ELi4ELi64ELi4ELi4ELi64ELc84ELc84EKDF16_S1_DF16_EEvlllT_PT11_llS4_llS2_PT12_llPT13_lli, .Lfunc_end5-_ZN12_GLOBAL__N_127rocblas_gemm_batched_kernelIDF16_Li16ELi16ELi64ELi64ELi4ELi64ELi4ELi4ELi64ELc84ELc84EKDF16_S1_DF16_EEvlllT_PT11_llS4_llS2_PT12_llPT13_lli
                                        ; -- End function
	.set _ZN12_GLOBAL__N_127rocblas_gemm_batched_kernelIDF16_Li16ELi16ELi64ELi64ELi4ELi64ELi4ELi4ELi64ELc84ELc84EKDF16_S1_DF16_EEvlllT_PT11_llS4_llS2_PT12_llPT13_lli.num_vgpr, 46
	.set _ZN12_GLOBAL__N_127rocblas_gemm_batched_kernelIDF16_Li16ELi16ELi64ELi64ELi4ELi64ELi4ELi4ELi64ELc84ELc84EKDF16_S1_DF16_EEvlllT_PT11_llS4_llS2_PT12_llPT13_lli.num_agpr, 0
	.set _ZN12_GLOBAL__N_127rocblas_gemm_batched_kernelIDF16_Li16ELi16ELi64ELi64ELi4ELi64ELi4ELi4ELi64ELc84ELc84EKDF16_S1_DF16_EEvlllT_PT11_llS4_llS2_PT12_llPT13_lli.numbered_sgpr, 24
	.set _ZN12_GLOBAL__N_127rocblas_gemm_batched_kernelIDF16_Li16ELi16ELi64ELi64ELi4ELi64ELi4ELi4ELi64ELc84ELc84EKDF16_S1_DF16_EEvlllT_PT11_llS4_llS2_PT12_llPT13_lli.num_named_barrier, 0
	.set _ZN12_GLOBAL__N_127rocblas_gemm_batched_kernelIDF16_Li16ELi16ELi64ELi64ELi4ELi64ELi4ELi4ELi64ELc84ELc84EKDF16_S1_DF16_EEvlllT_PT11_llS4_llS2_PT12_llPT13_lli.private_seg_size, 0
	.set _ZN12_GLOBAL__N_127rocblas_gemm_batched_kernelIDF16_Li16ELi16ELi64ELi64ELi4ELi64ELi4ELi4ELi64ELc84ELc84EKDF16_S1_DF16_EEvlllT_PT11_llS4_llS2_PT12_llPT13_lli.uses_vcc, 1
	.set _ZN12_GLOBAL__N_127rocblas_gemm_batched_kernelIDF16_Li16ELi16ELi64ELi64ELi4ELi64ELi4ELi4ELi64ELc84ELc84EKDF16_S1_DF16_EEvlllT_PT11_llS4_llS2_PT12_llPT13_lli.uses_flat_scratch, 0
	.set _ZN12_GLOBAL__N_127rocblas_gemm_batched_kernelIDF16_Li16ELi16ELi64ELi64ELi4ELi64ELi4ELi4ELi64ELc84ELc84EKDF16_S1_DF16_EEvlllT_PT11_llS4_llS2_PT12_llPT13_lli.has_dyn_sized_stack, 0
	.set _ZN12_GLOBAL__N_127rocblas_gemm_batched_kernelIDF16_Li16ELi16ELi64ELi64ELi4ELi64ELi4ELi4ELi64ELc84ELc84EKDF16_S1_DF16_EEvlllT_PT11_llS4_llS2_PT12_llPT13_lli.has_recursion, 0
	.set _ZN12_GLOBAL__N_127rocblas_gemm_batched_kernelIDF16_Li16ELi16ELi64ELi64ELi4ELi64ELi4ELi4ELi64ELc84ELc84EKDF16_S1_DF16_EEvlllT_PT11_llS4_llS2_PT12_llPT13_lli.has_indirect_call, 0
	.section	.AMDGPU.csdata,"",@progbits
; Kernel info:
; codeLenInByte = 2204
; TotalNumSgprs: 30
; NumVgprs: 46
; NumAgprs: 0
; TotalNumVgprs: 46
; ScratchSize: 0
; MemoryBound: 0
; FloatMode: 240
; IeeeMode: 1
; LDSByteSize: 1024 bytes/workgroup (compile time only)
; SGPRBlocks: 3
; VGPRBlocks: 5
; NumSGPRsForWavesPerEU: 30
; NumVGPRsForWavesPerEU: 46
; AccumOffset: 48
; Occupancy: 8
; WaveLimiterHint : 0
; COMPUTE_PGM_RSRC2:SCRATCH_EN: 0
; COMPUTE_PGM_RSRC2:USER_SGPR: 2
; COMPUTE_PGM_RSRC2:TRAP_HANDLER: 0
; COMPUTE_PGM_RSRC2:TGID_X_EN: 1
; COMPUTE_PGM_RSRC2:TGID_Y_EN: 1
; COMPUTE_PGM_RSRC2:TGID_Z_EN: 1
; COMPUTE_PGM_RSRC2:TIDIG_COMP_CNT: 1
; COMPUTE_PGM_RSRC3_GFX90A:ACCUM_OFFSET: 11
; COMPUTE_PGM_RSRC3_GFX90A:TG_SPLIT: 0
	.section	.text._ZN12_GLOBAL__N_127rocblas_gemm_batched_kernelIDF16_Li16ELi16ELi64ELi64ELi4ELi64ELi4ELi4ELi64ELc67ELc67EKDF16_S1_DF16_EEvlllT_PT11_llS4_llS2_PT12_llPT13_lli,"axG",@progbits,_ZN12_GLOBAL__N_127rocblas_gemm_batched_kernelIDF16_Li16ELi16ELi64ELi64ELi4ELi64ELi4ELi4ELi64ELc67ELc67EKDF16_S1_DF16_EEvlllT_PT11_llS4_llS2_PT12_llPT13_lli,comdat
	.globl	_ZN12_GLOBAL__N_127rocblas_gemm_batched_kernelIDF16_Li16ELi16ELi64ELi64ELi4ELi64ELi4ELi4ELi64ELc67ELc67EKDF16_S1_DF16_EEvlllT_PT11_llS4_llS2_PT12_llPT13_lli ; -- Begin function _ZN12_GLOBAL__N_127rocblas_gemm_batched_kernelIDF16_Li16ELi16ELi64ELi64ELi4ELi64ELi4ELi4ELi64ELc67ELc67EKDF16_S1_DF16_EEvlllT_PT11_llS4_llS2_PT12_llPT13_lli
	.p2align	8
	.type	_ZN12_GLOBAL__N_127rocblas_gemm_batched_kernelIDF16_Li16ELi16ELi64ELi64ELi4ELi64ELi4ELi4ELi64ELc67ELc67EKDF16_S1_DF16_EEvlllT_PT11_llS4_llS2_PT12_llPT13_lli,@function
_ZN12_GLOBAL__N_127rocblas_gemm_batched_kernelIDF16_Li16ELi16ELi64ELi64ELi4ELi64ELi4ELi4ELi64ELc67ELc67EKDF16_S1_DF16_EEvlllT_PT11_llS4_llS2_PT12_llPT13_lli: ; @_ZN12_GLOBAL__N_127rocblas_gemm_batched_kernelIDF16_Li16ELi16ELi64ELi64ELi4ELi64ELi4ELi4ELi64ELc67ELc67EKDF16_S1_DF16_EEvlllT_PT11_llS4_llS2_PT12_llPT13_lli
; %bb.0:
	s_load_dwordx2 s[16:17], s[0:1], 0x10
	s_mov_b32 s6, s3
	v_mov_b32_e32 v3, 0
	s_ashr_i32 s3, s2, 31
	s_ashr_i32 s7, s6, 31
	s_waitcnt lgkmcnt(0)
	v_cmp_lt_i64_e64 s[8:9], s[16:17], 1
	v_bfe_u32 v2, v0, 10, 10
	v_and_b32_e32 v0, 0x3ff, v0
	v_mov_b32_e32 v1, v3
	s_lshl_b64 s[2:3], s[2:3], 6
	s_lshl_b64 s[6:7], s[6:7], 6
	s_and_b64 vcc, exec, s[8:9]
	s_cbranch_vccnz .LBB6_3
; %bb.1:
	s_load_dwordx8 s[8:15], s[0:1], 0x20
	s_load_dwordx4 s[20:23], s[0:1], 0x40
	v_lshl_add_u32 v8, v2, 4, v0
	v_and_b32_e32 v6, 63, v8
	v_lshrrev_b32_e32 v4, 2, v8
	v_and_b32_e32 v9, 3, v0
	v_lshrrev_b32_e32 v10, 6, v8
	v_lshlrev_b32_e32 v8, 1, v6
	v_lshl_or_b32 v18, v10, 7, v8
	v_lshlrev_b32_e32 v8, 1, v9
	v_mov_b32_e32 v5, v3
	v_lshl_or_b32 v8, v4, 3, v8
	s_waitcnt lgkmcnt(0)
	s_mul_i32 s5, s23, s4
	s_mul_hi_u32 s18, s22, s4
	v_add_u32_e32 v19, 0x200, v8
	v_mov_b32_e32 v8, 0x200
	s_add_i32 s19, s18, s5
	s_mul_i32 s18, s22, s4
	v_mad_u64_u32 v[4:5], s[22:23], s20, v9, v[4:5]
	v_mov_b32_e32 v7, v3
	v_lshl_add_u32 v21, v2, 3, v8
	v_mov_b32_e32 v8, v5
	v_mad_u64_u32 v[8:9], s[22:23], s21, v9, v[8:9]
	v_lshl_add_u64 v[6:7], s[2:3], 0, v[6:7]
	s_lshl_b64 s[18:19], s[18:19], 1
	v_mov_b32_e32 v5, v8
	v_mul_lo_u32 v8, s11, v6
	v_mul_lo_u32 v9, s10, v7
	v_mad_u64_u32 v[6:7], s[10:11], s10, v6, 0
	s_add_u32 s14, s14, s18
	s_mul_i32 s5, s13, s4
	s_mul_hi_u32 s10, s12, s4
	s_addc_u32 s15, s15, s19
	s_add_i32 s11, s10, s5
	s_mul_i32 s10, s12, s4
	v_add3_u32 v7, v7, v9, v8
	s_lshl_b64 s[10:11], s[10:11], 1
	v_lshl_add_u64 v[6:7], v[6:7], 1, s[10:11]
	v_lshlrev_b32_e32 v8, 1, v10
	v_mov_b32_e32 v9, v3
	v_lshl_add_u64 v[4:5], v[4:5], 0, s[6:7]
	v_lshl_add_u64 v[6:7], v[6:7], 0, v[8:9]
	v_lshlrev_b32_e32 v20, 1, v0
	v_lshl_add_u64 v[4:5], v[4:5], 1, s[14:15]
	s_lshl_b64 s[14:15], s[20:21], 3
	v_lshl_add_u64 v[6:7], s[8:9], 0, v[6:7]
	s_mov_b64 s[8:9], 0
	s_mov_b32 s5, 0x5040100
	v_mov_b64_e32 v[8:9], s[16:17]
	v_mov_b32_e32 v10, v3
	v_mov_b32_e32 v11, v3
	;; [unrolled: 1-line block ×8, first 2 shown]
.LBB6_2:                                ; =>This Inner Loop Header: Depth=1
	global_load_ushort v22, v[6:7], off
	global_load_ushort v23, v[4:5], off
	s_add_u32 s8, s8, 4
	s_addc_u32 s9, s9, 0
	v_cmp_lt_i64_e32 vcc, s[8:9], v[8:9]
	v_lshl_add_u64 v[4:5], v[4:5], 0, s[14:15]
	v_lshl_add_u64 v[6:7], v[6:7], 0, 8
	s_and_b64 vcc, exec, vcc
	s_waitcnt vmcnt(1)
	ds_write_b16 v18, v22
	s_waitcnt vmcnt(0)
	ds_write_b16 v19, v23
	s_waitcnt lgkmcnt(0)
	s_barrier
	ds_read2_b64 v[22:25], v21 offset1:16
	ds_read2_b64 v[26:29], v21 offset0:32 offset1:48
	ds_read_u16 v30, v20
	ds_read_u16 v31, v20 offset:32
	ds_read_u16 v32, v20 offset:64
	;; [unrolled: 1-line block ×15, first 2 shown]
	s_waitcnt lgkmcnt(14)
	v_perm_b32 v30, v30, v31, s5
	s_waitcnt lgkmcnt(12)
	v_perm_b32 v32, v32, v33, s5
	;; [unrolled: 2-line block ×4, first 2 shown]
	v_pk_fma_f16 v17, v30, v22, v17 op_sel_hi:[1,0,1]
	v_pk_fma_f16 v16, v32, v22, v16 op_sel_hi:[1,0,1]
	;; [unrolled: 1-line block ×8, first 2 shown]
	s_waitcnt lgkmcnt(6)
	v_perm_b32 v34, v38, v39, s5
	s_waitcnt lgkmcnt(4)
	v_perm_b32 v36, v40, v41, s5
	v_pk_fma_f16 v17, v31, v22, v17 op_sel:[0,1,0]
	v_pk_fma_f16 v16, v33, v22, v16 op_sel:[0,1,0]
	;; [unrolled: 1-line block ×8, first 2 shown]
	s_waitcnt lgkmcnt(2)
	v_perm_b32 v35, v42, v43, s5
	s_waitcnt lgkmcnt(0)
	v_perm_b32 v37, v44, v45, s5
	v_pk_fma_f16 v17, v34, v23, v17 op_sel_hi:[1,0,1]
	v_pk_fma_f16 v16, v36, v23, v16 op_sel_hi:[1,0,1]
	;; [unrolled: 1-line block ×8, first 2 shown]
	v_pk_fma_f16 v17, v35, v23, v17 op_sel:[0,1,0]
	v_pk_fma_f16 v16, v37, v23, v16 op_sel:[0,1,0]
	;; [unrolled: 1-line block ×8, first 2 shown]
	s_barrier
	s_cbranch_vccnz .LBB6_2
	s_branch .LBB6_4
.LBB6_3:
	v_mov_b32_e32 v17, v3
	v_mov_b32_e32 v16, v3
	;; [unrolled: 1-line block ×8, first 2 shown]
.LBB6_4:
	s_load_dwordx4 s[16:19], s[0:1], 0x78
	s_load_dword s5, s[0:1], 0x18
	s_load_dword s20, s[0:1], 0x50
	s_load_dwordx8 s[8:15], s[0:1], 0x58
	v_lshl_add_u64 v[2:3], s[6:7], 0, v[2:3]
	s_waitcnt lgkmcnt(0)
	s_mul_i32 s0, s19, s4
	s_mul_hi_u32 s1, s18, s4
	s_add_i32 s1, s1, s0
	s_mul_i32 s0, s18, s4
	s_lshl_b64 s[0:1], s[0:1], 1
	s_add_u32 s0, s14, s0
	v_cmp_neq_f16_e64 s[6:7], s20, 0
	v_lshl_add_u64 v[0:1], s[2:3], 0, v[0:1]
	s_addc_u32 s1, s15, s1
	s_and_b64 vcc, exec, s[6:7]
	v_mul_lo_u32 v20, v3, s16
	v_mul_lo_u32 v21, v2, s17
	v_lshrrev_b32_e32 v19, 16, v17
	v_lshlrev_b64 v[0:1], 1, v[0:1]
	v_lshrrev_b32_e32 v18, 16, v16
	v_lshrrev_b32_e32 v9, 16, v15
	;; [unrolled: 1-line block ×7, first 2 shown]
	s_cbranch_vccnz .LBB6_8
; %bb.5:
	v_mad_u64_u32 v[22:23], s[2:3], v2, s16, 0
	v_add3_u32 v23, v23, v21, v20
	v_lshl_add_u64 v[22:23], v[22:23], 1, s[0:1]
	v_mul_f16_sdwa v26, s5, v17 dst_sel:DWORD dst_unused:UNUSED_PAD src0_sel:DWORD src1_sel:WORD_1
	v_lshl_add_u64 v[24:25], v[22:23], 0, v[0:1]
	global_store_short v[24:25], v26, off
	v_mul_f16_e32 v26, s5, v17
	global_store_short v[24:25], v26, off offset:32
	v_mul_f16_sdwa v26, s5, v16 dst_sel:DWORD dst_unused:UNUSED_PAD src0_sel:DWORD src1_sel:WORD_1
	s_lshl_b64 s[2:3], s[16:17], 5
	global_store_short v[24:25], v26, off offset:64
	v_mul_f16_e32 v26, s5, v16
	v_lshl_add_u64 v[22:23], v[22:23], 0, s[2:3]
	global_store_short v[24:25], v26, off offset:96
	v_mul_f16_sdwa v26, s5, v15 dst_sel:DWORD dst_unused:UNUSED_PAD src0_sel:DWORD src1_sel:WORD_1
	v_lshl_add_u64 v[24:25], v[22:23], 0, v[0:1]
	global_store_short v[24:25], v26, off
	v_mul_f16_e32 v26, s5, v15
	global_store_short v[24:25], v26, off offset:32
	v_mul_f16_sdwa v26, s5, v14 dst_sel:DWORD dst_unused:UNUSED_PAD src0_sel:DWORD src1_sel:WORD_1
	global_store_short v[24:25], v26, off offset:64
	v_mul_f16_e32 v26, s5, v14
	v_lshl_add_u64 v[22:23], v[22:23], 0, s[2:3]
	global_store_short v[24:25], v26, off offset:96
	v_mul_f16_sdwa v26, s5, v13 dst_sel:DWORD dst_unused:UNUSED_PAD src0_sel:DWORD src1_sel:WORD_1
	v_lshl_add_u64 v[24:25], v[22:23], 0, v[0:1]
	global_store_short v[24:25], v26, off
	v_mul_f16_e32 v26, s5, v13
	global_store_short v[24:25], v26, off offset:32
	v_mul_f16_sdwa v26, s5, v12 dst_sel:DWORD dst_unused:UNUSED_PAD src0_sel:DWORD src1_sel:WORD_1
	;; [unrolled: 10-line block ×3, first 2 shown]
	global_store_short v[22:23], v24, off offset:64
	v_mul_f16_e32 v24, s5, v10
	global_store_short v[22:23], v24, off offset:96
	s_cbranch_execnz .LBB6_7
.LBB6_6:
	s_mul_i32 s2, s13, s4
	s_mul_hi_u32 s3, s12, s4
	s_add_i32 s3, s3, s2
	s_mul_i32 s2, s12, s4
	s_lshl_b64 s[2:3], s[2:3], 1
	s_add_u32 s2, s8, s2
	v_mul_lo_u32 v3, v3, s10
	v_mul_lo_u32 v24, v2, s11
	v_mad_u64_u32 v[22:23], s[6:7], v2, s10, 0
	s_addc_u32 s3, s9, s3
	v_add3_u32 v23, v23, v24, v3
	v_lshl_add_u64 v[22:23], v[22:23], 1, s[2:3]
	v_lshl_add_u64 v[24:25], v[22:23], 0, v[0:1]
	global_load_ushort v26, v[24:25], off
	v_mad_u64_u32 v[2:3], s[2:3], v2, s16, 0
	v_add3_u32 v3, v3, v21, v20
	v_lshl_add_u64 v[2:3], v[2:3], 1, s[0:1]
	v_lshl_add_u64 v[20:21], v[2:3], 0, v[0:1]
	s_lshl_b64 s[0:1], s[10:11], 5
	s_lshl_b64 s[2:3], s[16:17], 5
	v_lshl_add_u64 v[2:3], v[2:3], 0, s[2:3]
	s_waitcnt vmcnt(0)
	v_mul_f16_e32 v26, s20, v26
	v_fma_f16 v19, s5, v19, v26
	global_store_short v[20:21], v19, off
	global_load_ushort v19, v[24:25], off offset:32
	s_waitcnt vmcnt(0)
	v_mul_f16_e32 v19, s20, v19
	v_fma_f16 v17, s5, v17, v19
	global_store_short v[20:21], v17, off offset:32
	global_load_ushort v17, v[24:25], off offset:64
	s_waitcnt vmcnt(0)
	v_mul_f16_e32 v17, s20, v17
	v_fma_f16 v17, s5, v18, v17
	global_store_short v[20:21], v17, off offset:64
	global_load_ushort v17, v[24:25], off offset:96
	v_lshl_add_u64 v[18:19], v[22:23], 0, s[0:1]
	v_lshl_add_u64 v[22:23], v[18:19], 0, v[0:1]
	s_waitcnt vmcnt(0)
	v_mul_f16_e32 v17, s20, v17
	v_fma_f16 v16, s5, v16, v17
	global_store_short v[20:21], v16, off offset:96
	global_load_ushort v20, v[22:23], off
	v_lshl_add_u64 v[16:17], v[2:3], 0, v[0:1]
	v_lshl_add_u64 v[2:3], v[2:3], 0, s[2:3]
	s_waitcnt vmcnt(0)
	v_mul_f16_e32 v20, s20, v20
	v_fma_f16 v9, s5, v9, v20
	global_store_short v[16:17], v9, off
	global_load_ushort v9, v[22:23], off offset:32
	s_waitcnt vmcnt(0)
	v_mul_f16_e32 v9, s20, v9
	v_fma_f16 v9, s5, v15, v9
	global_store_short v[16:17], v9, off offset:32
	global_load_ushort v9, v[22:23], off offset:64
	s_waitcnt vmcnt(0)
	v_mul_f16_e32 v9, s20, v9
	v_fma_f16 v8, s5, v8, v9
	global_store_short v[16:17], v8, off offset:64
	global_load_ushort v15, v[22:23], off offset:96
	v_lshl_add_u64 v[8:9], v[18:19], 0, s[0:1]
	v_lshl_add_u64 v[18:19], v[8:9], 0, v[0:1]
	s_waitcnt vmcnt(0)
	v_mul_f16_e32 v15, s20, v15
	v_fma_f16 v14, s5, v14, v15
	global_store_short v[16:17], v14, off offset:96
	global_load_ushort v16, v[18:19], off
	v_lshl_add_u64 v[14:15], v[2:3], 0, v[0:1]
	v_lshl_add_u64 v[2:3], v[2:3], 0, s[2:3]
	s_waitcnt vmcnt(0)
	v_mul_f16_e32 v16, s20, v16
	v_fma_f16 v7, s5, v7, v16
	global_store_short v[14:15], v7, off
	global_load_ushort v7, v[18:19], off offset:32
	s_waitcnt vmcnt(0)
	v_mul_f16_e32 v7, s20, v7
	v_fma_f16 v7, s5, v13, v7
	global_store_short v[14:15], v7, off offset:32
	global_load_ushort v7, v[18:19], off offset:64
	s_waitcnt vmcnt(0)
	v_mul_f16_e32 v7, s20, v7
	v_fma_f16 v6, s5, v6, v7
	global_store_short v[14:15], v6, off offset:64
	global_load_ushort v13, v[18:19], off offset:96
	v_lshl_add_u64 v[6:7], v[8:9], 0, s[0:1]
	v_lshl_add_u64 v[6:7], v[6:7], 0, v[0:1]
	;; [unrolled: 1-line block ×3, first 2 shown]
	s_waitcnt vmcnt(0)
	v_mul_f16_e32 v8, s20, v13
	v_fma_f16 v8, s5, v12, v8
	global_store_short v[14:15], v8, off offset:96
	global_load_ushort v8, v[6:7], off
	s_waitcnt vmcnt(0)
	v_mul_f16_e32 v8, s20, v8
	v_fma_f16 v5, s5, v5, v8
	global_store_short v[0:1], v5, off
	global_load_ushort v2, v[6:7], off offset:32
	s_waitcnt vmcnt(0)
	v_mul_f16_e32 v2, s20, v2
	v_fma_f16 v2, s5, v11, v2
	global_store_short v[0:1], v2, off offset:32
	global_load_ushort v2, v[6:7], off offset:64
	s_waitcnt vmcnt(0)
	v_mul_f16_e32 v2, s20, v2
	v_fma_f16 v2, s5, v4, v2
	global_store_short v[0:1], v2, off offset:64
	global_load_ushort v2, v[6:7], off offset:96
	s_waitcnt vmcnt(0)
	v_mul_f16_e32 v2, s20, v2
	v_fma_f16 v2, s5, v10, v2
	global_store_short v[0:1], v2, off offset:96
.LBB6_7:
	s_endpgm
.LBB6_8:
	s_branch .LBB6_6
	.section	.rodata,"a",@progbits
	.p2align	6, 0x0
	.amdhsa_kernel _ZN12_GLOBAL__N_127rocblas_gemm_batched_kernelIDF16_Li16ELi16ELi64ELi64ELi4ELi64ELi4ELi4ELi64ELc67ELc67EKDF16_S1_DF16_EEvlllT_PT11_llS4_llS2_PT12_llPT13_lli
		.amdhsa_group_segment_fixed_size 1024
		.amdhsa_private_segment_fixed_size 0
		.amdhsa_kernarg_size 140
		.amdhsa_user_sgpr_count 2
		.amdhsa_user_sgpr_dispatch_ptr 0
		.amdhsa_user_sgpr_queue_ptr 0
		.amdhsa_user_sgpr_kernarg_segment_ptr 1
		.amdhsa_user_sgpr_dispatch_id 0
		.amdhsa_user_sgpr_kernarg_preload_length 0
		.amdhsa_user_sgpr_kernarg_preload_offset 0
		.amdhsa_user_sgpr_private_segment_size 0
		.amdhsa_uses_dynamic_stack 0
		.amdhsa_enable_private_segment 0
		.amdhsa_system_sgpr_workgroup_id_x 1
		.amdhsa_system_sgpr_workgroup_id_y 1
		.amdhsa_system_sgpr_workgroup_id_z 1
		.amdhsa_system_sgpr_workgroup_info 0
		.amdhsa_system_vgpr_workitem_id 1
		.amdhsa_next_free_vgpr 46
		.amdhsa_next_free_sgpr 24
		.amdhsa_accum_offset 48
		.amdhsa_reserve_vcc 1
		.amdhsa_float_round_mode_32 0
		.amdhsa_float_round_mode_16_64 0
		.amdhsa_float_denorm_mode_32 3
		.amdhsa_float_denorm_mode_16_64 3
		.amdhsa_dx10_clamp 1
		.amdhsa_ieee_mode 1
		.amdhsa_fp16_overflow 0
		.amdhsa_tg_split 0
		.amdhsa_exception_fp_ieee_invalid_op 0
		.amdhsa_exception_fp_denorm_src 0
		.amdhsa_exception_fp_ieee_div_zero 0
		.amdhsa_exception_fp_ieee_overflow 0
		.amdhsa_exception_fp_ieee_underflow 0
		.amdhsa_exception_fp_ieee_inexact 0
		.amdhsa_exception_int_div_zero 0
	.end_amdhsa_kernel
	.section	.text._ZN12_GLOBAL__N_127rocblas_gemm_batched_kernelIDF16_Li16ELi16ELi64ELi64ELi4ELi64ELi4ELi4ELi64ELc67ELc67EKDF16_S1_DF16_EEvlllT_PT11_llS4_llS2_PT12_llPT13_lli,"axG",@progbits,_ZN12_GLOBAL__N_127rocblas_gemm_batched_kernelIDF16_Li16ELi16ELi64ELi64ELi4ELi64ELi4ELi4ELi64ELc67ELc67EKDF16_S1_DF16_EEvlllT_PT11_llS4_llS2_PT12_llPT13_lli,comdat
.Lfunc_end6:
	.size	_ZN12_GLOBAL__N_127rocblas_gemm_batched_kernelIDF16_Li16ELi16ELi64ELi64ELi4ELi64ELi4ELi4ELi64ELc67ELc67EKDF16_S1_DF16_EEvlllT_PT11_llS4_llS2_PT12_llPT13_lli, .Lfunc_end6-_ZN12_GLOBAL__N_127rocblas_gemm_batched_kernelIDF16_Li16ELi16ELi64ELi64ELi4ELi64ELi4ELi4ELi64ELc67ELc67EKDF16_S1_DF16_EEvlllT_PT11_llS4_llS2_PT12_llPT13_lli
                                        ; -- End function
	.set _ZN12_GLOBAL__N_127rocblas_gemm_batched_kernelIDF16_Li16ELi16ELi64ELi64ELi4ELi64ELi4ELi4ELi64ELc67ELc67EKDF16_S1_DF16_EEvlllT_PT11_llS4_llS2_PT12_llPT13_lli.num_vgpr, 46
	.set _ZN12_GLOBAL__N_127rocblas_gemm_batched_kernelIDF16_Li16ELi16ELi64ELi64ELi4ELi64ELi4ELi4ELi64ELc67ELc67EKDF16_S1_DF16_EEvlllT_PT11_llS4_llS2_PT12_llPT13_lli.num_agpr, 0
	.set _ZN12_GLOBAL__N_127rocblas_gemm_batched_kernelIDF16_Li16ELi16ELi64ELi64ELi4ELi64ELi4ELi4ELi64ELc67ELc67EKDF16_S1_DF16_EEvlllT_PT11_llS4_llS2_PT12_llPT13_lli.numbered_sgpr, 24
	.set _ZN12_GLOBAL__N_127rocblas_gemm_batched_kernelIDF16_Li16ELi16ELi64ELi64ELi4ELi64ELi4ELi4ELi64ELc67ELc67EKDF16_S1_DF16_EEvlllT_PT11_llS4_llS2_PT12_llPT13_lli.num_named_barrier, 0
	.set _ZN12_GLOBAL__N_127rocblas_gemm_batched_kernelIDF16_Li16ELi16ELi64ELi64ELi4ELi64ELi4ELi4ELi64ELc67ELc67EKDF16_S1_DF16_EEvlllT_PT11_llS4_llS2_PT12_llPT13_lli.private_seg_size, 0
	.set _ZN12_GLOBAL__N_127rocblas_gemm_batched_kernelIDF16_Li16ELi16ELi64ELi64ELi4ELi64ELi4ELi4ELi64ELc67ELc67EKDF16_S1_DF16_EEvlllT_PT11_llS4_llS2_PT12_llPT13_lli.uses_vcc, 1
	.set _ZN12_GLOBAL__N_127rocblas_gemm_batched_kernelIDF16_Li16ELi16ELi64ELi64ELi4ELi64ELi4ELi4ELi64ELc67ELc67EKDF16_S1_DF16_EEvlllT_PT11_llS4_llS2_PT12_llPT13_lli.uses_flat_scratch, 0
	.set _ZN12_GLOBAL__N_127rocblas_gemm_batched_kernelIDF16_Li16ELi16ELi64ELi64ELi4ELi64ELi4ELi4ELi64ELc67ELc67EKDF16_S1_DF16_EEvlllT_PT11_llS4_llS2_PT12_llPT13_lli.has_dyn_sized_stack, 0
	.set _ZN12_GLOBAL__N_127rocblas_gemm_batched_kernelIDF16_Li16ELi16ELi64ELi64ELi4ELi64ELi4ELi4ELi64ELc67ELc67EKDF16_S1_DF16_EEvlllT_PT11_llS4_llS2_PT12_llPT13_lli.has_recursion, 0
	.set _ZN12_GLOBAL__N_127rocblas_gemm_batched_kernelIDF16_Li16ELi16ELi64ELi64ELi4ELi64ELi4ELi4ELi64ELc67ELc67EKDF16_S1_DF16_EEvlllT_PT11_llS4_llS2_PT12_llPT13_lli.has_indirect_call, 0
	.section	.AMDGPU.csdata,"",@progbits
; Kernel info:
; codeLenInByte = 2204
; TotalNumSgprs: 30
; NumVgprs: 46
; NumAgprs: 0
; TotalNumVgprs: 46
; ScratchSize: 0
; MemoryBound: 0
; FloatMode: 240
; IeeeMode: 1
; LDSByteSize: 1024 bytes/workgroup (compile time only)
; SGPRBlocks: 3
; VGPRBlocks: 5
; NumSGPRsForWavesPerEU: 30
; NumVGPRsForWavesPerEU: 46
; AccumOffset: 48
; Occupancy: 8
; WaveLimiterHint : 0
; COMPUTE_PGM_RSRC2:SCRATCH_EN: 0
; COMPUTE_PGM_RSRC2:USER_SGPR: 2
; COMPUTE_PGM_RSRC2:TRAP_HANDLER: 0
; COMPUTE_PGM_RSRC2:TGID_X_EN: 1
; COMPUTE_PGM_RSRC2:TGID_Y_EN: 1
; COMPUTE_PGM_RSRC2:TGID_Z_EN: 1
; COMPUTE_PGM_RSRC2:TIDIG_COMP_CNT: 1
; COMPUTE_PGM_RSRC3_GFX90A:ACCUM_OFFSET: 11
; COMPUTE_PGM_RSRC3_GFX90A:TG_SPLIT: 0
	.section	.text._ZN12_GLOBAL__N_127rocblas_gemm_batched_kernelIDF16_Li16ELi16ELi64ELi64ELi4ELi64ELi4ELi4ELi64ELc67ELc78EKDF16_S1_DF16_EEvlllT_PT11_llS4_llS2_PT12_llPT13_lli,"axG",@progbits,_ZN12_GLOBAL__N_127rocblas_gemm_batched_kernelIDF16_Li16ELi16ELi64ELi64ELi4ELi64ELi4ELi4ELi64ELc67ELc78EKDF16_S1_DF16_EEvlllT_PT11_llS4_llS2_PT12_llPT13_lli,comdat
	.globl	_ZN12_GLOBAL__N_127rocblas_gemm_batched_kernelIDF16_Li16ELi16ELi64ELi64ELi4ELi64ELi4ELi4ELi64ELc67ELc78EKDF16_S1_DF16_EEvlllT_PT11_llS4_llS2_PT12_llPT13_lli ; -- Begin function _ZN12_GLOBAL__N_127rocblas_gemm_batched_kernelIDF16_Li16ELi16ELi64ELi64ELi4ELi64ELi4ELi4ELi64ELc67ELc78EKDF16_S1_DF16_EEvlllT_PT11_llS4_llS2_PT12_llPT13_lli
	.p2align	8
	.type	_ZN12_GLOBAL__N_127rocblas_gemm_batched_kernelIDF16_Li16ELi16ELi64ELi64ELi4ELi64ELi4ELi4ELi64ELc67ELc78EKDF16_S1_DF16_EEvlllT_PT11_llS4_llS2_PT12_llPT13_lli,@function
_ZN12_GLOBAL__N_127rocblas_gemm_batched_kernelIDF16_Li16ELi16ELi64ELi64ELi4ELi64ELi4ELi4ELi64ELc67ELc78EKDF16_S1_DF16_EEvlllT_PT11_llS4_llS2_PT12_llPT13_lli: ; @_ZN12_GLOBAL__N_127rocblas_gemm_batched_kernelIDF16_Li16ELi16ELi64ELi64ELi4ELi64ELi4ELi4ELi64ELc67ELc78EKDF16_S1_DF16_EEvlllT_PT11_llS4_llS2_PT12_llPT13_lli
; %bb.0:
	s_load_dwordx2 s[16:17], s[0:1], 0x10
	s_mov_b32 s6, s3
	v_mov_b32_e32 v3, 0
	s_ashr_i32 s3, s2, 31
	s_ashr_i32 s7, s6, 31
	s_waitcnt lgkmcnt(0)
	v_cmp_lt_i64_e64 s[8:9], s[16:17], 1
	v_bfe_u32 v2, v0, 10, 10
	v_and_b32_e32 v0, 0x3ff, v0
	v_mov_b32_e32 v1, v3
	s_lshl_b64 s[2:3], s[2:3], 6
	s_lshl_b64 s[6:7], s[6:7], 6
	s_and_b64 vcc, exec, s[8:9]
	s_cbranch_vccnz .LBB7_3
; %bb.1:
	v_lshl_add_u32 v10, v2, 4, v0
	s_load_dwordx8 s[8:15], s[0:1], 0x20
	s_load_dwordx4 s[20:23], s[0:1], 0x40
	v_lshrrev_b32_e32 v4, 2, v10
	v_mov_b32_e32 v5, v3
	v_and_b32_e32 v8, 63, v10
	v_lshl_add_u64 v[6:7], v[4:5], 0, s[6:7]
	v_and_b32_e32 v5, 3, v0
	v_lshrrev_b32_e32 v12, 6, v10
	v_lshlrev_b32_e32 v10, 1, v8
	v_lshl_or_b32 v18, v12, 7, v10
	v_lshlrev_b32_e32 v10, 1, v5
	v_lshl_or_b32 v4, v4, 3, v10
	v_add_u32_e32 v19, 0x200, v4
	v_mov_b32_e32 v4, 0x200
	v_mov_b32_e32 v9, v3
	v_lshl_add_u32 v21, v2, 3, v4
	s_waitcnt lgkmcnt(0)
	v_mul_lo_u32 v11, s21, v6
	v_mul_lo_u32 v7, s20, v7
	v_mad_u64_u32 v[4:5], s[18:19], s20, v6, 0
	v_add3_u32 v5, v5, v7, v11
	v_lshl_add_u64 v[6:7], s[2:3], 0, v[8:9]
	s_mul_i32 s5, s23, s4
	s_mul_hi_u32 s18, s22, s4
	v_mul_lo_u32 v8, s11, v6
	v_mul_lo_u32 v9, s10, v7
	v_mad_u64_u32 v[6:7], s[10:11], s10, v6, 0
	s_add_i32 s19, s18, s5
	s_mul_i32 s5, s13, s4
	s_mul_hi_u32 s10, s12, s4
	s_mul_i32 s18, s22, s4
	s_add_i32 s11, s10, s5
	s_mul_i32 s10, s12, s4
	s_lshl_b64 s[18:19], s[18:19], 1
	v_add3_u32 v7, v7, v9, v8
	s_lshl_b64 s[10:11], s[10:11], 1
	v_lshl_add_u64 v[4:5], v[4:5], 1, s[18:19]
	v_mov_b32_e32 v11, v3
	v_lshl_add_u64 v[6:7], v[6:7], 1, s[10:11]
	v_lshlrev_b32_e32 v8, 1, v12
	v_mov_b32_e32 v9, v3
	v_lshl_add_u64 v[4:5], v[4:5], 0, v[10:11]
	v_lshl_add_u64 v[6:7], v[6:7], 0, v[8:9]
	v_lshlrev_b32_e32 v20, 1, v0
	v_lshl_add_u64 v[4:5], s[14:15], 0, v[4:5]
	v_lshl_add_u64 v[6:7], s[8:9], 0, v[6:7]
	s_mov_b64 s[8:9], 0
	s_mov_b32 s5, 0x5040100
	v_mov_b64_e32 v[8:9], s[16:17]
	v_mov_b32_e32 v10, v3
	v_mov_b32_e32 v12, v3
	;; [unrolled: 1-line block ×7, first 2 shown]
.LBB7_2:                                ; =>This Inner Loop Header: Depth=1
	global_load_ushort v22, v[6:7], off
	global_load_ushort v23, v[4:5], off
	s_add_u32 s8, s8, 4
	s_addc_u32 s9, s9, 0
	v_cmp_lt_i64_e32 vcc, s[8:9], v[8:9]
	v_lshl_add_u64 v[4:5], v[4:5], 0, 8
	v_lshl_add_u64 v[6:7], v[6:7], 0, 8
	s_and_b64 vcc, exec, vcc
	s_waitcnt vmcnt(1)
	ds_write_b16 v18, v22
	s_waitcnt vmcnt(0)
	ds_write_b16 v19, v23
	s_waitcnt lgkmcnt(0)
	s_barrier
	ds_read2_b64 v[22:25], v21 offset1:16
	ds_read2_b64 v[26:29], v21 offset0:32 offset1:48
	ds_read_u16 v30, v20
	ds_read_u16 v31, v20 offset:32
	ds_read_u16 v32, v20 offset:64
	;; [unrolled: 1-line block ×15, first 2 shown]
	s_waitcnt lgkmcnt(14)
	v_perm_b32 v30, v30, v31, s5
	s_waitcnt lgkmcnt(12)
	v_perm_b32 v32, v32, v33, s5
	;; [unrolled: 2-line block ×4, first 2 shown]
	v_pk_fma_f16 v17, v30, v22, v17 op_sel_hi:[1,0,1]
	v_pk_fma_f16 v16, v32, v22, v16 op_sel_hi:[1,0,1]
	;; [unrolled: 1-line block ×8, first 2 shown]
	s_waitcnt lgkmcnt(6)
	v_perm_b32 v34, v38, v39, s5
	s_waitcnt lgkmcnt(4)
	v_perm_b32 v36, v40, v41, s5
	v_pk_fma_f16 v17, v31, v22, v17 op_sel:[0,1,0]
	v_pk_fma_f16 v16, v33, v22, v16 op_sel:[0,1,0]
	;; [unrolled: 1-line block ×8, first 2 shown]
	s_waitcnt lgkmcnt(2)
	v_perm_b32 v35, v42, v43, s5
	s_waitcnt lgkmcnt(0)
	v_perm_b32 v37, v44, v45, s5
	v_pk_fma_f16 v17, v34, v23, v17 op_sel_hi:[1,0,1]
	v_pk_fma_f16 v16, v36, v23, v16 op_sel_hi:[1,0,1]
	;; [unrolled: 1-line block ×8, first 2 shown]
	v_pk_fma_f16 v17, v35, v23, v17 op_sel:[0,1,0]
	v_pk_fma_f16 v16, v37, v23, v16 op_sel:[0,1,0]
	;; [unrolled: 1-line block ×8, first 2 shown]
	s_barrier
	s_cbranch_vccnz .LBB7_2
	s_branch .LBB7_4
.LBB7_3:
	v_mov_b32_e32 v17, v3
	v_mov_b32_e32 v16, v3
	;; [unrolled: 1-line block ×8, first 2 shown]
.LBB7_4:
	s_load_dwordx4 s[16:19], s[0:1], 0x78
	s_load_dword s5, s[0:1], 0x18
	s_load_dword s20, s[0:1], 0x50
	s_load_dwordx8 s[8:15], s[0:1], 0x58
	v_lshl_add_u64 v[2:3], s[6:7], 0, v[2:3]
	s_waitcnt lgkmcnt(0)
	s_mul_i32 s0, s19, s4
	s_mul_hi_u32 s1, s18, s4
	s_add_i32 s1, s1, s0
	s_mul_i32 s0, s18, s4
	s_lshl_b64 s[0:1], s[0:1], 1
	s_add_u32 s0, s14, s0
	v_cmp_neq_f16_e64 s[6:7], s20, 0
	v_lshl_add_u64 v[0:1], s[2:3], 0, v[0:1]
	s_addc_u32 s1, s15, s1
	s_and_b64 vcc, exec, s[6:7]
	v_mul_lo_u32 v20, v3, s16
	v_mul_lo_u32 v21, v2, s17
	v_lshrrev_b32_e32 v19, 16, v17
	v_lshlrev_b64 v[0:1], 1, v[0:1]
	v_lshrrev_b32_e32 v18, 16, v16
	v_lshrrev_b32_e32 v9, 16, v15
	;; [unrolled: 1-line block ×7, first 2 shown]
	s_cbranch_vccnz .LBB7_8
; %bb.5:
	v_mad_u64_u32 v[22:23], s[2:3], v2, s16, 0
	v_add3_u32 v23, v23, v21, v20
	v_lshl_add_u64 v[22:23], v[22:23], 1, s[0:1]
	v_mul_f16_sdwa v26, s5, v17 dst_sel:DWORD dst_unused:UNUSED_PAD src0_sel:DWORD src1_sel:WORD_1
	v_lshl_add_u64 v[24:25], v[22:23], 0, v[0:1]
	global_store_short v[24:25], v26, off
	v_mul_f16_e32 v26, s5, v17
	global_store_short v[24:25], v26, off offset:32
	v_mul_f16_sdwa v26, s5, v16 dst_sel:DWORD dst_unused:UNUSED_PAD src0_sel:DWORD src1_sel:WORD_1
	s_lshl_b64 s[2:3], s[16:17], 5
	global_store_short v[24:25], v26, off offset:64
	v_mul_f16_e32 v26, s5, v16
	v_lshl_add_u64 v[22:23], v[22:23], 0, s[2:3]
	global_store_short v[24:25], v26, off offset:96
	v_mul_f16_sdwa v26, s5, v15 dst_sel:DWORD dst_unused:UNUSED_PAD src0_sel:DWORD src1_sel:WORD_1
	v_lshl_add_u64 v[24:25], v[22:23], 0, v[0:1]
	global_store_short v[24:25], v26, off
	v_mul_f16_e32 v26, s5, v15
	global_store_short v[24:25], v26, off offset:32
	v_mul_f16_sdwa v26, s5, v14 dst_sel:DWORD dst_unused:UNUSED_PAD src0_sel:DWORD src1_sel:WORD_1
	global_store_short v[24:25], v26, off offset:64
	v_mul_f16_e32 v26, s5, v14
	v_lshl_add_u64 v[22:23], v[22:23], 0, s[2:3]
	global_store_short v[24:25], v26, off offset:96
	v_mul_f16_sdwa v26, s5, v13 dst_sel:DWORD dst_unused:UNUSED_PAD src0_sel:DWORD src1_sel:WORD_1
	v_lshl_add_u64 v[24:25], v[22:23], 0, v[0:1]
	global_store_short v[24:25], v26, off
	v_mul_f16_e32 v26, s5, v13
	global_store_short v[24:25], v26, off offset:32
	v_mul_f16_sdwa v26, s5, v12 dst_sel:DWORD dst_unused:UNUSED_PAD src0_sel:DWORD src1_sel:WORD_1
	global_store_short v[24:25], v26, off offset:64
	v_mul_f16_e32 v26, s5, v12
	v_lshl_add_u64 v[22:23], v[22:23], 0, s[2:3]
	global_store_short v[24:25], v26, off offset:96
	v_mul_f16_sdwa v24, s5, v11 dst_sel:DWORD dst_unused:UNUSED_PAD src0_sel:DWORD src1_sel:WORD_1
	v_lshl_add_u64 v[22:23], v[22:23], 0, v[0:1]
	global_store_short v[22:23], v24, off
	v_mul_f16_e32 v24, s5, v11
	global_store_short v[22:23], v24, off offset:32
	v_mul_f16_sdwa v24, s5, v10 dst_sel:DWORD dst_unused:UNUSED_PAD src0_sel:DWORD src1_sel:WORD_1
	global_store_short v[22:23], v24, off offset:64
	v_mul_f16_e32 v24, s5, v10
	global_store_short v[22:23], v24, off offset:96
	s_cbranch_execnz .LBB7_7
.LBB7_6:
	s_mul_i32 s2, s13, s4
	s_mul_hi_u32 s3, s12, s4
	s_add_i32 s3, s3, s2
	s_mul_i32 s2, s12, s4
	s_lshl_b64 s[2:3], s[2:3], 1
	s_add_u32 s2, s8, s2
	v_mul_lo_u32 v3, v3, s10
	v_mul_lo_u32 v24, v2, s11
	v_mad_u64_u32 v[22:23], s[6:7], v2, s10, 0
	s_addc_u32 s3, s9, s3
	v_add3_u32 v23, v23, v24, v3
	v_lshl_add_u64 v[22:23], v[22:23], 1, s[2:3]
	v_lshl_add_u64 v[24:25], v[22:23], 0, v[0:1]
	global_load_ushort v26, v[24:25], off
	v_mad_u64_u32 v[2:3], s[2:3], v2, s16, 0
	v_add3_u32 v3, v3, v21, v20
	v_lshl_add_u64 v[2:3], v[2:3], 1, s[0:1]
	v_lshl_add_u64 v[20:21], v[2:3], 0, v[0:1]
	s_lshl_b64 s[0:1], s[10:11], 5
	s_lshl_b64 s[2:3], s[16:17], 5
	v_lshl_add_u64 v[2:3], v[2:3], 0, s[2:3]
	s_waitcnt vmcnt(0)
	v_mul_f16_e32 v26, s20, v26
	v_fma_f16 v19, s5, v19, v26
	global_store_short v[20:21], v19, off
	global_load_ushort v19, v[24:25], off offset:32
	s_waitcnt vmcnt(0)
	v_mul_f16_e32 v19, s20, v19
	v_fma_f16 v17, s5, v17, v19
	global_store_short v[20:21], v17, off offset:32
	global_load_ushort v17, v[24:25], off offset:64
	s_waitcnt vmcnt(0)
	v_mul_f16_e32 v17, s20, v17
	v_fma_f16 v17, s5, v18, v17
	global_store_short v[20:21], v17, off offset:64
	global_load_ushort v17, v[24:25], off offset:96
	v_lshl_add_u64 v[18:19], v[22:23], 0, s[0:1]
	v_lshl_add_u64 v[22:23], v[18:19], 0, v[0:1]
	s_waitcnt vmcnt(0)
	v_mul_f16_e32 v17, s20, v17
	v_fma_f16 v16, s5, v16, v17
	global_store_short v[20:21], v16, off offset:96
	global_load_ushort v20, v[22:23], off
	v_lshl_add_u64 v[16:17], v[2:3], 0, v[0:1]
	v_lshl_add_u64 v[2:3], v[2:3], 0, s[2:3]
	s_waitcnt vmcnt(0)
	v_mul_f16_e32 v20, s20, v20
	v_fma_f16 v9, s5, v9, v20
	global_store_short v[16:17], v9, off
	global_load_ushort v9, v[22:23], off offset:32
	s_waitcnt vmcnt(0)
	v_mul_f16_e32 v9, s20, v9
	v_fma_f16 v9, s5, v15, v9
	global_store_short v[16:17], v9, off offset:32
	global_load_ushort v9, v[22:23], off offset:64
	s_waitcnt vmcnt(0)
	v_mul_f16_e32 v9, s20, v9
	v_fma_f16 v8, s5, v8, v9
	global_store_short v[16:17], v8, off offset:64
	global_load_ushort v15, v[22:23], off offset:96
	v_lshl_add_u64 v[8:9], v[18:19], 0, s[0:1]
	v_lshl_add_u64 v[18:19], v[8:9], 0, v[0:1]
	s_waitcnt vmcnt(0)
	v_mul_f16_e32 v15, s20, v15
	v_fma_f16 v14, s5, v14, v15
	global_store_short v[16:17], v14, off offset:96
	global_load_ushort v16, v[18:19], off
	v_lshl_add_u64 v[14:15], v[2:3], 0, v[0:1]
	v_lshl_add_u64 v[2:3], v[2:3], 0, s[2:3]
	s_waitcnt vmcnt(0)
	v_mul_f16_e32 v16, s20, v16
	v_fma_f16 v7, s5, v7, v16
	global_store_short v[14:15], v7, off
	global_load_ushort v7, v[18:19], off offset:32
	s_waitcnt vmcnt(0)
	v_mul_f16_e32 v7, s20, v7
	v_fma_f16 v7, s5, v13, v7
	global_store_short v[14:15], v7, off offset:32
	global_load_ushort v7, v[18:19], off offset:64
	s_waitcnt vmcnt(0)
	v_mul_f16_e32 v7, s20, v7
	v_fma_f16 v6, s5, v6, v7
	global_store_short v[14:15], v6, off offset:64
	global_load_ushort v13, v[18:19], off offset:96
	v_lshl_add_u64 v[6:7], v[8:9], 0, s[0:1]
	v_lshl_add_u64 v[6:7], v[6:7], 0, v[0:1]
	;; [unrolled: 1-line block ×3, first 2 shown]
	s_waitcnt vmcnt(0)
	v_mul_f16_e32 v8, s20, v13
	v_fma_f16 v8, s5, v12, v8
	global_store_short v[14:15], v8, off offset:96
	global_load_ushort v8, v[6:7], off
	s_waitcnt vmcnt(0)
	v_mul_f16_e32 v8, s20, v8
	v_fma_f16 v5, s5, v5, v8
	global_store_short v[0:1], v5, off
	global_load_ushort v2, v[6:7], off offset:32
	s_waitcnt vmcnt(0)
	v_mul_f16_e32 v2, s20, v2
	v_fma_f16 v2, s5, v11, v2
	global_store_short v[0:1], v2, off offset:32
	global_load_ushort v2, v[6:7], off offset:64
	s_waitcnt vmcnt(0)
	v_mul_f16_e32 v2, s20, v2
	v_fma_f16 v2, s5, v4, v2
	global_store_short v[0:1], v2, off offset:64
	;; [unrolled: 5-line block ×3, first 2 shown]
.LBB7_7:
	s_endpgm
.LBB7_8:
	s_branch .LBB7_6
	.section	.rodata,"a",@progbits
	.p2align	6, 0x0
	.amdhsa_kernel _ZN12_GLOBAL__N_127rocblas_gemm_batched_kernelIDF16_Li16ELi16ELi64ELi64ELi4ELi64ELi4ELi4ELi64ELc67ELc78EKDF16_S1_DF16_EEvlllT_PT11_llS4_llS2_PT12_llPT13_lli
		.amdhsa_group_segment_fixed_size 1024
		.amdhsa_private_segment_fixed_size 0
		.amdhsa_kernarg_size 140
		.amdhsa_user_sgpr_count 2
		.amdhsa_user_sgpr_dispatch_ptr 0
		.amdhsa_user_sgpr_queue_ptr 0
		.amdhsa_user_sgpr_kernarg_segment_ptr 1
		.amdhsa_user_sgpr_dispatch_id 0
		.amdhsa_user_sgpr_kernarg_preload_length 0
		.amdhsa_user_sgpr_kernarg_preload_offset 0
		.amdhsa_user_sgpr_private_segment_size 0
		.amdhsa_uses_dynamic_stack 0
		.amdhsa_enable_private_segment 0
		.amdhsa_system_sgpr_workgroup_id_x 1
		.amdhsa_system_sgpr_workgroup_id_y 1
		.amdhsa_system_sgpr_workgroup_id_z 1
		.amdhsa_system_sgpr_workgroup_info 0
		.amdhsa_system_vgpr_workitem_id 1
		.amdhsa_next_free_vgpr 46
		.amdhsa_next_free_sgpr 24
		.amdhsa_accum_offset 48
		.amdhsa_reserve_vcc 1
		.amdhsa_float_round_mode_32 0
		.amdhsa_float_round_mode_16_64 0
		.amdhsa_float_denorm_mode_32 3
		.amdhsa_float_denorm_mode_16_64 3
		.amdhsa_dx10_clamp 1
		.amdhsa_ieee_mode 1
		.amdhsa_fp16_overflow 0
		.amdhsa_tg_split 0
		.amdhsa_exception_fp_ieee_invalid_op 0
		.amdhsa_exception_fp_denorm_src 0
		.amdhsa_exception_fp_ieee_div_zero 0
		.amdhsa_exception_fp_ieee_overflow 0
		.amdhsa_exception_fp_ieee_underflow 0
		.amdhsa_exception_fp_ieee_inexact 0
		.amdhsa_exception_int_div_zero 0
	.end_amdhsa_kernel
	.section	.text._ZN12_GLOBAL__N_127rocblas_gemm_batched_kernelIDF16_Li16ELi16ELi64ELi64ELi4ELi64ELi4ELi4ELi64ELc67ELc78EKDF16_S1_DF16_EEvlllT_PT11_llS4_llS2_PT12_llPT13_lli,"axG",@progbits,_ZN12_GLOBAL__N_127rocblas_gemm_batched_kernelIDF16_Li16ELi16ELi64ELi64ELi4ELi64ELi4ELi4ELi64ELc67ELc78EKDF16_S1_DF16_EEvlllT_PT11_llS4_llS2_PT12_llPT13_lli,comdat
.Lfunc_end7:
	.size	_ZN12_GLOBAL__N_127rocblas_gemm_batched_kernelIDF16_Li16ELi16ELi64ELi64ELi4ELi64ELi4ELi4ELi64ELc67ELc78EKDF16_S1_DF16_EEvlllT_PT11_llS4_llS2_PT12_llPT13_lli, .Lfunc_end7-_ZN12_GLOBAL__N_127rocblas_gemm_batched_kernelIDF16_Li16ELi16ELi64ELi64ELi4ELi64ELi4ELi4ELi64ELc67ELc78EKDF16_S1_DF16_EEvlllT_PT11_llS4_llS2_PT12_llPT13_lli
                                        ; -- End function
	.set _ZN12_GLOBAL__N_127rocblas_gemm_batched_kernelIDF16_Li16ELi16ELi64ELi64ELi4ELi64ELi4ELi4ELi64ELc67ELc78EKDF16_S1_DF16_EEvlllT_PT11_llS4_llS2_PT12_llPT13_lli.num_vgpr, 46
	.set _ZN12_GLOBAL__N_127rocblas_gemm_batched_kernelIDF16_Li16ELi16ELi64ELi64ELi4ELi64ELi4ELi4ELi64ELc67ELc78EKDF16_S1_DF16_EEvlllT_PT11_llS4_llS2_PT12_llPT13_lli.num_agpr, 0
	.set _ZN12_GLOBAL__N_127rocblas_gemm_batched_kernelIDF16_Li16ELi16ELi64ELi64ELi4ELi64ELi4ELi4ELi64ELc67ELc78EKDF16_S1_DF16_EEvlllT_PT11_llS4_llS2_PT12_llPT13_lli.numbered_sgpr, 24
	.set _ZN12_GLOBAL__N_127rocblas_gemm_batched_kernelIDF16_Li16ELi16ELi64ELi64ELi4ELi64ELi4ELi4ELi64ELc67ELc78EKDF16_S1_DF16_EEvlllT_PT11_llS4_llS2_PT12_llPT13_lli.num_named_barrier, 0
	.set _ZN12_GLOBAL__N_127rocblas_gemm_batched_kernelIDF16_Li16ELi16ELi64ELi64ELi4ELi64ELi4ELi4ELi64ELc67ELc78EKDF16_S1_DF16_EEvlllT_PT11_llS4_llS2_PT12_llPT13_lli.private_seg_size, 0
	.set _ZN12_GLOBAL__N_127rocblas_gemm_batched_kernelIDF16_Li16ELi16ELi64ELi64ELi4ELi64ELi4ELi4ELi64ELc67ELc78EKDF16_S1_DF16_EEvlllT_PT11_llS4_llS2_PT12_llPT13_lli.uses_vcc, 1
	.set _ZN12_GLOBAL__N_127rocblas_gemm_batched_kernelIDF16_Li16ELi16ELi64ELi64ELi4ELi64ELi4ELi4ELi64ELc67ELc78EKDF16_S1_DF16_EEvlllT_PT11_llS4_llS2_PT12_llPT13_lli.uses_flat_scratch, 0
	.set _ZN12_GLOBAL__N_127rocblas_gemm_batched_kernelIDF16_Li16ELi16ELi64ELi64ELi4ELi64ELi4ELi4ELi64ELc67ELc78EKDF16_S1_DF16_EEvlllT_PT11_llS4_llS2_PT12_llPT13_lli.has_dyn_sized_stack, 0
	.set _ZN12_GLOBAL__N_127rocblas_gemm_batched_kernelIDF16_Li16ELi16ELi64ELi64ELi4ELi64ELi4ELi4ELi64ELc67ELc78EKDF16_S1_DF16_EEvlllT_PT11_llS4_llS2_PT12_llPT13_lli.has_recursion, 0
	.set _ZN12_GLOBAL__N_127rocblas_gemm_batched_kernelIDF16_Li16ELi16ELi64ELi64ELi4ELi64ELi4ELi4ELi64ELc67ELc78EKDF16_S1_DF16_EEvlllT_PT11_llS4_llS2_PT12_llPT13_lli.has_indirect_call, 0
	.section	.AMDGPU.csdata,"",@progbits
; Kernel info:
; codeLenInByte = 2216
; TotalNumSgprs: 30
; NumVgprs: 46
; NumAgprs: 0
; TotalNumVgprs: 46
; ScratchSize: 0
; MemoryBound: 0
; FloatMode: 240
; IeeeMode: 1
; LDSByteSize: 1024 bytes/workgroup (compile time only)
; SGPRBlocks: 3
; VGPRBlocks: 5
; NumSGPRsForWavesPerEU: 30
; NumVGPRsForWavesPerEU: 46
; AccumOffset: 48
; Occupancy: 8
; WaveLimiterHint : 0
; COMPUTE_PGM_RSRC2:SCRATCH_EN: 0
; COMPUTE_PGM_RSRC2:USER_SGPR: 2
; COMPUTE_PGM_RSRC2:TRAP_HANDLER: 0
; COMPUTE_PGM_RSRC2:TGID_X_EN: 1
; COMPUTE_PGM_RSRC2:TGID_Y_EN: 1
; COMPUTE_PGM_RSRC2:TGID_Z_EN: 1
; COMPUTE_PGM_RSRC2:TIDIG_COMP_CNT: 1
; COMPUTE_PGM_RSRC3_GFX90A:ACCUM_OFFSET: 11
; COMPUTE_PGM_RSRC3_GFX90A:TG_SPLIT: 0
	.section	.text._ZN12_GLOBAL__N_127rocblas_gemm_batched_kernelIDF16_Li16ELi16ELi64ELi64ELi4ELi64ELi4ELi4ELi64ELc67ELc84EKDF16_S1_DF16_EEvlllT_PT11_llS4_llS2_PT12_llPT13_lli,"axG",@progbits,_ZN12_GLOBAL__N_127rocblas_gemm_batched_kernelIDF16_Li16ELi16ELi64ELi64ELi4ELi64ELi4ELi4ELi64ELc67ELc84EKDF16_S1_DF16_EEvlllT_PT11_llS4_llS2_PT12_llPT13_lli,comdat
	.globl	_ZN12_GLOBAL__N_127rocblas_gemm_batched_kernelIDF16_Li16ELi16ELi64ELi64ELi4ELi64ELi4ELi4ELi64ELc67ELc84EKDF16_S1_DF16_EEvlllT_PT11_llS4_llS2_PT12_llPT13_lli ; -- Begin function _ZN12_GLOBAL__N_127rocblas_gemm_batched_kernelIDF16_Li16ELi16ELi64ELi64ELi4ELi64ELi4ELi4ELi64ELc67ELc84EKDF16_S1_DF16_EEvlllT_PT11_llS4_llS2_PT12_llPT13_lli
	.p2align	8
	.type	_ZN12_GLOBAL__N_127rocblas_gemm_batched_kernelIDF16_Li16ELi16ELi64ELi64ELi4ELi64ELi4ELi4ELi64ELc67ELc84EKDF16_S1_DF16_EEvlllT_PT11_llS4_llS2_PT12_llPT13_lli,@function
_ZN12_GLOBAL__N_127rocblas_gemm_batched_kernelIDF16_Li16ELi16ELi64ELi64ELi4ELi64ELi4ELi4ELi64ELc67ELc84EKDF16_S1_DF16_EEvlllT_PT11_llS4_llS2_PT12_llPT13_lli: ; @_ZN12_GLOBAL__N_127rocblas_gemm_batched_kernelIDF16_Li16ELi16ELi64ELi64ELi4ELi64ELi4ELi4ELi64ELc67ELc84EKDF16_S1_DF16_EEvlllT_PT11_llS4_llS2_PT12_llPT13_lli
; %bb.0:
	s_load_dwordx2 s[16:17], s[0:1], 0x10
	s_mov_b32 s6, s3
	v_mov_b32_e32 v3, 0
	s_ashr_i32 s3, s2, 31
	s_ashr_i32 s7, s6, 31
	s_waitcnt lgkmcnt(0)
	v_cmp_lt_i64_e64 s[8:9], s[16:17], 1
	v_bfe_u32 v2, v0, 10, 10
	v_and_b32_e32 v0, 0x3ff, v0
	v_mov_b32_e32 v1, v3
	s_lshl_b64 s[2:3], s[2:3], 6
	s_lshl_b64 s[6:7], s[6:7], 6
	s_and_b64 vcc, exec, s[8:9]
	s_cbranch_vccnz .LBB8_3
; %bb.1:
	s_load_dwordx8 s[8:15], s[0:1], 0x20
	s_load_dwordx4 s[20:23], s[0:1], 0x40
	v_lshl_add_u32 v8, v2, 4, v0
	v_and_b32_e32 v6, 63, v8
	v_lshrrev_b32_e32 v4, 2, v8
	v_and_b32_e32 v9, 3, v0
	v_lshrrev_b32_e32 v10, 6, v8
	v_lshlrev_b32_e32 v8, 1, v6
	v_lshl_or_b32 v18, v10, 7, v8
	v_lshlrev_b32_e32 v8, 1, v9
	v_mov_b32_e32 v5, v3
	v_lshl_or_b32 v8, v4, 3, v8
	s_waitcnt lgkmcnt(0)
	s_mul_i32 s5, s23, s4
	s_mul_hi_u32 s18, s22, s4
	v_add_u32_e32 v19, 0x200, v8
	v_mov_b32_e32 v8, 0x200
	s_add_i32 s19, s18, s5
	s_mul_i32 s18, s22, s4
	v_mad_u64_u32 v[4:5], s[22:23], s20, v9, v[4:5]
	v_mov_b32_e32 v7, v3
	v_lshl_add_u32 v21, v2, 3, v8
	v_mov_b32_e32 v8, v5
	v_mad_u64_u32 v[8:9], s[22:23], s21, v9, v[8:9]
	v_lshl_add_u64 v[6:7], s[2:3], 0, v[6:7]
	s_lshl_b64 s[18:19], s[18:19], 1
	v_mov_b32_e32 v5, v8
	v_mul_lo_u32 v8, s11, v6
	v_mul_lo_u32 v9, s10, v7
	v_mad_u64_u32 v[6:7], s[10:11], s10, v6, 0
	s_add_u32 s14, s14, s18
	s_mul_i32 s5, s13, s4
	s_mul_hi_u32 s10, s12, s4
	s_addc_u32 s15, s15, s19
	s_add_i32 s11, s10, s5
	s_mul_i32 s10, s12, s4
	v_add3_u32 v7, v7, v9, v8
	s_lshl_b64 s[10:11], s[10:11], 1
	v_lshl_add_u64 v[6:7], v[6:7], 1, s[10:11]
	v_lshlrev_b32_e32 v8, 1, v10
	v_mov_b32_e32 v9, v3
	v_lshl_add_u64 v[4:5], v[4:5], 0, s[6:7]
	v_lshl_add_u64 v[6:7], v[6:7], 0, v[8:9]
	v_lshlrev_b32_e32 v20, 1, v0
	v_lshl_add_u64 v[4:5], v[4:5], 1, s[14:15]
	s_lshl_b64 s[14:15], s[20:21], 3
	v_lshl_add_u64 v[6:7], s[8:9], 0, v[6:7]
	s_mov_b64 s[8:9], 0
	s_mov_b32 s5, 0x5040100
	v_mov_b64_e32 v[8:9], s[16:17]
	v_mov_b32_e32 v10, v3
	v_mov_b32_e32 v11, v3
	;; [unrolled: 1-line block ×8, first 2 shown]
.LBB8_2:                                ; =>This Inner Loop Header: Depth=1
	global_load_ushort v22, v[6:7], off
	global_load_ushort v23, v[4:5], off
	s_add_u32 s8, s8, 4
	s_addc_u32 s9, s9, 0
	v_cmp_lt_i64_e32 vcc, s[8:9], v[8:9]
	v_lshl_add_u64 v[4:5], v[4:5], 0, s[14:15]
	v_lshl_add_u64 v[6:7], v[6:7], 0, 8
	s_and_b64 vcc, exec, vcc
	s_waitcnt vmcnt(1)
	ds_write_b16 v18, v22
	s_waitcnt vmcnt(0)
	ds_write_b16 v19, v23
	s_waitcnt lgkmcnt(0)
	s_barrier
	ds_read2_b64 v[22:25], v21 offset1:16
	ds_read2_b64 v[26:29], v21 offset0:32 offset1:48
	ds_read_u16 v30, v20
	ds_read_u16 v31, v20 offset:32
	ds_read_u16 v32, v20 offset:64
	;; [unrolled: 1-line block ×15, first 2 shown]
	s_waitcnt lgkmcnt(14)
	v_perm_b32 v30, v30, v31, s5
	s_waitcnt lgkmcnt(12)
	v_perm_b32 v32, v32, v33, s5
	;; [unrolled: 2-line block ×4, first 2 shown]
	v_pk_fma_f16 v17, v30, v22, v17 op_sel_hi:[1,0,1]
	v_pk_fma_f16 v16, v32, v22, v16 op_sel_hi:[1,0,1]
	;; [unrolled: 1-line block ×8, first 2 shown]
	s_waitcnt lgkmcnt(6)
	v_perm_b32 v34, v38, v39, s5
	s_waitcnt lgkmcnt(4)
	v_perm_b32 v36, v40, v41, s5
	v_pk_fma_f16 v17, v31, v22, v17 op_sel:[0,1,0]
	v_pk_fma_f16 v16, v33, v22, v16 op_sel:[0,1,0]
	v_pk_fma_f16 v15, v31, v24, v15 op_sel:[0,1,0]
	v_pk_fma_f16 v14, v33, v24, v14 op_sel:[0,1,0]
	v_pk_fma_f16 v13, v31, v26, v13 op_sel:[0,1,0]
	v_pk_fma_f16 v12, v33, v26, v12 op_sel:[0,1,0]
	v_pk_fma_f16 v11, v31, v28, v11 op_sel:[0,1,0]
	v_pk_fma_f16 v10, v33, v28, v10 op_sel:[0,1,0]
	s_waitcnt lgkmcnt(2)
	v_perm_b32 v35, v42, v43, s5
	s_waitcnt lgkmcnt(0)
	v_perm_b32 v37, v44, v45, s5
	v_pk_fma_f16 v17, v34, v23, v17 op_sel_hi:[1,0,1]
	v_pk_fma_f16 v16, v36, v23, v16 op_sel_hi:[1,0,1]
	;; [unrolled: 1-line block ×8, first 2 shown]
	v_pk_fma_f16 v17, v35, v23, v17 op_sel:[0,1,0]
	v_pk_fma_f16 v16, v37, v23, v16 op_sel:[0,1,0]
	;; [unrolled: 1-line block ×8, first 2 shown]
	s_barrier
	s_cbranch_vccnz .LBB8_2
	s_branch .LBB8_4
.LBB8_3:
	v_mov_b32_e32 v17, v3
	v_mov_b32_e32 v16, v3
	;; [unrolled: 1-line block ×8, first 2 shown]
.LBB8_4:
	s_load_dwordx4 s[16:19], s[0:1], 0x78
	s_load_dword s5, s[0:1], 0x18
	s_load_dword s20, s[0:1], 0x50
	s_load_dwordx8 s[8:15], s[0:1], 0x58
	v_lshl_add_u64 v[2:3], s[6:7], 0, v[2:3]
	s_waitcnt lgkmcnt(0)
	s_mul_i32 s0, s19, s4
	s_mul_hi_u32 s1, s18, s4
	s_add_i32 s1, s1, s0
	s_mul_i32 s0, s18, s4
	s_lshl_b64 s[0:1], s[0:1], 1
	s_add_u32 s0, s14, s0
	v_cmp_neq_f16_e64 s[6:7], s20, 0
	v_lshl_add_u64 v[0:1], s[2:3], 0, v[0:1]
	s_addc_u32 s1, s15, s1
	s_and_b64 vcc, exec, s[6:7]
	v_mul_lo_u32 v20, v3, s16
	v_mul_lo_u32 v21, v2, s17
	v_lshrrev_b32_e32 v19, 16, v17
	v_lshlrev_b64 v[0:1], 1, v[0:1]
	v_lshrrev_b32_e32 v18, 16, v16
	v_lshrrev_b32_e32 v9, 16, v15
	;; [unrolled: 1-line block ×7, first 2 shown]
	s_cbranch_vccnz .LBB8_8
; %bb.5:
	v_mad_u64_u32 v[22:23], s[2:3], v2, s16, 0
	v_add3_u32 v23, v23, v21, v20
	v_lshl_add_u64 v[22:23], v[22:23], 1, s[0:1]
	v_mul_f16_sdwa v26, s5, v17 dst_sel:DWORD dst_unused:UNUSED_PAD src0_sel:DWORD src1_sel:WORD_1
	v_lshl_add_u64 v[24:25], v[22:23], 0, v[0:1]
	global_store_short v[24:25], v26, off
	v_mul_f16_e32 v26, s5, v17
	global_store_short v[24:25], v26, off offset:32
	v_mul_f16_sdwa v26, s5, v16 dst_sel:DWORD dst_unused:UNUSED_PAD src0_sel:DWORD src1_sel:WORD_1
	s_lshl_b64 s[2:3], s[16:17], 5
	global_store_short v[24:25], v26, off offset:64
	v_mul_f16_e32 v26, s5, v16
	v_lshl_add_u64 v[22:23], v[22:23], 0, s[2:3]
	global_store_short v[24:25], v26, off offset:96
	v_mul_f16_sdwa v26, s5, v15 dst_sel:DWORD dst_unused:UNUSED_PAD src0_sel:DWORD src1_sel:WORD_1
	v_lshl_add_u64 v[24:25], v[22:23], 0, v[0:1]
	global_store_short v[24:25], v26, off
	v_mul_f16_e32 v26, s5, v15
	global_store_short v[24:25], v26, off offset:32
	v_mul_f16_sdwa v26, s5, v14 dst_sel:DWORD dst_unused:UNUSED_PAD src0_sel:DWORD src1_sel:WORD_1
	global_store_short v[24:25], v26, off offset:64
	v_mul_f16_e32 v26, s5, v14
	v_lshl_add_u64 v[22:23], v[22:23], 0, s[2:3]
	global_store_short v[24:25], v26, off offset:96
	v_mul_f16_sdwa v26, s5, v13 dst_sel:DWORD dst_unused:UNUSED_PAD src0_sel:DWORD src1_sel:WORD_1
	v_lshl_add_u64 v[24:25], v[22:23], 0, v[0:1]
	global_store_short v[24:25], v26, off
	v_mul_f16_e32 v26, s5, v13
	global_store_short v[24:25], v26, off offset:32
	v_mul_f16_sdwa v26, s5, v12 dst_sel:DWORD dst_unused:UNUSED_PAD src0_sel:DWORD src1_sel:WORD_1
	;; [unrolled: 10-line block ×3, first 2 shown]
	global_store_short v[22:23], v24, off offset:64
	v_mul_f16_e32 v24, s5, v10
	global_store_short v[22:23], v24, off offset:96
	s_cbranch_execnz .LBB8_7
.LBB8_6:
	s_mul_i32 s2, s13, s4
	s_mul_hi_u32 s3, s12, s4
	s_add_i32 s3, s3, s2
	s_mul_i32 s2, s12, s4
	s_lshl_b64 s[2:3], s[2:3], 1
	s_add_u32 s2, s8, s2
	v_mul_lo_u32 v3, v3, s10
	v_mul_lo_u32 v24, v2, s11
	v_mad_u64_u32 v[22:23], s[6:7], v2, s10, 0
	s_addc_u32 s3, s9, s3
	v_add3_u32 v23, v23, v24, v3
	v_lshl_add_u64 v[22:23], v[22:23], 1, s[2:3]
	v_lshl_add_u64 v[24:25], v[22:23], 0, v[0:1]
	global_load_ushort v26, v[24:25], off
	v_mad_u64_u32 v[2:3], s[2:3], v2, s16, 0
	v_add3_u32 v3, v3, v21, v20
	v_lshl_add_u64 v[2:3], v[2:3], 1, s[0:1]
	v_lshl_add_u64 v[20:21], v[2:3], 0, v[0:1]
	s_lshl_b64 s[0:1], s[10:11], 5
	s_lshl_b64 s[2:3], s[16:17], 5
	v_lshl_add_u64 v[2:3], v[2:3], 0, s[2:3]
	s_waitcnt vmcnt(0)
	v_mul_f16_e32 v26, s20, v26
	v_fma_f16 v19, s5, v19, v26
	global_store_short v[20:21], v19, off
	global_load_ushort v19, v[24:25], off offset:32
	s_waitcnt vmcnt(0)
	v_mul_f16_e32 v19, s20, v19
	v_fma_f16 v17, s5, v17, v19
	global_store_short v[20:21], v17, off offset:32
	global_load_ushort v17, v[24:25], off offset:64
	s_waitcnt vmcnt(0)
	v_mul_f16_e32 v17, s20, v17
	v_fma_f16 v17, s5, v18, v17
	global_store_short v[20:21], v17, off offset:64
	global_load_ushort v17, v[24:25], off offset:96
	v_lshl_add_u64 v[18:19], v[22:23], 0, s[0:1]
	v_lshl_add_u64 v[22:23], v[18:19], 0, v[0:1]
	s_waitcnt vmcnt(0)
	v_mul_f16_e32 v17, s20, v17
	v_fma_f16 v16, s5, v16, v17
	global_store_short v[20:21], v16, off offset:96
	global_load_ushort v20, v[22:23], off
	v_lshl_add_u64 v[16:17], v[2:3], 0, v[0:1]
	v_lshl_add_u64 v[2:3], v[2:3], 0, s[2:3]
	s_waitcnt vmcnt(0)
	v_mul_f16_e32 v20, s20, v20
	v_fma_f16 v9, s5, v9, v20
	global_store_short v[16:17], v9, off
	global_load_ushort v9, v[22:23], off offset:32
	s_waitcnt vmcnt(0)
	v_mul_f16_e32 v9, s20, v9
	v_fma_f16 v9, s5, v15, v9
	global_store_short v[16:17], v9, off offset:32
	global_load_ushort v9, v[22:23], off offset:64
	s_waitcnt vmcnt(0)
	v_mul_f16_e32 v9, s20, v9
	v_fma_f16 v8, s5, v8, v9
	global_store_short v[16:17], v8, off offset:64
	global_load_ushort v15, v[22:23], off offset:96
	v_lshl_add_u64 v[8:9], v[18:19], 0, s[0:1]
	v_lshl_add_u64 v[18:19], v[8:9], 0, v[0:1]
	s_waitcnt vmcnt(0)
	v_mul_f16_e32 v15, s20, v15
	v_fma_f16 v14, s5, v14, v15
	global_store_short v[16:17], v14, off offset:96
	global_load_ushort v16, v[18:19], off
	v_lshl_add_u64 v[14:15], v[2:3], 0, v[0:1]
	v_lshl_add_u64 v[2:3], v[2:3], 0, s[2:3]
	s_waitcnt vmcnt(0)
	v_mul_f16_e32 v16, s20, v16
	v_fma_f16 v7, s5, v7, v16
	global_store_short v[14:15], v7, off
	global_load_ushort v7, v[18:19], off offset:32
	s_waitcnt vmcnt(0)
	v_mul_f16_e32 v7, s20, v7
	v_fma_f16 v7, s5, v13, v7
	global_store_short v[14:15], v7, off offset:32
	global_load_ushort v7, v[18:19], off offset:64
	s_waitcnt vmcnt(0)
	v_mul_f16_e32 v7, s20, v7
	v_fma_f16 v6, s5, v6, v7
	global_store_short v[14:15], v6, off offset:64
	global_load_ushort v13, v[18:19], off offset:96
	v_lshl_add_u64 v[6:7], v[8:9], 0, s[0:1]
	v_lshl_add_u64 v[6:7], v[6:7], 0, v[0:1]
	;; [unrolled: 1-line block ×3, first 2 shown]
	s_waitcnt vmcnt(0)
	v_mul_f16_e32 v8, s20, v13
	v_fma_f16 v8, s5, v12, v8
	global_store_short v[14:15], v8, off offset:96
	global_load_ushort v8, v[6:7], off
	s_waitcnt vmcnt(0)
	v_mul_f16_e32 v8, s20, v8
	v_fma_f16 v5, s5, v5, v8
	global_store_short v[0:1], v5, off
	global_load_ushort v2, v[6:7], off offset:32
	s_waitcnt vmcnt(0)
	v_mul_f16_e32 v2, s20, v2
	v_fma_f16 v2, s5, v11, v2
	global_store_short v[0:1], v2, off offset:32
	global_load_ushort v2, v[6:7], off offset:64
	s_waitcnt vmcnt(0)
	v_mul_f16_e32 v2, s20, v2
	v_fma_f16 v2, s5, v4, v2
	global_store_short v[0:1], v2, off offset:64
	;; [unrolled: 5-line block ×3, first 2 shown]
.LBB8_7:
	s_endpgm
.LBB8_8:
	s_branch .LBB8_6
	.section	.rodata,"a",@progbits
	.p2align	6, 0x0
	.amdhsa_kernel _ZN12_GLOBAL__N_127rocblas_gemm_batched_kernelIDF16_Li16ELi16ELi64ELi64ELi4ELi64ELi4ELi4ELi64ELc67ELc84EKDF16_S1_DF16_EEvlllT_PT11_llS4_llS2_PT12_llPT13_lli
		.amdhsa_group_segment_fixed_size 1024
		.amdhsa_private_segment_fixed_size 0
		.amdhsa_kernarg_size 140
		.amdhsa_user_sgpr_count 2
		.amdhsa_user_sgpr_dispatch_ptr 0
		.amdhsa_user_sgpr_queue_ptr 0
		.amdhsa_user_sgpr_kernarg_segment_ptr 1
		.amdhsa_user_sgpr_dispatch_id 0
		.amdhsa_user_sgpr_kernarg_preload_length 0
		.amdhsa_user_sgpr_kernarg_preload_offset 0
		.amdhsa_user_sgpr_private_segment_size 0
		.amdhsa_uses_dynamic_stack 0
		.amdhsa_enable_private_segment 0
		.amdhsa_system_sgpr_workgroup_id_x 1
		.amdhsa_system_sgpr_workgroup_id_y 1
		.amdhsa_system_sgpr_workgroup_id_z 1
		.amdhsa_system_sgpr_workgroup_info 0
		.amdhsa_system_vgpr_workitem_id 1
		.amdhsa_next_free_vgpr 46
		.amdhsa_next_free_sgpr 24
		.amdhsa_accum_offset 48
		.amdhsa_reserve_vcc 1
		.amdhsa_float_round_mode_32 0
		.amdhsa_float_round_mode_16_64 0
		.amdhsa_float_denorm_mode_32 3
		.amdhsa_float_denorm_mode_16_64 3
		.amdhsa_dx10_clamp 1
		.amdhsa_ieee_mode 1
		.amdhsa_fp16_overflow 0
		.amdhsa_tg_split 0
		.amdhsa_exception_fp_ieee_invalid_op 0
		.amdhsa_exception_fp_denorm_src 0
		.amdhsa_exception_fp_ieee_div_zero 0
		.amdhsa_exception_fp_ieee_overflow 0
		.amdhsa_exception_fp_ieee_underflow 0
		.amdhsa_exception_fp_ieee_inexact 0
		.amdhsa_exception_int_div_zero 0
	.end_amdhsa_kernel
	.section	.text._ZN12_GLOBAL__N_127rocblas_gemm_batched_kernelIDF16_Li16ELi16ELi64ELi64ELi4ELi64ELi4ELi4ELi64ELc67ELc84EKDF16_S1_DF16_EEvlllT_PT11_llS4_llS2_PT12_llPT13_lli,"axG",@progbits,_ZN12_GLOBAL__N_127rocblas_gemm_batched_kernelIDF16_Li16ELi16ELi64ELi64ELi4ELi64ELi4ELi4ELi64ELc67ELc84EKDF16_S1_DF16_EEvlllT_PT11_llS4_llS2_PT12_llPT13_lli,comdat
.Lfunc_end8:
	.size	_ZN12_GLOBAL__N_127rocblas_gemm_batched_kernelIDF16_Li16ELi16ELi64ELi64ELi4ELi64ELi4ELi4ELi64ELc67ELc84EKDF16_S1_DF16_EEvlllT_PT11_llS4_llS2_PT12_llPT13_lli, .Lfunc_end8-_ZN12_GLOBAL__N_127rocblas_gemm_batched_kernelIDF16_Li16ELi16ELi64ELi64ELi4ELi64ELi4ELi4ELi64ELc67ELc84EKDF16_S1_DF16_EEvlllT_PT11_llS4_llS2_PT12_llPT13_lli
                                        ; -- End function
	.set _ZN12_GLOBAL__N_127rocblas_gemm_batched_kernelIDF16_Li16ELi16ELi64ELi64ELi4ELi64ELi4ELi4ELi64ELc67ELc84EKDF16_S1_DF16_EEvlllT_PT11_llS4_llS2_PT12_llPT13_lli.num_vgpr, 46
	.set _ZN12_GLOBAL__N_127rocblas_gemm_batched_kernelIDF16_Li16ELi16ELi64ELi64ELi4ELi64ELi4ELi4ELi64ELc67ELc84EKDF16_S1_DF16_EEvlllT_PT11_llS4_llS2_PT12_llPT13_lli.num_agpr, 0
	.set _ZN12_GLOBAL__N_127rocblas_gemm_batched_kernelIDF16_Li16ELi16ELi64ELi64ELi4ELi64ELi4ELi4ELi64ELc67ELc84EKDF16_S1_DF16_EEvlllT_PT11_llS4_llS2_PT12_llPT13_lli.numbered_sgpr, 24
	.set _ZN12_GLOBAL__N_127rocblas_gemm_batched_kernelIDF16_Li16ELi16ELi64ELi64ELi4ELi64ELi4ELi4ELi64ELc67ELc84EKDF16_S1_DF16_EEvlllT_PT11_llS4_llS2_PT12_llPT13_lli.num_named_barrier, 0
	.set _ZN12_GLOBAL__N_127rocblas_gemm_batched_kernelIDF16_Li16ELi16ELi64ELi64ELi4ELi64ELi4ELi4ELi64ELc67ELc84EKDF16_S1_DF16_EEvlllT_PT11_llS4_llS2_PT12_llPT13_lli.private_seg_size, 0
	.set _ZN12_GLOBAL__N_127rocblas_gemm_batched_kernelIDF16_Li16ELi16ELi64ELi64ELi4ELi64ELi4ELi4ELi64ELc67ELc84EKDF16_S1_DF16_EEvlllT_PT11_llS4_llS2_PT12_llPT13_lli.uses_vcc, 1
	.set _ZN12_GLOBAL__N_127rocblas_gemm_batched_kernelIDF16_Li16ELi16ELi64ELi64ELi4ELi64ELi4ELi4ELi64ELc67ELc84EKDF16_S1_DF16_EEvlllT_PT11_llS4_llS2_PT12_llPT13_lli.uses_flat_scratch, 0
	.set _ZN12_GLOBAL__N_127rocblas_gemm_batched_kernelIDF16_Li16ELi16ELi64ELi64ELi4ELi64ELi4ELi4ELi64ELc67ELc84EKDF16_S1_DF16_EEvlllT_PT11_llS4_llS2_PT12_llPT13_lli.has_dyn_sized_stack, 0
	.set _ZN12_GLOBAL__N_127rocblas_gemm_batched_kernelIDF16_Li16ELi16ELi64ELi64ELi4ELi64ELi4ELi4ELi64ELc67ELc84EKDF16_S1_DF16_EEvlllT_PT11_llS4_llS2_PT12_llPT13_lli.has_recursion, 0
	.set _ZN12_GLOBAL__N_127rocblas_gemm_batched_kernelIDF16_Li16ELi16ELi64ELi64ELi4ELi64ELi4ELi4ELi64ELc67ELc84EKDF16_S1_DF16_EEvlllT_PT11_llS4_llS2_PT12_llPT13_lli.has_indirect_call, 0
	.section	.AMDGPU.csdata,"",@progbits
; Kernel info:
; codeLenInByte = 2204
; TotalNumSgprs: 30
; NumVgprs: 46
; NumAgprs: 0
; TotalNumVgprs: 46
; ScratchSize: 0
; MemoryBound: 0
; FloatMode: 240
; IeeeMode: 1
; LDSByteSize: 1024 bytes/workgroup (compile time only)
; SGPRBlocks: 3
; VGPRBlocks: 5
; NumSGPRsForWavesPerEU: 30
; NumVGPRsForWavesPerEU: 46
; AccumOffset: 48
; Occupancy: 8
; WaveLimiterHint : 0
; COMPUTE_PGM_RSRC2:SCRATCH_EN: 0
; COMPUTE_PGM_RSRC2:USER_SGPR: 2
; COMPUTE_PGM_RSRC2:TRAP_HANDLER: 0
; COMPUTE_PGM_RSRC2:TGID_X_EN: 1
; COMPUTE_PGM_RSRC2:TGID_Y_EN: 1
; COMPUTE_PGM_RSRC2:TGID_Z_EN: 1
; COMPUTE_PGM_RSRC2:TIDIG_COMP_CNT: 1
; COMPUTE_PGM_RSRC3_GFX90A:ACCUM_OFFSET: 11
; COMPUTE_PGM_RSRC3_GFX90A:TG_SPLIT: 0
	.section	.text._ZN12_GLOBAL__N_127rocblas_gemm_batched_kernelIDF16_Li16ELi16ELi64ELi64ELi4ELi64ELi4ELi4ELi64ELc78ELc67EKDF16_S1_DF16_EEvlllT_PT11_llS4_llS2_PT12_llPT13_lli,"axG",@progbits,_ZN12_GLOBAL__N_127rocblas_gemm_batched_kernelIDF16_Li16ELi16ELi64ELi64ELi4ELi64ELi4ELi4ELi64ELc78ELc67EKDF16_S1_DF16_EEvlllT_PT11_llS4_llS2_PT12_llPT13_lli,comdat
	.globl	_ZN12_GLOBAL__N_127rocblas_gemm_batched_kernelIDF16_Li16ELi16ELi64ELi64ELi4ELi64ELi4ELi4ELi64ELc78ELc67EKDF16_S1_DF16_EEvlllT_PT11_llS4_llS2_PT12_llPT13_lli ; -- Begin function _ZN12_GLOBAL__N_127rocblas_gemm_batched_kernelIDF16_Li16ELi16ELi64ELi64ELi4ELi64ELi4ELi4ELi64ELc78ELc67EKDF16_S1_DF16_EEvlllT_PT11_llS4_llS2_PT12_llPT13_lli
	.p2align	8
	.type	_ZN12_GLOBAL__N_127rocblas_gemm_batched_kernelIDF16_Li16ELi16ELi64ELi64ELi4ELi64ELi4ELi4ELi64ELc78ELc67EKDF16_S1_DF16_EEvlllT_PT11_llS4_llS2_PT12_llPT13_lli,@function
_ZN12_GLOBAL__N_127rocblas_gemm_batched_kernelIDF16_Li16ELi16ELi64ELi64ELi4ELi64ELi4ELi4ELi64ELc78ELc67EKDF16_S1_DF16_EEvlllT_PT11_llS4_llS2_PT12_llPT13_lli: ; @_ZN12_GLOBAL__N_127rocblas_gemm_batched_kernelIDF16_Li16ELi16ELi64ELi64ELi4ELi64ELi4ELi4ELi64ELc78ELc67EKDF16_S1_DF16_EEvlllT_PT11_llS4_llS2_PT12_llPT13_lli
; %bb.0:
	s_load_dwordx2 s[16:17], s[0:1], 0x10
	s_mov_b32 s6, s3
	v_mov_b32_e32 v3, 0
	s_ashr_i32 s3, s2, 31
	s_ashr_i32 s7, s6, 31
	s_waitcnt lgkmcnt(0)
	v_cmp_lt_i64_e64 s[8:9], s[16:17], 1
	v_bfe_u32 v2, v0, 10, 10
	v_and_b32_e32 v0, 0x3ff, v0
	v_mov_b32_e32 v1, v3
	s_lshl_b64 s[2:3], s[2:3], 6
	s_lshl_b64 s[6:7], s[6:7], 6
	s_and_b64 vcc, exec, s[8:9]
	s_cbranch_vccnz .LBB9_3
; %bb.1:
	s_load_dwordx8 s[8:15], s[0:1], 0x20
	s_load_dwordx4 s[20:23], s[0:1], 0x40
	v_lshl_add_u32 v8, v2, 4, v0
	v_and_b32_e32 v6, 63, v8
	v_lshrrev_b32_e32 v4, 2, v8
	v_and_b32_e32 v9, 3, v0
	v_lshrrev_b32_e32 v11, 6, v8
	v_lshlrev_b32_e32 v8, 1, v6
	v_lshl_or_b32 v18, v11, 7, v8
	v_lshlrev_b32_e32 v8, 1, v9
	v_mov_b32_e32 v5, v3
	v_lshl_or_b32 v8, v4, 3, v8
	s_waitcnt lgkmcnt(0)
	s_mul_i32 s5, s23, s4
	s_mul_hi_u32 s18, s22, s4
	v_add_u32_e32 v19, 0x200, v8
	v_mov_b32_e32 v8, 0x200
	s_add_i32 s19, s18, s5
	s_mul_i32 s18, s22, s4
	v_mad_u64_u32 v[4:5], s[22:23], s20, v9, v[4:5]
	v_lshl_add_u32 v21, v2, 3, v8
	v_mov_b32_e32 v8, v5
	s_lshl_b64 s[18:19], s[18:19], 1
	v_mad_u64_u32 v[8:9], s[22:23], s21, v9, v[8:9]
	v_mov_b32_e32 v5, v8
	s_add_u32 s14, s14, s18
	v_mov_b64_e32 v[8:9], s[2:3]
	s_addc_u32 s15, s15, s19
	s_mul_i32 s5, s13, s4
	s_mul_hi_u32 s13, s12, s4
	v_mad_u64_u32 v[8:9], s[18:19], s10, v11, v[8:9]
	v_lshl_add_u64 v[4:5], v[4:5], 0, s[6:7]
	s_add_i32 s13, s13, s5
	s_mul_i32 s12, s12, s4
	v_mov_b32_e32 v10, v9
	v_lshl_add_u64 v[4:5], v[4:5], 1, s[14:15]
	s_lshl_b64 s[14:15], s[20:21], 3
	s_lshl_b64 s[12:13], s[12:13], 1
	v_mad_u64_u32 v[10:11], s[18:19], s11, v11, v[10:11]
	v_mov_b32_e32 v7, v3
	v_mov_b32_e32 v9, v10
	s_add_u32 s8, s8, s12
	v_lshl_add_u64 v[6:7], v[8:9], 0, v[6:7]
	s_addc_u32 s9, s9, s13
	v_lshlrev_b32_e32 v20, 1, v0
	v_lshl_add_u64 v[6:7], v[6:7], 1, s[8:9]
	s_lshl_b64 s[8:9], s[10:11], 3
	s_mov_b64 s[10:11], 0
	s_mov_b32 s5, 0x5040100
	v_mov_b64_e32 v[8:9], s[16:17]
	v_mov_b32_e32 v10, v3
	v_mov_b32_e32 v11, v3
	;; [unrolled: 1-line block ×8, first 2 shown]
.LBB9_2:                                ; =>This Inner Loop Header: Depth=1
	global_load_ushort v22, v[6:7], off
	global_load_ushort v23, v[4:5], off
	s_add_u32 s10, s10, 4
	s_addc_u32 s11, s11, 0
	v_cmp_lt_i64_e32 vcc, s[10:11], v[8:9]
	v_lshl_add_u64 v[4:5], v[4:5], 0, s[14:15]
	v_lshl_add_u64 v[6:7], v[6:7], 0, s[8:9]
	s_and_b64 vcc, exec, vcc
	s_waitcnt vmcnt(1)
	ds_write_b16 v18, v22
	s_waitcnt vmcnt(0)
	ds_write_b16 v19, v23
	s_waitcnt lgkmcnt(0)
	s_barrier
	ds_read2_b64 v[22:25], v21 offset1:16
	ds_read2_b64 v[26:29], v21 offset0:32 offset1:48
	ds_read_u16 v30, v20
	ds_read_u16 v31, v20 offset:32
	ds_read_u16 v32, v20 offset:64
	;; [unrolled: 1-line block ×15, first 2 shown]
	s_waitcnt lgkmcnt(14)
	v_perm_b32 v30, v30, v31, s5
	s_waitcnt lgkmcnt(12)
	v_perm_b32 v32, v32, v33, s5
	;; [unrolled: 2-line block ×4, first 2 shown]
	v_pk_fma_f16 v17, v30, v22, v17 op_sel_hi:[1,0,1]
	v_pk_fma_f16 v16, v32, v22, v16 op_sel_hi:[1,0,1]
	;; [unrolled: 1-line block ×8, first 2 shown]
	s_waitcnt lgkmcnt(6)
	v_perm_b32 v34, v38, v39, s5
	s_waitcnt lgkmcnt(4)
	v_perm_b32 v36, v40, v41, s5
	v_pk_fma_f16 v17, v31, v22, v17 op_sel:[0,1,0]
	v_pk_fma_f16 v16, v33, v22, v16 op_sel:[0,1,0]
	;; [unrolled: 1-line block ×8, first 2 shown]
	s_waitcnt lgkmcnt(2)
	v_perm_b32 v35, v42, v43, s5
	s_waitcnt lgkmcnt(0)
	v_perm_b32 v37, v44, v45, s5
	v_pk_fma_f16 v17, v34, v23, v17 op_sel_hi:[1,0,1]
	v_pk_fma_f16 v16, v36, v23, v16 op_sel_hi:[1,0,1]
	;; [unrolled: 1-line block ×8, first 2 shown]
	v_pk_fma_f16 v17, v35, v23, v17 op_sel:[0,1,0]
	v_pk_fma_f16 v16, v37, v23, v16 op_sel:[0,1,0]
	;; [unrolled: 1-line block ×8, first 2 shown]
	s_barrier
	s_cbranch_vccnz .LBB9_2
	s_branch .LBB9_4
.LBB9_3:
	v_mov_b32_e32 v17, v3
	v_mov_b32_e32 v16, v3
	;; [unrolled: 1-line block ×8, first 2 shown]
.LBB9_4:
	s_load_dwordx4 s[16:19], s[0:1], 0x78
	s_load_dword s5, s[0:1], 0x18
	s_load_dword s20, s[0:1], 0x50
	s_load_dwordx8 s[8:15], s[0:1], 0x58
	v_lshl_add_u64 v[2:3], s[6:7], 0, v[2:3]
	s_waitcnt lgkmcnt(0)
	s_mul_i32 s0, s19, s4
	s_mul_hi_u32 s1, s18, s4
	s_add_i32 s1, s1, s0
	s_mul_i32 s0, s18, s4
	s_lshl_b64 s[0:1], s[0:1], 1
	s_add_u32 s0, s14, s0
	v_cmp_neq_f16_e64 s[6:7], s20, 0
	v_lshl_add_u64 v[0:1], s[2:3], 0, v[0:1]
	s_addc_u32 s1, s15, s1
	s_and_b64 vcc, exec, s[6:7]
	v_mul_lo_u32 v20, v3, s16
	v_mul_lo_u32 v21, v2, s17
	v_lshrrev_b32_e32 v19, 16, v17
	v_lshlrev_b64 v[0:1], 1, v[0:1]
	v_lshrrev_b32_e32 v18, 16, v16
	v_lshrrev_b32_e32 v9, 16, v15
	;; [unrolled: 1-line block ×7, first 2 shown]
	s_cbranch_vccnz .LBB9_8
; %bb.5:
	v_mad_u64_u32 v[22:23], s[2:3], v2, s16, 0
	v_add3_u32 v23, v23, v21, v20
	v_lshl_add_u64 v[22:23], v[22:23], 1, s[0:1]
	v_mul_f16_sdwa v26, s5, v17 dst_sel:DWORD dst_unused:UNUSED_PAD src0_sel:DWORD src1_sel:WORD_1
	v_lshl_add_u64 v[24:25], v[22:23], 0, v[0:1]
	global_store_short v[24:25], v26, off
	v_mul_f16_e32 v26, s5, v17
	global_store_short v[24:25], v26, off offset:32
	v_mul_f16_sdwa v26, s5, v16 dst_sel:DWORD dst_unused:UNUSED_PAD src0_sel:DWORD src1_sel:WORD_1
	s_lshl_b64 s[2:3], s[16:17], 5
	global_store_short v[24:25], v26, off offset:64
	v_mul_f16_e32 v26, s5, v16
	v_lshl_add_u64 v[22:23], v[22:23], 0, s[2:3]
	global_store_short v[24:25], v26, off offset:96
	v_mul_f16_sdwa v26, s5, v15 dst_sel:DWORD dst_unused:UNUSED_PAD src0_sel:DWORD src1_sel:WORD_1
	v_lshl_add_u64 v[24:25], v[22:23], 0, v[0:1]
	global_store_short v[24:25], v26, off
	v_mul_f16_e32 v26, s5, v15
	global_store_short v[24:25], v26, off offset:32
	v_mul_f16_sdwa v26, s5, v14 dst_sel:DWORD dst_unused:UNUSED_PAD src0_sel:DWORD src1_sel:WORD_1
	global_store_short v[24:25], v26, off offset:64
	v_mul_f16_e32 v26, s5, v14
	v_lshl_add_u64 v[22:23], v[22:23], 0, s[2:3]
	global_store_short v[24:25], v26, off offset:96
	v_mul_f16_sdwa v26, s5, v13 dst_sel:DWORD dst_unused:UNUSED_PAD src0_sel:DWORD src1_sel:WORD_1
	v_lshl_add_u64 v[24:25], v[22:23], 0, v[0:1]
	global_store_short v[24:25], v26, off
	v_mul_f16_e32 v26, s5, v13
	global_store_short v[24:25], v26, off offset:32
	v_mul_f16_sdwa v26, s5, v12 dst_sel:DWORD dst_unused:UNUSED_PAD src0_sel:DWORD src1_sel:WORD_1
	;; [unrolled: 10-line block ×3, first 2 shown]
	global_store_short v[22:23], v24, off offset:64
	v_mul_f16_e32 v24, s5, v10
	global_store_short v[22:23], v24, off offset:96
	s_cbranch_execnz .LBB9_7
.LBB9_6:
	s_mul_i32 s2, s13, s4
	s_mul_hi_u32 s3, s12, s4
	s_add_i32 s3, s3, s2
	s_mul_i32 s2, s12, s4
	s_lshl_b64 s[2:3], s[2:3], 1
	s_add_u32 s2, s8, s2
	v_mul_lo_u32 v3, v3, s10
	v_mul_lo_u32 v24, v2, s11
	v_mad_u64_u32 v[22:23], s[6:7], v2, s10, 0
	s_addc_u32 s3, s9, s3
	v_add3_u32 v23, v23, v24, v3
	v_lshl_add_u64 v[22:23], v[22:23], 1, s[2:3]
	v_lshl_add_u64 v[24:25], v[22:23], 0, v[0:1]
	global_load_ushort v26, v[24:25], off
	v_mad_u64_u32 v[2:3], s[2:3], v2, s16, 0
	v_add3_u32 v3, v3, v21, v20
	v_lshl_add_u64 v[2:3], v[2:3], 1, s[0:1]
	v_lshl_add_u64 v[20:21], v[2:3], 0, v[0:1]
	s_lshl_b64 s[0:1], s[10:11], 5
	s_lshl_b64 s[2:3], s[16:17], 5
	v_lshl_add_u64 v[2:3], v[2:3], 0, s[2:3]
	s_waitcnt vmcnt(0)
	v_mul_f16_e32 v26, s20, v26
	v_fma_f16 v19, s5, v19, v26
	global_store_short v[20:21], v19, off
	global_load_ushort v19, v[24:25], off offset:32
	s_waitcnt vmcnt(0)
	v_mul_f16_e32 v19, s20, v19
	v_fma_f16 v17, s5, v17, v19
	global_store_short v[20:21], v17, off offset:32
	global_load_ushort v17, v[24:25], off offset:64
	s_waitcnt vmcnt(0)
	v_mul_f16_e32 v17, s20, v17
	v_fma_f16 v17, s5, v18, v17
	global_store_short v[20:21], v17, off offset:64
	global_load_ushort v17, v[24:25], off offset:96
	v_lshl_add_u64 v[18:19], v[22:23], 0, s[0:1]
	v_lshl_add_u64 v[22:23], v[18:19], 0, v[0:1]
	s_waitcnt vmcnt(0)
	v_mul_f16_e32 v17, s20, v17
	v_fma_f16 v16, s5, v16, v17
	global_store_short v[20:21], v16, off offset:96
	global_load_ushort v20, v[22:23], off
	v_lshl_add_u64 v[16:17], v[2:3], 0, v[0:1]
	v_lshl_add_u64 v[2:3], v[2:3], 0, s[2:3]
	s_waitcnt vmcnt(0)
	v_mul_f16_e32 v20, s20, v20
	v_fma_f16 v9, s5, v9, v20
	global_store_short v[16:17], v9, off
	global_load_ushort v9, v[22:23], off offset:32
	s_waitcnt vmcnt(0)
	v_mul_f16_e32 v9, s20, v9
	v_fma_f16 v9, s5, v15, v9
	global_store_short v[16:17], v9, off offset:32
	global_load_ushort v9, v[22:23], off offset:64
	s_waitcnt vmcnt(0)
	v_mul_f16_e32 v9, s20, v9
	v_fma_f16 v8, s5, v8, v9
	global_store_short v[16:17], v8, off offset:64
	global_load_ushort v15, v[22:23], off offset:96
	v_lshl_add_u64 v[8:9], v[18:19], 0, s[0:1]
	v_lshl_add_u64 v[18:19], v[8:9], 0, v[0:1]
	s_waitcnt vmcnt(0)
	v_mul_f16_e32 v15, s20, v15
	v_fma_f16 v14, s5, v14, v15
	global_store_short v[16:17], v14, off offset:96
	global_load_ushort v16, v[18:19], off
	v_lshl_add_u64 v[14:15], v[2:3], 0, v[0:1]
	v_lshl_add_u64 v[2:3], v[2:3], 0, s[2:3]
	s_waitcnt vmcnt(0)
	v_mul_f16_e32 v16, s20, v16
	v_fma_f16 v7, s5, v7, v16
	global_store_short v[14:15], v7, off
	global_load_ushort v7, v[18:19], off offset:32
	s_waitcnt vmcnt(0)
	v_mul_f16_e32 v7, s20, v7
	v_fma_f16 v7, s5, v13, v7
	global_store_short v[14:15], v7, off offset:32
	global_load_ushort v7, v[18:19], off offset:64
	s_waitcnt vmcnt(0)
	v_mul_f16_e32 v7, s20, v7
	v_fma_f16 v6, s5, v6, v7
	global_store_short v[14:15], v6, off offset:64
	global_load_ushort v13, v[18:19], off offset:96
	v_lshl_add_u64 v[6:7], v[8:9], 0, s[0:1]
	v_lshl_add_u64 v[6:7], v[6:7], 0, v[0:1]
	;; [unrolled: 1-line block ×3, first 2 shown]
	s_waitcnt vmcnt(0)
	v_mul_f16_e32 v8, s20, v13
	v_fma_f16 v8, s5, v12, v8
	global_store_short v[14:15], v8, off offset:96
	global_load_ushort v8, v[6:7], off
	s_waitcnt vmcnt(0)
	v_mul_f16_e32 v8, s20, v8
	v_fma_f16 v5, s5, v5, v8
	global_store_short v[0:1], v5, off
	global_load_ushort v2, v[6:7], off offset:32
	s_waitcnt vmcnt(0)
	v_mul_f16_e32 v2, s20, v2
	v_fma_f16 v2, s5, v11, v2
	global_store_short v[0:1], v2, off offset:32
	global_load_ushort v2, v[6:7], off offset:64
	s_waitcnt vmcnt(0)
	v_mul_f16_e32 v2, s20, v2
	v_fma_f16 v2, s5, v4, v2
	global_store_short v[0:1], v2, off offset:64
	;; [unrolled: 5-line block ×3, first 2 shown]
.LBB9_7:
	s_endpgm
.LBB9_8:
	s_branch .LBB9_6
	.section	.rodata,"a",@progbits
	.p2align	6, 0x0
	.amdhsa_kernel _ZN12_GLOBAL__N_127rocblas_gemm_batched_kernelIDF16_Li16ELi16ELi64ELi64ELi4ELi64ELi4ELi4ELi64ELc78ELc67EKDF16_S1_DF16_EEvlllT_PT11_llS4_llS2_PT12_llPT13_lli
		.amdhsa_group_segment_fixed_size 1024
		.amdhsa_private_segment_fixed_size 0
		.amdhsa_kernarg_size 140
		.amdhsa_user_sgpr_count 2
		.amdhsa_user_sgpr_dispatch_ptr 0
		.amdhsa_user_sgpr_queue_ptr 0
		.amdhsa_user_sgpr_kernarg_segment_ptr 1
		.amdhsa_user_sgpr_dispatch_id 0
		.amdhsa_user_sgpr_kernarg_preload_length 0
		.amdhsa_user_sgpr_kernarg_preload_offset 0
		.amdhsa_user_sgpr_private_segment_size 0
		.amdhsa_uses_dynamic_stack 0
		.amdhsa_enable_private_segment 0
		.amdhsa_system_sgpr_workgroup_id_x 1
		.amdhsa_system_sgpr_workgroup_id_y 1
		.amdhsa_system_sgpr_workgroup_id_z 1
		.amdhsa_system_sgpr_workgroup_info 0
		.amdhsa_system_vgpr_workitem_id 1
		.amdhsa_next_free_vgpr 46
		.amdhsa_next_free_sgpr 24
		.amdhsa_accum_offset 48
		.amdhsa_reserve_vcc 1
		.amdhsa_float_round_mode_32 0
		.amdhsa_float_round_mode_16_64 0
		.amdhsa_float_denorm_mode_32 3
		.amdhsa_float_denorm_mode_16_64 3
		.amdhsa_dx10_clamp 1
		.amdhsa_ieee_mode 1
		.amdhsa_fp16_overflow 0
		.amdhsa_tg_split 0
		.amdhsa_exception_fp_ieee_invalid_op 0
		.amdhsa_exception_fp_denorm_src 0
		.amdhsa_exception_fp_ieee_div_zero 0
		.amdhsa_exception_fp_ieee_overflow 0
		.amdhsa_exception_fp_ieee_underflow 0
		.amdhsa_exception_fp_ieee_inexact 0
		.amdhsa_exception_int_div_zero 0
	.end_amdhsa_kernel
	.section	.text._ZN12_GLOBAL__N_127rocblas_gemm_batched_kernelIDF16_Li16ELi16ELi64ELi64ELi4ELi64ELi4ELi4ELi64ELc78ELc67EKDF16_S1_DF16_EEvlllT_PT11_llS4_llS2_PT12_llPT13_lli,"axG",@progbits,_ZN12_GLOBAL__N_127rocblas_gemm_batched_kernelIDF16_Li16ELi16ELi64ELi64ELi4ELi64ELi4ELi4ELi64ELc78ELc67EKDF16_S1_DF16_EEvlllT_PT11_llS4_llS2_PT12_llPT13_lli,comdat
.Lfunc_end9:
	.size	_ZN12_GLOBAL__N_127rocblas_gemm_batched_kernelIDF16_Li16ELi16ELi64ELi64ELi4ELi64ELi4ELi4ELi64ELc78ELc67EKDF16_S1_DF16_EEvlllT_PT11_llS4_llS2_PT12_llPT13_lli, .Lfunc_end9-_ZN12_GLOBAL__N_127rocblas_gemm_batched_kernelIDF16_Li16ELi16ELi64ELi64ELi4ELi64ELi4ELi4ELi64ELc78ELc67EKDF16_S1_DF16_EEvlllT_PT11_llS4_llS2_PT12_llPT13_lli
                                        ; -- End function
	.set _ZN12_GLOBAL__N_127rocblas_gemm_batched_kernelIDF16_Li16ELi16ELi64ELi64ELi4ELi64ELi4ELi4ELi64ELc78ELc67EKDF16_S1_DF16_EEvlllT_PT11_llS4_llS2_PT12_llPT13_lli.num_vgpr, 46
	.set _ZN12_GLOBAL__N_127rocblas_gemm_batched_kernelIDF16_Li16ELi16ELi64ELi64ELi4ELi64ELi4ELi4ELi64ELc78ELc67EKDF16_S1_DF16_EEvlllT_PT11_llS4_llS2_PT12_llPT13_lli.num_agpr, 0
	.set _ZN12_GLOBAL__N_127rocblas_gemm_batched_kernelIDF16_Li16ELi16ELi64ELi64ELi4ELi64ELi4ELi4ELi64ELc78ELc67EKDF16_S1_DF16_EEvlllT_PT11_llS4_llS2_PT12_llPT13_lli.numbered_sgpr, 24
	.set _ZN12_GLOBAL__N_127rocblas_gemm_batched_kernelIDF16_Li16ELi16ELi64ELi64ELi4ELi64ELi4ELi4ELi64ELc78ELc67EKDF16_S1_DF16_EEvlllT_PT11_llS4_llS2_PT12_llPT13_lli.num_named_barrier, 0
	.set _ZN12_GLOBAL__N_127rocblas_gemm_batched_kernelIDF16_Li16ELi16ELi64ELi64ELi4ELi64ELi4ELi4ELi64ELc78ELc67EKDF16_S1_DF16_EEvlllT_PT11_llS4_llS2_PT12_llPT13_lli.private_seg_size, 0
	.set _ZN12_GLOBAL__N_127rocblas_gemm_batched_kernelIDF16_Li16ELi16ELi64ELi64ELi4ELi64ELi4ELi4ELi64ELc78ELc67EKDF16_S1_DF16_EEvlllT_PT11_llS4_llS2_PT12_llPT13_lli.uses_vcc, 1
	.set _ZN12_GLOBAL__N_127rocblas_gemm_batched_kernelIDF16_Li16ELi16ELi64ELi64ELi4ELi64ELi4ELi4ELi64ELc78ELc67EKDF16_S1_DF16_EEvlllT_PT11_llS4_llS2_PT12_llPT13_lli.uses_flat_scratch, 0
	.set _ZN12_GLOBAL__N_127rocblas_gemm_batched_kernelIDF16_Li16ELi16ELi64ELi64ELi4ELi64ELi4ELi4ELi64ELc78ELc67EKDF16_S1_DF16_EEvlllT_PT11_llS4_llS2_PT12_llPT13_lli.has_dyn_sized_stack, 0
	.set _ZN12_GLOBAL__N_127rocblas_gemm_batched_kernelIDF16_Li16ELi16ELi64ELi64ELi4ELi64ELi4ELi4ELi64ELc78ELc67EKDF16_S1_DF16_EEvlllT_PT11_llS4_llS2_PT12_llPT13_lli.has_recursion, 0
	.set _ZN12_GLOBAL__N_127rocblas_gemm_batched_kernelIDF16_Li16ELi16ELi64ELi64ELi4ELi64ELi4ELi4ELi64ELc78ELc67EKDF16_S1_DF16_EEvlllT_PT11_llS4_llS2_PT12_llPT13_lli.has_indirect_call, 0
	.section	.AMDGPU.csdata,"",@progbits
; Kernel info:
; codeLenInByte = 2188
; TotalNumSgprs: 30
; NumVgprs: 46
; NumAgprs: 0
; TotalNumVgprs: 46
; ScratchSize: 0
; MemoryBound: 0
; FloatMode: 240
; IeeeMode: 1
; LDSByteSize: 1024 bytes/workgroup (compile time only)
; SGPRBlocks: 3
; VGPRBlocks: 5
; NumSGPRsForWavesPerEU: 30
; NumVGPRsForWavesPerEU: 46
; AccumOffset: 48
; Occupancy: 8
; WaveLimiterHint : 0
; COMPUTE_PGM_RSRC2:SCRATCH_EN: 0
; COMPUTE_PGM_RSRC2:USER_SGPR: 2
; COMPUTE_PGM_RSRC2:TRAP_HANDLER: 0
; COMPUTE_PGM_RSRC2:TGID_X_EN: 1
; COMPUTE_PGM_RSRC2:TGID_Y_EN: 1
; COMPUTE_PGM_RSRC2:TGID_Z_EN: 1
; COMPUTE_PGM_RSRC2:TIDIG_COMP_CNT: 1
; COMPUTE_PGM_RSRC3_GFX90A:ACCUM_OFFSET: 11
; COMPUTE_PGM_RSRC3_GFX90A:TG_SPLIT: 0
	.section	.text._ZN12_GLOBAL__N_127rocblas_gemm_batched_kernelIDF16_Li16ELi16ELi64ELi64ELi4ELi64ELi4ELi4ELi64ELc84ELc67EKDF16_S1_DF16_EEvlllT_PT11_llS4_llS2_PT12_llPT13_lli,"axG",@progbits,_ZN12_GLOBAL__N_127rocblas_gemm_batched_kernelIDF16_Li16ELi16ELi64ELi64ELi4ELi64ELi4ELi4ELi64ELc84ELc67EKDF16_S1_DF16_EEvlllT_PT11_llS4_llS2_PT12_llPT13_lli,comdat
	.globl	_ZN12_GLOBAL__N_127rocblas_gemm_batched_kernelIDF16_Li16ELi16ELi64ELi64ELi4ELi64ELi4ELi4ELi64ELc84ELc67EKDF16_S1_DF16_EEvlllT_PT11_llS4_llS2_PT12_llPT13_lli ; -- Begin function _ZN12_GLOBAL__N_127rocblas_gemm_batched_kernelIDF16_Li16ELi16ELi64ELi64ELi4ELi64ELi4ELi4ELi64ELc84ELc67EKDF16_S1_DF16_EEvlllT_PT11_llS4_llS2_PT12_llPT13_lli
	.p2align	8
	.type	_ZN12_GLOBAL__N_127rocblas_gemm_batched_kernelIDF16_Li16ELi16ELi64ELi64ELi4ELi64ELi4ELi4ELi64ELc84ELc67EKDF16_S1_DF16_EEvlllT_PT11_llS4_llS2_PT12_llPT13_lli,@function
_ZN12_GLOBAL__N_127rocblas_gemm_batched_kernelIDF16_Li16ELi16ELi64ELi64ELi4ELi64ELi4ELi4ELi64ELc84ELc67EKDF16_S1_DF16_EEvlllT_PT11_llS4_llS2_PT12_llPT13_lli: ; @_ZN12_GLOBAL__N_127rocblas_gemm_batched_kernelIDF16_Li16ELi16ELi64ELi64ELi4ELi64ELi4ELi4ELi64ELc84ELc67EKDF16_S1_DF16_EEvlllT_PT11_llS4_llS2_PT12_llPT13_lli
; %bb.0:
	s_load_dwordx2 s[16:17], s[0:1], 0x10
	s_mov_b32 s6, s3
	v_mov_b32_e32 v3, 0
	s_ashr_i32 s3, s2, 31
	s_ashr_i32 s7, s6, 31
	s_waitcnt lgkmcnt(0)
	v_cmp_lt_i64_e64 s[8:9], s[16:17], 1
	v_bfe_u32 v2, v0, 10, 10
	v_and_b32_e32 v0, 0x3ff, v0
	v_mov_b32_e32 v1, v3
	s_lshl_b64 s[2:3], s[2:3], 6
	s_lshl_b64 s[6:7], s[6:7], 6
	s_and_b64 vcc, exec, s[8:9]
	s_cbranch_vccnz .LBB10_3
; %bb.1:
	s_load_dwordx8 s[8:15], s[0:1], 0x20
	s_load_dwordx4 s[20:23], s[0:1], 0x40
	v_lshl_add_u32 v8, v2, 4, v0
	v_and_b32_e32 v6, 63, v8
	v_lshrrev_b32_e32 v4, 2, v8
	v_and_b32_e32 v9, 3, v0
	v_lshrrev_b32_e32 v10, 6, v8
	v_lshlrev_b32_e32 v8, 1, v6
	v_lshl_or_b32 v18, v10, 7, v8
	v_lshlrev_b32_e32 v8, 1, v9
	v_mov_b32_e32 v5, v3
	v_lshl_or_b32 v8, v4, 3, v8
	s_waitcnt lgkmcnt(0)
	s_mul_i32 s5, s23, s4
	s_mul_hi_u32 s18, s22, s4
	v_add_u32_e32 v19, 0x200, v8
	v_mov_b32_e32 v8, 0x200
	s_add_i32 s19, s18, s5
	s_mul_i32 s18, s22, s4
	v_mad_u64_u32 v[4:5], s[22:23], s20, v9, v[4:5]
	v_mov_b32_e32 v7, v3
	v_lshl_add_u32 v21, v2, 3, v8
	v_mov_b32_e32 v8, v5
	v_mad_u64_u32 v[8:9], s[22:23], s21, v9, v[8:9]
	v_lshl_add_u64 v[6:7], s[2:3], 0, v[6:7]
	s_lshl_b64 s[18:19], s[18:19], 1
	v_mov_b32_e32 v5, v8
	v_mul_lo_u32 v8, s11, v6
	v_mul_lo_u32 v9, s10, v7
	v_mad_u64_u32 v[6:7], s[10:11], s10, v6, 0
	s_add_u32 s14, s14, s18
	s_mul_i32 s5, s13, s4
	s_mul_hi_u32 s10, s12, s4
	s_addc_u32 s15, s15, s19
	s_add_i32 s11, s10, s5
	s_mul_i32 s10, s12, s4
	v_add3_u32 v7, v7, v9, v8
	s_lshl_b64 s[10:11], s[10:11], 1
	v_lshl_add_u64 v[6:7], v[6:7], 1, s[10:11]
	v_lshlrev_b32_e32 v8, 1, v10
	v_mov_b32_e32 v9, v3
	v_lshl_add_u64 v[4:5], v[4:5], 0, s[6:7]
	v_lshl_add_u64 v[6:7], v[6:7], 0, v[8:9]
	v_lshlrev_b32_e32 v20, 1, v0
	v_lshl_add_u64 v[4:5], v[4:5], 1, s[14:15]
	s_lshl_b64 s[14:15], s[20:21], 3
	v_lshl_add_u64 v[6:7], s[8:9], 0, v[6:7]
	s_mov_b64 s[8:9], 0
	s_mov_b32 s5, 0x5040100
	v_mov_b64_e32 v[8:9], s[16:17]
	v_mov_b32_e32 v10, v3
	v_mov_b32_e32 v11, v3
	v_mov_b32_e32 v12, v3
	v_mov_b32_e32 v13, v3
	v_mov_b32_e32 v14, v3
	v_mov_b32_e32 v15, v3
	v_mov_b32_e32 v16, v3
	v_mov_b32_e32 v17, v3
.LBB10_2:                               ; =>This Inner Loop Header: Depth=1
	global_load_ushort v22, v[6:7], off
	global_load_ushort v23, v[4:5], off
	s_add_u32 s8, s8, 4
	s_addc_u32 s9, s9, 0
	v_cmp_lt_i64_e32 vcc, s[8:9], v[8:9]
	v_lshl_add_u64 v[4:5], v[4:5], 0, s[14:15]
	v_lshl_add_u64 v[6:7], v[6:7], 0, 8
	s_and_b64 vcc, exec, vcc
	s_waitcnt vmcnt(1)
	ds_write_b16 v18, v22
	s_waitcnt vmcnt(0)
	ds_write_b16 v19, v23
	s_waitcnt lgkmcnt(0)
	s_barrier
	ds_read2_b64 v[22:25], v21 offset1:16
	ds_read2_b64 v[26:29], v21 offset0:32 offset1:48
	ds_read_u16 v30, v20
	ds_read_u16 v31, v20 offset:32
	ds_read_u16 v32, v20 offset:64
	;; [unrolled: 1-line block ×15, first 2 shown]
	s_waitcnt lgkmcnt(14)
	v_perm_b32 v30, v30, v31, s5
	s_waitcnt lgkmcnt(12)
	v_perm_b32 v32, v32, v33, s5
	s_waitcnt lgkmcnt(10)
	v_perm_b32 v31, v34, v35, s5
	s_waitcnt lgkmcnt(8)
	v_perm_b32 v33, v36, v37, s5
	v_pk_fma_f16 v17, v30, v22, v17 op_sel_hi:[1,0,1]
	v_pk_fma_f16 v16, v32, v22, v16 op_sel_hi:[1,0,1]
	v_pk_fma_f16 v15, v30, v24, v15 op_sel_hi:[1,0,1]
	v_pk_fma_f16 v14, v32, v24, v14 op_sel_hi:[1,0,1]
	v_pk_fma_f16 v13, v30, v26, v13 op_sel_hi:[1,0,1]
	v_pk_fma_f16 v12, v32, v26, v12 op_sel_hi:[1,0,1]
	v_pk_fma_f16 v11, v30, v28, v11 op_sel_hi:[1,0,1]
	v_pk_fma_f16 v10, v32, v28, v10 op_sel_hi:[1,0,1]
	s_waitcnt lgkmcnt(6)
	v_perm_b32 v34, v38, v39, s5
	s_waitcnt lgkmcnt(4)
	v_perm_b32 v36, v40, v41, s5
	v_pk_fma_f16 v17, v31, v22, v17 op_sel:[0,1,0]
	v_pk_fma_f16 v16, v33, v22, v16 op_sel:[0,1,0]
	;; [unrolled: 1-line block ×8, first 2 shown]
	s_waitcnt lgkmcnt(2)
	v_perm_b32 v35, v42, v43, s5
	s_waitcnt lgkmcnt(0)
	v_perm_b32 v37, v44, v45, s5
	v_pk_fma_f16 v17, v34, v23, v17 op_sel_hi:[1,0,1]
	v_pk_fma_f16 v16, v36, v23, v16 op_sel_hi:[1,0,1]
	;; [unrolled: 1-line block ×8, first 2 shown]
	v_pk_fma_f16 v17, v35, v23, v17 op_sel:[0,1,0]
	v_pk_fma_f16 v16, v37, v23, v16 op_sel:[0,1,0]
	;; [unrolled: 1-line block ×8, first 2 shown]
	s_barrier
	s_cbranch_vccnz .LBB10_2
	s_branch .LBB10_4
.LBB10_3:
	v_mov_b32_e32 v17, v3
	v_mov_b32_e32 v16, v3
	;; [unrolled: 1-line block ×8, first 2 shown]
.LBB10_4:
	s_load_dwordx4 s[16:19], s[0:1], 0x78
	s_load_dword s5, s[0:1], 0x18
	s_load_dword s20, s[0:1], 0x50
	s_load_dwordx8 s[8:15], s[0:1], 0x58
	v_lshl_add_u64 v[2:3], s[6:7], 0, v[2:3]
	s_waitcnt lgkmcnt(0)
	s_mul_i32 s0, s19, s4
	s_mul_hi_u32 s1, s18, s4
	s_add_i32 s1, s1, s0
	s_mul_i32 s0, s18, s4
	s_lshl_b64 s[0:1], s[0:1], 1
	s_add_u32 s0, s14, s0
	v_cmp_neq_f16_e64 s[6:7], s20, 0
	v_lshl_add_u64 v[0:1], s[2:3], 0, v[0:1]
	s_addc_u32 s1, s15, s1
	s_and_b64 vcc, exec, s[6:7]
	v_mul_lo_u32 v20, v3, s16
	v_mul_lo_u32 v21, v2, s17
	v_lshrrev_b32_e32 v19, 16, v17
	v_lshlrev_b64 v[0:1], 1, v[0:1]
	v_lshrrev_b32_e32 v18, 16, v16
	v_lshrrev_b32_e32 v9, 16, v15
	;; [unrolled: 1-line block ×7, first 2 shown]
	s_cbranch_vccnz .LBB10_8
; %bb.5:
	v_mad_u64_u32 v[22:23], s[2:3], v2, s16, 0
	v_add3_u32 v23, v23, v21, v20
	v_lshl_add_u64 v[22:23], v[22:23], 1, s[0:1]
	v_mul_f16_sdwa v26, s5, v17 dst_sel:DWORD dst_unused:UNUSED_PAD src0_sel:DWORD src1_sel:WORD_1
	v_lshl_add_u64 v[24:25], v[22:23], 0, v[0:1]
	global_store_short v[24:25], v26, off
	v_mul_f16_e32 v26, s5, v17
	global_store_short v[24:25], v26, off offset:32
	v_mul_f16_sdwa v26, s5, v16 dst_sel:DWORD dst_unused:UNUSED_PAD src0_sel:DWORD src1_sel:WORD_1
	s_lshl_b64 s[2:3], s[16:17], 5
	global_store_short v[24:25], v26, off offset:64
	v_mul_f16_e32 v26, s5, v16
	v_lshl_add_u64 v[22:23], v[22:23], 0, s[2:3]
	global_store_short v[24:25], v26, off offset:96
	v_mul_f16_sdwa v26, s5, v15 dst_sel:DWORD dst_unused:UNUSED_PAD src0_sel:DWORD src1_sel:WORD_1
	v_lshl_add_u64 v[24:25], v[22:23], 0, v[0:1]
	global_store_short v[24:25], v26, off
	v_mul_f16_e32 v26, s5, v15
	global_store_short v[24:25], v26, off offset:32
	v_mul_f16_sdwa v26, s5, v14 dst_sel:DWORD dst_unused:UNUSED_PAD src0_sel:DWORD src1_sel:WORD_1
	global_store_short v[24:25], v26, off offset:64
	v_mul_f16_e32 v26, s5, v14
	v_lshl_add_u64 v[22:23], v[22:23], 0, s[2:3]
	global_store_short v[24:25], v26, off offset:96
	v_mul_f16_sdwa v26, s5, v13 dst_sel:DWORD dst_unused:UNUSED_PAD src0_sel:DWORD src1_sel:WORD_1
	v_lshl_add_u64 v[24:25], v[22:23], 0, v[0:1]
	global_store_short v[24:25], v26, off
	v_mul_f16_e32 v26, s5, v13
	global_store_short v[24:25], v26, off offset:32
	v_mul_f16_sdwa v26, s5, v12 dst_sel:DWORD dst_unused:UNUSED_PAD src0_sel:DWORD src1_sel:WORD_1
	;; [unrolled: 10-line block ×3, first 2 shown]
	global_store_short v[22:23], v24, off offset:64
	v_mul_f16_e32 v24, s5, v10
	global_store_short v[22:23], v24, off offset:96
	s_cbranch_execnz .LBB10_7
.LBB10_6:
	s_mul_i32 s2, s13, s4
	s_mul_hi_u32 s3, s12, s4
	s_add_i32 s3, s3, s2
	s_mul_i32 s2, s12, s4
	s_lshl_b64 s[2:3], s[2:3], 1
	s_add_u32 s2, s8, s2
	v_mul_lo_u32 v3, v3, s10
	v_mul_lo_u32 v24, v2, s11
	v_mad_u64_u32 v[22:23], s[6:7], v2, s10, 0
	s_addc_u32 s3, s9, s3
	v_add3_u32 v23, v23, v24, v3
	v_lshl_add_u64 v[22:23], v[22:23], 1, s[2:3]
	v_lshl_add_u64 v[24:25], v[22:23], 0, v[0:1]
	global_load_ushort v26, v[24:25], off
	v_mad_u64_u32 v[2:3], s[2:3], v2, s16, 0
	v_add3_u32 v3, v3, v21, v20
	v_lshl_add_u64 v[2:3], v[2:3], 1, s[0:1]
	v_lshl_add_u64 v[20:21], v[2:3], 0, v[0:1]
	s_lshl_b64 s[0:1], s[10:11], 5
	s_lshl_b64 s[2:3], s[16:17], 5
	v_lshl_add_u64 v[2:3], v[2:3], 0, s[2:3]
	s_waitcnt vmcnt(0)
	v_mul_f16_e32 v26, s20, v26
	v_fma_f16 v19, s5, v19, v26
	global_store_short v[20:21], v19, off
	global_load_ushort v19, v[24:25], off offset:32
	s_waitcnt vmcnt(0)
	v_mul_f16_e32 v19, s20, v19
	v_fma_f16 v17, s5, v17, v19
	global_store_short v[20:21], v17, off offset:32
	global_load_ushort v17, v[24:25], off offset:64
	s_waitcnt vmcnt(0)
	v_mul_f16_e32 v17, s20, v17
	v_fma_f16 v17, s5, v18, v17
	global_store_short v[20:21], v17, off offset:64
	global_load_ushort v17, v[24:25], off offset:96
	v_lshl_add_u64 v[18:19], v[22:23], 0, s[0:1]
	v_lshl_add_u64 v[22:23], v[18:19], 0, v[0:1]
	s_waitcnt vmcnt(0)
	v_mul_f16_e32 v17, s20, v17
	v_fma_f16 v16, s5, v16, v17
	global_store_short v[20:21], v16, off offset:96
	global_load_ushort v20, v[22:23], off
	v_lshl_add_u64 v[16:17], v[2:3], 0, v[0:1]
	v_lshl_add_u64 v[2:3], v[2:3], 0, s[2:3]
	s_waitcnt vmcnt(0)
	v_mul_f16_e32 v20, s20, v20
	v_fma_f16 v9, s5, v9, v20
	global_store_short v[16:17], v9, off
	global_load_ushort v9, v[22:23], off offset:32
	s_waitcnt vmcnt(0)
	v_mul_f16_e32 v9, s20, v9
	v_fma_f16 v9, s5, v15, v9
	global_store_short v[16:17], v9, off offset:32
	global_load_ushort v9, v[22:23], off offset:64
	s_waitcnt vmcnt(0)
	v_mul_f16_e32 v9, s20, v9
	v_fma_f16 v8, s5, v8, v9
	global_store_short v[16:17], v8, off offset:64
	global_load_ushort v15, v[22:23], off offset:96
	v_lshl_add_u64 v[8:9], v[18:19], 0, s[0:1]
	v_lshl_add_u64 v[18:19], v[8:9], 0, v[0:1]
	s_waitcnt vmcnt(0)
	v_mul_f16_e32 v15, s20, v15
	v_fma_f16 v14, s5, v14, v15
	global_store_short v[16:17], v14, off offset:96
	global_load_ushort v16, v[18:19], off
	v_lshl_add_u64 v[14:15], v[2:3], 0, v[0:1]
	v_lshl_add_u64 v[2:3], v[2:3], 0, s[2:3]
	s_waitcnt vmcnt(0)
	v_mul_f16_e32 v16, s20, v16
	v_fma_f16 v7, s5, v7, v16
	global_store_short v[14:15], v7, off
	global_load_ushort v7, v[18:19], off offset:32
	s_waitcnt vmcnt(0)
	v_mul_f16_e32 v7, s20, v7
	v_fma_f16 v7, s5, v13, v7
	global_store_short v[14:15], v7, off offset:32
	global_load_ushort v7, v[18:19], off offset:64
	s_waitcnt vmcnt(0)
	v_mul_f16_e32 v7, s20, v7
	v_fma_f16 v6, s5, v6, v7
	global_store_short v[14:15], v6, off offset:64
	global_load_ushort v13, v[18:19], off offset:96
	v_lshl_add_u64 v[6:7], v[8:9], 0, s[0:1]
	v_lshl_add_u64 v[6:7], v[6:7], 0, v[0:1]
	v_lshl_add_u64 v[0:1], v[2:3], 0, v[0:1]
	s_waitcnt vmcnt(0)
	v_mul_f16_e32 v8, s20, v13
	v_fma_f16 v8, s5, v12, v8
	global_store_short v[14:15], v8, off offset:96
	global_load_ushort v8, v[6:7], off
	s_waitcnt vmcnt(0)
	v_mul_f16_e32 v8, s20, v8
	v_fma_f16 v5, s5, v5, v8
	global_store_short v[0:1], v5, off
	global_load_ushort v2, v[6:7], off offset:32
	s_waitcnt vmcnt(0)
	v_mul_f16_e32 v2, s20, v2
	v_fma_f16 v2, s5, v11, v2
	global_store_short v[0:1], v2, off offset:32
	global_load_ushort v2, v[6:7], off offset:64
	s_waitcnt vmcnt(0)
	v_mul_f16_e32 v2, s20, v2
	v_fma_f16 v2, s5, v4, v2
	global_store_short v[0:1], v2, off offset:64
	;; [unrolled: 5-line block ×3, first 2 shown]
.LBB10_7:
	s_endpgm
.LBB10_8:
	s_branch .LBB10_6
	.section	.rodata,"a",@progbits
	.p2align	6, 0x0
	.amdhsa_kernel _ZN12_GLOBAL__N_127rocblas_gemm_batched_kernelIDF16_Li16ELi16ELi64ELi64ELi4ELi64ELi4ELi4ELi64ELc84ELc67EKDF16_S1_DF16_EEvlllT_PT11_llS4_llS2_PT12_llPT13_lli
		.amdhsa_group_segment_fixed_size 1024
		.amdhsa_private_segment_fixed_size 0
		.amdhsa_kernarg_size 140
		.amdhsa_user_sgpr_count 2
		.amdhsa_user_sgpr_dispatch_ptr 0
		.amdhsa_user_sgpr_queue_ptr 0
		.amdhsa_user_sgpr_kernarg_segment_ptr 1
		.amdhsa_user_sgpr_dispatch_id 0
		.amdhsa_user_sgpr_kernarg_preload_length 0
		.amdhsa_user_sgpr_kernarg_preload_offset 0
		.amdhsa_user_sgpr_private_segment_size 0
		.amdhsa_uses_dynamic_stack 0
		.amdhsa_enable_private_segment 0
		.amdhsa_system_sgpr_workgroup_id_x 1
		.amdhsa_system_sgpr_workgroup_id_y 1
		.amdhsa_system_sgpr_workgroup_id_z 1
		.amdhsa_system_sgpr_workgroup_info 0
		.amdhsa_system_vgpr_workitem_id 1
		.amdhsa_next_free_vgpr 46
		.amdhsa_next_free_sgpr 24
		.amdhsa_accum_offset 48
		.amdhsa_reserve_vcc 1
		.amdhsa_float_round_mode_32 0
		.amdhsa_float_round_mode_16_64 0
		.amdhsa_float_denorm_mode_32 3
		.amdhsa_float_denorm_mode_16_64 3
		.amdhsa_dx10_clamp 1
		.amdhsa_ieee_mode 1
		.amdhsa_fp16_overflow 0
		.amdhsa_tg_split 0
		.amdhsa_exception_fp_ieee_invalid_op 0
		.amdhsa_exception_fp_denorm_src 0
		.amdhsa_exception_fp_ieee_div_zero 0
		.amdhsa_exception_fp_ieee_overflow 0
		.amdhsa_exception_fp_ieee_underflow 0
		.amdhsa_exception_fp_ieee_inexact 0
		.amdhsa_exception_int_div_zero 0
	.end_amdhsa_kernel
	.section	.text._ZN12_GLOBAL__N_127rocblas_gemm_batched_kernelIDF16_Li16ELi16ELi64ELi64ELi4ELi64ELi4ELi4ELi64ELc84ELc67EKDF16_S1_DF16_EEvlllT_PT11_llS4_llS2_PT12_llPT13_lli,"axG",@progbits,_ZN12_GLOBAL__N_127rocblas_gemm_batched_kernelIDF16_Li16ELi16ELi64ELi64ELi4ELi64ELi4ELi4ELi64ELc84ELc67EKDF16_S1_DF16_EEvlllT_PT11_llS4_llS2_PT12_llPT13_lli,comdat
.Lfunc_end10:
	.size	_ZN12_GLOBAL__N_127rocblas_gemm_batched_kernelIDF16_Li16ELi16ELi64ELi64ELi4ELi64ELi4ELi4ELi64ELc84ELc67EKDF16_S1_DF16_EEvlllT_PT11_llS4_llS2_PT12_llPT13_lli, .Lfunc_end10-_ZN12_GLOBAL__N_127rocblas_gemm_batched_kernelIDF16_Li16ELi16ELi64ELi64ELi4ELi64ELi4ELi4ELi64ELc84ELc67EKDF16_S1_DF16_EEvlllT_PT11_llS4_llS2_PT12_llPT13_lli
                                        ; -- End function
	.set _ZN12_GLOBAL__N_127rocblas_gemm_batched_kernelIDF16_Li16ELi16ELi64ELi64ELi4ELi64ELi4ELi4ELi64ELc84ELc67EKDF16_S1_DF16_EEvlllT_PT11_llS4_llS2_PT12_llPT13_lli.num_vgpr, 46
	.set _ZN12_GLOBAL__N_127rocblas_gemm_batched_kernelIDF16_Li16ELi16ELi64ELi64ELi4ELi64ELi4ELi4ELi64ELc84ELc67EKDF16_S1_DF16_EEvlllT_PT11_llS4_llS2_PT12_llPT13_lli.num_agpr, 0
	.set _ZN12_GLOBAL__N_127rocblas_gemm_batched_kernelIDF16_Li16ELi16ELi64ELi64ELi4ELi64ELi4ELi4ELi64ELc84ELc67EKDF16_S1_DF16_EEvlllT_PT11_llS4_llS2_PT12_llPT13_lli.numbered_sgpr, 24
	.set _ZN12_GLOBAL__N_127rocblas_gemm_batched_kernelIDF16_Li16ELi16ELi64ELi64ELi4ELi64ELi4ELi4ELi64ELc84ELc67EKDF16_S1_DF16_EEvlllT_PT11_llS4_llS2_PT12_llPT13_lli.num_named_barrier, 0
	.set _ZN12_GLOBAL__N_127rocblas_gemm_batched_kernelIDF16_Li16ELi16ELi64ELi64ELi4ELi64ELi4ELi4ELi64ELc84ELc67EKDF16_S1_DF16_EEvlllT_PT11_llS4_llS2_PT12_llPT13_lli.private_seg_size, 0
	.set _ZN12_GLOBAL__N_127rocblas_gemm_batched_kernelIDF16_Li16ELi16ELi64ELi64ELi4ELi64ELi4ELi4ELi64ELc84ELc67EKDF16_S1_DF16_EEvlllT_PT11_llS4_llS2_PT12_llPT13_lli.uses_vcc, 1
	.set _ZN12_GLOBAL__N_127rocblas_gemm_batched_kernelIDF16_Li16ELi16ELi64ELi64ELi4ELi64ELi4ELi4ELi64ELc84ELc67EKDF16_S1_DF16_EEvlllT_PT11_llS4_llS2_PT12_llPT13_lli.uses_flat_scratch, 0
	.set _ZN12_GLOBAL__N_127rocblas_gemm_batched_kernelIDF16_Li16ELi16ELi64ELi64ELi4ELi64ELi4ELi4ELi64ELc84ELc67EKDF16_S1_DF16_EEvlllT_PT11_llS4_llS2_PT12_llPT13_lli.has_dyn_sized_stack, 0
	.set _ZN12_GLOBAL__N_127rocblas_gemm_batched_kernelIDF16_Li16ELi16ELi64ELi64ELi4ELi64ELi4ELi4ELi64ELc84ELc67EKDF16_S1_DF16_EEvlllT_PT11_llS4_llS2_PT12_llPT13_lli.has_recursion, 0
	.set _ZN12_GLOBAL__N_127rocblas_gemm_batched_kernelIDF16_Li16ELi16ELi64ELi64ELi4ELi64ELi4ELi4ELi64ELc84ELc67EKDF16_S1_DF16_EEvlllT_PT11_llS4_llS2_PT12_llPT13_lli.has_indirect_call, 0
	.section	.AMDGPU.csdata,"",@progbits
; Kernel info:
; codeLenInByte = 2204
; TotalNumSgprs: 30
; NumVgprs: 46
; NumAgprs: 0
; TotalNumVgprs: 46
; ScratchSize: 0
; MemoryBound: 0
; FloatMode: 240
; IeeeMode: 1
; LDSByteSize: 1024 bytes/workgroup (compile time only)
; SGPRBlocks: 3
; VGPRBlocks: 5
; NumSGPRsForWavesPerEU: 30
; NumVGPRsForWavesPerEU: 46
; AccumOffset: 48
; Occupancy: 8
; WaveLimiterHint : 0
; COMPUTE_PGM_RSRC2:SCRATCH_EN: 0
; COMPUTE_PGM_RSRC2:USER_SGPR: 2
; COMPUTE_PGM_RSRC2:TRAP_HANDLER: 0
; COMPUTE_PGM_RSRC2:TGID_X_EN: 1
; COMPUTE_PGM_RSRC2:TGID_Y_EN: 1
; COMPUTE_PGM_RSRC2:TGID_Z_EN: 1
; COMPUTE_PGM_RSRC2:TIDIG_COMP_CNT: 1
; COMPUTE_PGM_RSRC3_GFX90A:ACCUM_OFFSET: 11
; COMPUTE_PGM_RSRC3_GFX90A:TG_SPLIT: 0
	.section	.text._ZN12_GLOBAL__N_127rocblas_gemm_batched_kernelIDF16_Li16ELi16ELi32ELi32ELi8ELi32ELi8ELi8ELi32ELc78ELc78EKDF16_S1_DF16_EEvlllT_PT11_llS4_llS2_PT12_llPT13_lli,"axG",@progbits,_ZN12_GLOBAL__N_127rocblas_gemm_batched_kernelIDF16_Li16ELi16ELi32ELi32ELi8ELi32ELi8ELi8ELi32ELc78ELc78EKDF16_S1_DF16_EEvlllT_PT11_llS4_llS2_PT12_llPT13_lli,comdat
	.globl	_ZN12_GLOBAL__N_127rocblas_gemm_batched_kernelIDF16_Li16ELi16ELi32ELi32ELi8ELi32ELi8ELi8ELi32ELc78ELc78EKDF16_S1_DF16_EEvlllT_PT11_llS4_llS2_PT12_llPT13_lli ; -- Begin function _ZN12_GLOBAL__N_127rocblas_gemm_batched_kernelIDF16_Li16ELi16ELi32ELi32ELi8ELi32ELi8ELi8ELi32ELc78ELc78EKDF16_S1_DF16_EEvlllT_PT11_llS4_llS2_PT12_llPT13_lli
	.p2align	8
	.type	_ZN12_GLOBAL__N_127rocblas_gemm_batched_kernelIDF16_Li16ELi16ELi32ELi32ELi8ELi32ELi8ELi8ELi32ELc78ELc78EKDF16_S1_DF16_EEvlllT_PT11_llS4_llS2_PT12_llPT13_lli,@function
_ZN12_GLOBAL__N_127rocblas_gemm_batched_kernelIDF16_Li16ELi16ELi32ELi32ELi8ELi32ELi8ELi8ELi32ELc78ELc78EKDF16_S1_DF16_EEvlllT_PT11_llS4_llS2_PT12_llPT13_lli: ; @_ZN12_GLOBAL__N_127rocblas_gemm_batched_kernelIDF16_Li16ELi16ELi32ELi32ELi8ELi32ELi8ELi8ELi32ELc78ELc78EKDF16_S1_DF16_EEvlllT_PT11_llS4_llS2_PT12_llPT13_lli
; %bb.0:
	s_load_dwordx2 s[16:17], s[0:1], 0x10
	s_mov_b32 s6, s3
	v_mov_b32_e32 v3, 0
	s_ashr_i32 s3, s2, 31
	s_ashr_i32 s7, s6, 31
	s_waitcnt lgkmcnt(0)
	v_cmp_lt_i64_e64 s[8:9], s[16:17], 1
	v_bfe_u32 v2, v0, 10, 10
	v_and_b32_e32 v0, 0x3ff, v0
	v_mov_b32_e32 v1, v3
	s_lshl_b64 s[2:3], s[2:3], 5
	s_lshl_b64 s[6:7], s[6:7], 5
	s_and_b64 vcc, exec, s[8:9]
	s_cbranch_vccnz .LBB11_3
; %bb.1:
	v_lshlrev_b32_e32 v11, 4, v2
	s_load_dwordx8 s[8:15], s[0:1], 0x20
	s_load_dwordx4 s[20:23], s[0:1], 0x40
	v_add_u32_e32 v10, v11, v0
	v_lshrrev_b32_e32 v4, 3, v10
	v_mov_b32_e32 v5, v3
	v_and_b32_e32 v8, 31, v10
	v_lshl_add_u64 v[6:7], v[4:5], 0, s[6:7]
	v_and_b32_e32 v5, 7, v0
	v_lshrrev_b32_e32 v16, 5, v10
	v_lshlrev_b32_e32 v10, 1, v8
	v_lshl_or_b32 v12, v16, 6, v10
	v_lshlrev_b32_e32 v10, 1, v5
	v_lshl_or_b32 v4, v4, 4, v10
	v_add_u32_e32 v13, 0x200, v4
	s_waitcnt lgkmcnt(0)
	v_mad_u64_u32 v[4:5], s[18:19], s20, v6, 0
	s_mul_i32 s5, s23, s4
	s_mul_hi_u32 s18, s22, s4
	v_add_u32_e32 v15, 0x200, v11
	v_mul_lo_u32 v11, s21, v6
	v_mul_lo_u32 v7, s20, v7
	s_add_i32 s19, s18, s5
	s_mul_i32 s18, s22, s4
	v_add3_u32 v5, v5, v7, v11
	s_lshl_b64 s[18:19], s[18:19], 1
	v_lshl_add_u64 v[4:5], v[4:5], 1, s[18:19]
	v_mov_b32_e32 v11, v3
	v_lshl_add_u64 v[4:5], v[4:5], 0, v[10:11]
	v_mov_b64_e32 v[6:7], s[2:3]
	v_lshl_add_u64 v[4:5], s[14:15], 0, v[4:5]
	s_mul_i32 s5, s13, s4
	s_mul_hi_u32 s13, s12, s4
	v_mad_u64_u32 v[6:7], s[14:15], s10, v16, v[6:7]
	s_add_i32 s13, s13, s5
	s_mul_i32 s12, s12, s4
	v_mov_b32_e32 v10, v7
	s_lshl_b64 s[12:13], s[12:13], 1
	v_mad_u64_u32 v[10:11], s[14:15], s11, v16, v[10:11]
	v_mov_b32_e32 v9, v3
	v_mov_b32_e32 v7, v10
	s_add_u32 s8, s8, s12
	v_lshl_add_u64 v[6:7], v[6:7], 0, v[8:9]
	s_addc_u32 s9, s9, s13
	v_lshlrev_b32_e32 v14, 1, v0
	v_lshl_add_u64 v[6:7], v[6:7], 1, s[8:9]
	s_lshl_b64 s[8:9], s[10:11], 4
	s_mov_b64 s[10:11], 0
	s_mov_b32 s5, 0x5040100
	v_mov_b64_e32 v[8:9], s[16:17]
	v_mov_b32_e32 v10, v3
	v_mov_b32_e32 v11, v3
.LBB11_2:                               ; =>This Inner Loop Header: Depth=1
	global_load_ushort v16, v[6:7], off
	global_load_ushort v17, v[4:5], off
	s_add_u32 s10, s10, 8
	s_addc_u32 s11, s11, 0
	v_cmp_lt_i64_e32 vcc, s[10:11], v[8:9]
	v_lshl_add_u64 v[4:5], v[4:5], 0, 16
	v_lshl_add_u64 v[6:7], v[6:7], 0, s[8:9]
	s_and_b64 vcc, exec, vcc
	s_waitcnt vmcnt(1)
	ds_write_b16 v12, v16
	s_waitcnt vmcnt(0)
	ds_write_b16 v13, v17
	s_waitcnt lgkmcnt(0)
	s_barrier
	ds_read_b128 v[16:19], v15
	ds_read_b128 v[20:23], v15 offset:256
	ds_read_u16 v24, v14
	ds_read_u16 v25, v14 offset:32
	ds_read_u16 v26, v14 offset:64
	;; [unrolled: 1-line block ×15, first 2 shown]
	s_waitcnt lgkmcnt(14)
	v_perm_b32 v24, v24, v25, s5
	s_waitcnt lgkmcnt(12)
	v_perm_b32 v25, v26, v27, s5
	v_pk_fma_f16 v11, v24, v16, v11 op_sel_hi:[1,0,1]
	v_pk_fma_f16 v10, v24, v20, v10 op_sel_hi:[1,0,1]
	s_waitcnt lgkmcnt(10)
	v_perm_b32 v26, v28, v29, s5
	v_pk_fma_f16 v11, v25, v16, v11 op_sel:[0,1,0]
	v_pk_fma_f16 v10, v25, v20, v10 op_sel:[0,1,0]
	s_waitcnt lgkmcnt(8)
	v_perm_b32 v27, v30, v31, s5
	v_pk_fma_f16 v11, v26, v17, v11 op_sel_hi:[1,0,1]
	v_pk_fma_f16 v10, v26, v21, v10 op_sel_hi:[1,0,1]
	s_waitcnt lgkmcnt(6)
	v_perm_b32 v28, v32, v33, s5
	v_pk_fma_f16 v11, v27, v17, v11 op_sel:[0,1,0]
	v_pk_fma_f16 v10, v27, v21, v10 op_sel:[0,1,0]
	;; [unrolled: 8-line block ×3, first 2 shown]
	s_waitcnt lgkmcnt(0)
	v_perm_b32 v31, v38, v39, s5
	v_pk_fma_f16 v11, v30, v19, v11 op_sel_hi:[1,0,1]
	v_pk_fma_f16 v10, v30, v23, v10 op_sel_hi:[1,0,1]
	v_pk_fma_f16 v11, v31, v19, v11 op_sel:[0,1,0]
	v_pk_fma_f16 v10, v31, v23, v10 op_sel:[0,1,0]
	s_barrier
	s_cbranch_vccnz .LBB11_2
	s_branch .LBB11_4
.LBB11_3:
	v_mov_b32_e32 v11, v3
	v_mov_b32_e32 v10, v3
.LBB11_4:
	s_load_dwordx4 s[16:19], s[0:1], 0x78
	s_load_dword s5, s[0:1], 0x18
	s_load_dword s20, s[0:1], 0x50
	s_load_dwordx8 s[8:15], s[0:1], 0x58
	v_lshl_add_u64 v[2:3], s[6:7], 0, v[2:3]
	s_waitcnt lgkmcnt(0)
	s_mul_i32 s0, s19, s4
	s_mul_hi_u32 s1, s18, s4
	s_add_i32 s1, s1, s0
	s_mul_i32 s0, s18, s4
	s_lshl_b64 s[0:1], s[0:1], 1
	s_add_u32 s0, s14, s0
	v_cmp_neq_f16_e64 s[6:7], s20, 0
	v_lshl_add_u64 v[0:1], s[2:3], 0, v[0:1]
	s_addc_u32 s1, s15, s1
	s_and_b64 vcc, exec, s[6:7]
	v_mul_lo_u32 v6, v3, s16
	v_mul_lo_u32 v7, v2, s17
	v_lshrrev_b32_e32 v5, 16, v11
	v_lshlrev_b64 v[0:1], 1, v[0:1]
	v_lshrrev_b32_e32 v4, 16, v10
	s_cbranch_vccnz .LBB11_8
; %bb.5:
	v_mad_u64_u32 v[8:9], s[2:3], v2, s16, 0
	v_add3_u32 v9, v9, v7, v6
	v_lshl_add_u64 v[8:9], v[8:9], 1, s[0:1]
	v_mul_f16_sdwa v14, s5, v11 dst_sel:DWORD dst_unused:UNUSED_PAD src0_sel:DWORD src1_sel:WORD_1
	v_lshl_add_u64 v[12:13], v[8:9], 0, v[0:1]
	s_lshl_b64 s[2:3], s[16:17], 5
	global_store_short v[12:13], v14, off
	v_mul_f16_e32 v14, s5, v11
	v_lshl_add_u64 v[8:9], v[8:9], 0, s[2:3]
	global_store_short v[12:13], v14, off offset:32
	v_mul_f16_sdwa v12, s5, v10 dst_sel:DWORD dst_unused:UNUSED_PAD src0_sel:DWORD src1_sel:WORD_1
	v_lshl_add_u64 v[8:9], v[8:9], 0, v[0:1]
	global_store_short v[8:9], v12, off
	v_mul_f16_e32 v12, s5, v10
	global_store_short v[8:9], v12, off offset:32
	s_cbranch_execnz .LBB11_7
.LBB11_6:
	s_mul_i32 s2, s13, s4
	s_mul_hi_u32 s3, s12, s4
	s_add_i32 s3, s3, s2
	s_mul_i32 s2, s12, s4
	s_lshl_b64 s[2:3], s[2:3], 1
	s_add_u32 s2, s8, s2
	v_mul_lo_u32 v3, v3, s10
	v_mul_lo_u32 v12, v2, s11
	v_mad_u64_u32 v[8:9], s[6:7], v2, s10, 0
	s_addc_u32 s3, s9, s3
	v_add3_u32 v9, v9, v12, v3
	v_lshl_add_u64 v[8:9], v[8:9], 1, s[2:3]
	v_lshl_add_u64 v[12:13], v[8:9], 0, v[0:1]
	global_load_ushort v14, v[12:13], off
	v_mad_u64_u32 v[2:3], s[2:3], v2, s16, 0
	v_add3_u32 v3, v3, v7, v6
	v_lshl_add_u64 v[2:3], v[2:3], 1, s[0:1]
	v_lshl_add_u64 v[6:7], v[2:3], 0, v[0:1]
	s_lshl_b64 s[0:1], s[10:11], 5
	v_lshl_add_u64 v[8:9], v[8:9], 0, s[0:1]
	v_lshl_add_u64 v[8:9], v[8:9], 0, v[0:1]
	s_lshl_b64 s[0:1], s[16:17], 5
	v_lshl_add_u64 v[2:3], v[2:3], 0, s[0:1]
	v_lshl_add_u64 v[0:1], v[2:3], 0, v[0:1]
	s_waitcnt vmcnt(0)
	v_mul_f16_e32 v14, s20, v14
	v_fma_f16 v5, s5, v5, v14
	global_store_short v[6:7], v5, off
	global_load_ushort v5, v[12:13], off offset:32
	s_waitcnt vmcnt(0)
	v_mul_f16_e32 v5, s20, v5
	v_fma_f16 v5, s5, v11, v5
	global_store_short v[6:7], v5, off offset:32
	global_load_ushort v5, v[8:9], off
	s_waitcnt vmcnt(0)
	v_mul_f16_e32 v5, s20, v5
	v_fma_f16 v4, s5, v4, v5
	global_store_short v[0:1], v4, off
	global_load_ushort v2, v[8:9], off offset:32
	s_waitcnt vmcnt(0)
	v_mul_f16_e32 v2, s20, v2
	v_fma_f16 v2, s5, v10, v2
	global_store_short v[0:1], v2, off offset:32
.LBB11_7:
	s_endpgm
.LBB11_8:
	s_branch .LBB11_6
	.section	.rodata,"a",@progbits
	.p2align	6, 0x0
	.amdhsa_kernel _ZN12_GLOBAL__N_127rocblas_gemm_batched_kernelIDF16_Li16ELi16ELi32ELi32ELi8ELi32ELi8ELi8ELi32ELc78ELc78EKDF16_S1_DF16_EEvlllT_PT11_llS4_llS2_PT12_llPT13_lli
		.amdhsa_group_segment_fixed_size 1024
		.amdhsa_private_segment_fixed_size 0
		.amdhsa_kernarg_size 140
		.amdhsa_user_sgpr_count 2
		.amdhsa_user_sgpr_dispatch_ptr 0
		.amdhsa_user_sgpr_queue_ptr 0
		.amdhsa_user_sgpr_kernarg_segment_ptr 1
		.amdhsa_user_sgpr_dispatch_id 0
		.amdhsa_user_sgpr_kernarg_preload_length 0
		.amdhsa_user_sgpr_kernarg_preload_offset 0
		.amdhsa_user_sgpr_private_segment_size 0
		.amdhsa_uses_dynamic_stack 0
		.amdhsa_enable_private_segment 0
		.amdhsa_system_sgpr_workgroup_id_x 1
		.amdhsa_system_sgpr_workgroup_id_y 1
		.amdhsa_system_sgpr_workgroup_id_z 1
		.amdhsa_system_sgpr_workgroup_info 0
		.amdhsa_system_vgpr_workitem_id 1
		.amdhsa_next_free_vgpr 40
		.amdhsa_next_free_sgpr 24
		.amdhsa_accum_offset 40
		.amdhsa_reserve_vcc 1
		.amdhsa_float_round_mode_32 0
		.amdhsa_float_round_mode_16_64 0
		.amdhsa_float_denorm_mode_32 3
		.amdhsa_float_denorm_mode_16_64 3
		.amdhsa_dx10_clamp 1
		.amdhsa_ieee_mode 1
		.amdhsa_fp16_overflow 0
		.amdhsa_tg_split 0
		.amdhsa_exception_fp_ieee_invalid_op 0
		.amdhsa_exception_fp_denorm_src 0
		.amdhsa_exception_fp_ieee_div_zero 0
		.amdhsa_exception_fp_ieee_overflow 0
		.amdhsa_exception_fp_ieee_underflow 0
		.amdhsa_exception_fp_ieee_inexact 0
		.amdhsa_exception_int_div_zero 0
	.end_amdhsa_kernel
	.section	.text._ZN12_GLOBAL__N_127rocblas_gemm_batched_kernelIDF16_Li16ELi16ELi32ELi32ELi8ELi32ELi8ELi8ELi32ELc78ELc78EKDF16_S1_DF16_EEvlllT_PT11_llS4_llS2_PT12_llPT13_lli,"axG",@progbits,_ZN12_GLOBAL__N_127rocblas_gemm_batched_kernelIDF16_Li16ELi16ELi32ELi32ELi8ELi32ELi8ELi8ELi32ELc78ELc78EKDF16_S1_DF16_EEvlllT_PT11_llS4_llS2_PT12_llPT13_lli,comdat
.Lfunc_end11:
	.size	_ZN12_GLOBAL__N_127rocblas_gemm_batched_kernelIDF16_Li16ELi16ELi32ELi32ELi8ELi32ELi8ELi8ELi32ELc78ELc78EKDF16_S1_DF16_EEvlllT_PT11_llS4_llS2_PT12_llPT13_lli, .Lfunc_end11-_ZN12_GLOBAL__N_127rocblas_gemm_batched_kernelIDF16_Li16ELi16ELi32ELi32ELi8ELi32ELi8ELi8ELi32ELc78ELc78EKDF16_S1_DF16_EEvlllT_PT11_llS4_llS2_PT12_llPT13_lli
                                        ; -- End function
	.set _ZN12_GLOBAL__N_127rocblas_gemm_batched_kernelIDF16_Li16ELi16ELi32ELi32ELi8ELi32ELi8ELi8ELi32ELc78ELc78EKDF16_S1_DF16_EEvlllT_PT11_llS4_llS2_PT12_llPT13_lli.num_vgpr, 40
	.set _ZN12_GLOBAL__N_127rocblas_gemm_batched_kernelIDF16_Li16ELi16ELi32ELi32ELi8ELi32ELi8ELi8ELi32ELc78ELc78EKDF16_S1_DF16_EEvlllT_PT11_llS4_llS2_PT12_llPT13_lli.num_agpr, 0
	.set _ZN12_GLOBAL__N_127rocblas_gemm_batched_kernelIDF16_Li16ELi16ELi32ELi32ELi8ELi32ELi8ELi8ELi32ELc78ELc78EKDF16_S1_DF16_EEvlllT_PT11_llS4_llS2_PT12_llPT13_lli.numbered_sgpr, 24
	.set _ZN12_GLOBAL__N_127rocblas_gemm_batched_kernelIDF16_Li16ELi16ELi32ELi32ELi8ELi32ELi8ELi8ELi32ELc78ELc78EKDF16_S1_DF16_EEvlllT_PT11_llS4_llS2_PT12_llPT13_lli.num_named_barrier, 0
	.set _ZN12_GLOBAL__N_127rocblas_gemm_batched_kernelIDF16_Li16ELi16ELi32ELi32ELi8ELi32ELi8ELi8ELi32ELc78ELc78EKDF16_S1_DF16_EEvlllT_PT11_llS4_llS2_PT12_llPT13_lli.private_seg_size, 0
	.set _ZN12_GLOBAL__N_127rocblas_gemm_batched_kernelIDF16_Li16ELi16ELi32ELi32ELi8ELi32ELi8ELi8ELi32ELc78ELc78EKDF16_S1_DF16_EEvlllT_PT11_llS4_llS2_PT12_llPT13_lli.uses_vcc, 1
	.set _ZN12_GLOBAL__N_127rocblas_gemm_batched_kernelIDF16_Li16ELi16ELi32ELi32ELi8ELi32ELi8ELi8ELi32ELc78ELc78EKDF16_S1_DF16_EEvlllT_PT11_llS4_llS2_PT12_llPT13_lli.uses_flat_scratch, 0
	.set _ZN12_GLOBAL__N_127rocblas_gemm_batched_kernelIDF16_Li16ELi16ELi32ELi32ELi8ELi32ELi8ELi8ELi32ELc78ELc78EKDF16_S1_DF16_EEvlllT_PT11_llS4_llS2_PT12_llPT13_lli.has_dyn_sized_stack, 0
	.set _ZN12_GLOBAL__N_127rocblas_gemm_batched_kernelIDF16_Li16ELi16ELi32ELi32ELi8ELi32ELi8ELi8ELi32ELc78ELc78EKDF16_S1_DF16_EEvlllT_PT11_llS4_llS2_PT12_llPT13_lli.has_recursion, 0
	.set _ZN12_GLOBAL__N_127rocblas_gemm_batched_kernelIDF16_Li16ELi16ELi32ELi32ELi8ELi32ELi8ELi8ELi32ELc78ELc78EKDF16_S1_DF16_EEvlllT_PT11_llS4_llS2_PT12_llPT13_lli.has_indirect_call, 0
	.section	.AMDGPU.csdata,"",@progbits
; Kernel info:
; codeLenInByte = 1348
; TotalNumSgprs: 30
; NumVgprs: 40
; NumAgprs: 0
; TotalNumVgprs: 40
; ScratchSize: 0
; MemoryBound: 0
; FloatMode: 240
; IeeeMode: 1
; LDSByteSize: 1024 bytes/workgroup (compile time only)
; SGPRBlocks: 3
; VGPRBlocks: 4
; NumSGPRsForWavesPerEU: 30
; NumVGPRsForWavesPerEU: 40
; AccumOffset: 40
; Occupancy: 8
; WaveLimiterHint : 0
; COMPUTE_PGM_RSRC2:SCRATCH_EN: 0
; COMPUTE_PGM_RSRC2:USER_SGPR: 2
; COMPUTE_PGM_RSRC2:TRAP_HANDLER: 0
; COMPUTE_PGM_RSRC2:TGID_X_EN: 1
; COMPUTE_PGM_RSRC2:TGID_Y_EN: 1
; COMPUTE_PGM_RSRC2:TGID_Z_EN: 1
; COMPUTE_PGM_RSRC2:TIDIG_COMP_CNT: 1
; COMPUTE_PGM_RSRC3_GFX90A:ACCUM_OFFSET: 9
; COMPUTE_PGM_RSRC3_GFX90A:TG_SPLIT: 0
	.section	.text._ZN12_GLOBAL__N_127rocblas_gemm_batched_kernelIDF16_Li16ELi16ELi32ELi32ELi8ELi32ELi8ELi8ELi32ELc84ELc78EKDF16_S1_DF16_EEvlllT_PT11_llS4_llS2_PT12_llPT13_lli,"axG",@progbits,_ZN12_GLOBAL__N_127rocblas_gemm_batched_kernelIDF16_Li16ELi16ELi32ELi32ELi8ELi32ELi8ELi8ELi32ELc84ELc78EKDF16_S1_DF16_EEvlllT_PT11_llS4_llS2_PT12_llPT13_lli,comdat
	.globl	_ZN12_GLOBAL__N_127rocblas_gemm_batched_kernelIDF16_Li16ELi16ELi32ELi32ELi8ELi32ELi8ELi8ELi32ELc84ELc78EKDF16_S1_DF16_EEvlllT_PT11_llS4_llS2_PT12_llPT13_lli ; -- Begin function _ZN12_GLOBAL__N_127rocblas_gemm_batched_kernelIDF16_Li16ELi16ELi32ELi32ELi8ELi32ELi8ELi8ELi32ELc84ELc78EKDF16_S1_DF16_EEvlllT_PT11_llS4_llS2_PT12_llPT13_lli
	.p2align	8
	.type	_ZN12_GLOBAL__N_127rocblas_gemm_batched_kernelIDF16_Li16ELi16ELi32ELi32ELi8ELi32ELi8ELi8ELi32ELc84ELc78EKDF16_S1_DF16_EEvlllT_PT11_llS4_llS2_PT12_llPT13_lli,@function
_ZN12_GLOBAL__N_127rocblas_gemm_batched_kernelIDF16_Li16ELi16ELi32ELi32ELi8ELi32ELi8ELi8ELi32ELc84ELc78EKDF16_S1_DF16_EEvlllT_PT11_llS4_llS2_PT12_llPT13_lli: ; @_ZN12_GLOBAL__N_127rocblas_gemm_batched_kernelIDF16_Li16ELi16ELi32ELi32ELi8ELi32ELi8ELi8ELi32ELc84ELc78EKDF16_S1_DF16_EEvlllT_PT11_llS4_llS2_PT12_llPT13_lli
; %bb.0:
	s_load_dwordx2 s[16:17], s[0:1], 0x10
	s_mov_b32 s6, s3
	v_mov_b32_e32 v3, 0
	s_ashr_i32 s3, s2, 31
	s_ashr_i32 s7, s6, 31
	s_waitcnt lgkmcnt(0)
	v_cmp_lt_i64_e64 s[8:9], s[16:17], 1
	v_bfe_u32 v2, v0, 10, 10
	v_and_b32_e32 v0, 0x3ff, v0
	v_mov_b32_e32 v1, v3
	s_lshl_b64 s[2:3], s[2:3], 5
	s_lshl_b64 s[6:7], s[6:7], 5
	s_and_b64 vcc, exec, s[8:9]
	s_cbranch_vccnz .LBB12_3
; %bb.1:
	v_lshlrev_b32_e32 v11, 4, v2
	s_load_dwordx8 s[8:15], s[0:1], 0x20
	s_load_dwordx4 s[20:23], s[0:1], 0x40
	v_add_u32_e32 v10, v11, v0
	v_lshrrev_b32_e32 v4, 3, v10
	v_mov_b32_e32 v5, v3
	v_and_b32_e32 v8, 31, v10
	v_lshl_add_u64 v[6:7], v[4:5], 0, s[6:7]
	v_and_b32_e32 v5, 7, v0
	v_lshrrev_b32_e32 v16, 5, v10
	v_lshlrev_b32_e32 v10, 1, v8
	v_lshl_or_b32 v12, v16, 6, v10
	v_lshlrev_b32_e32 v10, 1, v5
	v_lshl_or_b32 v4, v4, 4, v10
	v_mov_b32_e32 v9, v3
	v_add_u32_e32 v13, 0x200, v4
	v_add_u32_e32 v15, 0x200, v11
	s_waitcnt lgkmcnt(0)
	v_mul_lo_u32 v11, s21, v6
	v_mul_lo_u32 v7, s20, v7
	v_mad_u64_u32 v[4:5], s[18:19], s20, v6, 0
	v_add3_u32 v5, v5, v7, v11
	v_lshl_add_u64 v[6:7], s[2:3], 0, v[8:9]
	s_mul_i32 s5, s23, s4
	s_mul_hi_u32 s18, s22, s4
	v_mul_lo_u32 v8, s11, v6
	v_mul_lo_u32 v9, s10, v7
	v_mad_u64_u32 v[6:7], s[10:11], s10, v6, 0
	s_add_i32 s19, s18, s5
	s_mul_i32 s5, s13, s4
	s_mul_hi_u32 s10, s12, s4
	s_mul_i32 s18, s22, s4
	s_add_i32 s11, s10, s5
	s_mul_i32 s10, s12, s4
	s_lshl_b64 s[18:19], s[18:19], 1
	v_add3_u32 v7, v7, v9, v8
	s_lshl_b64 s[10:11], s[10:11], 1
	v_lshl_add_u64 v[4:5], v[4:5], 1, s[18:19]
	v_mov_b32_e32 v11, v3
	v_lshl_add_u64 v[6:7], v[6:7], 1, s[10:11]
	v_lshlrev_b32_e32 v8, 1, v16
	v_mov_b32_e32 v9, v3
	v_lshl_add_u64 v[4:5], v[4:5], 0, v[10:11]
	v_lshl_add_u64 v[6:7], v[6:7], 0, v[8:9]
	v_lshlrev_b32_e32 v14, 1, v0
	v_lshl_add_u64 v[4:5], s[14:15], 0, v[4:5]
	v_lshl_add_u64 v[6:7], s[8:9], 0, v[6:7]
	s_mov_b64 s[8:9], 0
	s_mov_b32 s5, 0x5040100
	v_mov_b64_e32 v[8:9], s[16:17]
	v_mov_b32_e32 v10, v3
.LBB12_2:                               ; =>This Inner Loop Header: Depth=1
	global_load_ushort v16, v[6:7], off
	global_load_ushort v17, v[4:5], off
	s_add_u32 s8, s8, 8
	s_addc_u32 s9, s9, 0
	v_cmp_lt_i64_e32 vcc, s[8:9], v[8:9]
	v_lshl_add_u64 v[4:5], v[4:5], 0, 16
	v_lshl_add_u64 v[6:7], v[6:7], 0, 16
	s_and_b64 vcc, exec, vcc
	s_waitcnt vmcnt(1)
	ds_write_b16 v12, v16
	s_waitcnt vmcnt(0)
	ds_write_b16 v13, v17
	s_waitcnt lgkmcnt(0)
	s_barrier
	ds_read_b128 v[16:19], v15
	ds_read_b128 v[20:23], v15 offset:256
	ds_read_u16 v24, v14
	ds_read_u16 v25, v14 offset:32
	ds_read_u16 v26, v14 offset:64
	;; [unrolled: 1-line block ×15, first 2 shown]
	s_waitcnt lgkmcnt(14)
	v_perm_b32 v24, v24, v25, s5
	s_waitcnt lgkmcnt(12)
	v_perm_b32 v25, v26, v27, s5
	v_pk_fma_f16 v11, v24, v16, v11 op_sel_hi:[1,0,1]
	v_pk_fma_f16 v10, v24, v20, v10 op_sel_hi:[1,0,1]
	s_waitcnt lgkmcnt(10)
	v_perm_b32 v26, v28, v29, s5
	v_pk_fma_f16 v11, v25, v16, v11 op_sel:[0,1,0]
	v_pk_fma_f16 v10, v25, v20, v10 op_sel:[0,1,0]
	s_waitcnt lgkmcnt(8)
	v_perm_b32 v27, v30, v31, s5
	v_pk_fma_f16 v11, v26, v17, v11 op_sel_hi:[1,0,1]
	v_pk_fma_f16 v10, v26, v21, v10 op_sel_hi:[1,0,1]
	s_waitcnt lgkmcnt(6)
	v_perm_b32 v28, v32, v33, s5
	v_pk_fma_f16 v11, v27, v17, v11 op_sel:[0,1,0]
	v_pk_fma_f16 v10, v27, v21, v10 op_sel:[0,1,0]
	;; [unrolled: 8-line block ×3, first 2 shown]
	s_waitcnt lgkmcnt(0)
	v_perm_b32 v31, v38, v39, s5
	v_pk_fma_f16 v11, v30, v19, v11 op_sel_hi:[1,0,1]
	v_pk_fma_f16 v10, v30, v23, v10 op_sel_hi:[1,0,1]
	v_pk_fma_f16 v11, v31, v19, v11 op_sel:[0,1,0]
	v_pk_fma_f16 v10, v31, v23, v10 op_sel:[0,1,0]
	s_barrier
	s_cbranch_vccnz .LBB12_2
	s_branch .LBB12_4
.LBB12_3:
	v_mov_b32_e32 v11, v3
	v_mov_b32_e32 v10, v3
.LBB12_4:
	s_load_dwordx4 s[16:19], s[0:1], 0x78
	s_load_dword s5, s[0:1], 0x18
	s_load_dword s20, s[0:1], 0x50
	s_load_dwordx8 s[8:15], s[0:1], 0x58
	v_lshl_add_u64 v[2:3], s[6:7], 0, v[2:3]
	s_waitcnt lgkmcnt(0)
	s_mul_i32 s0, s19, s4
	s_mul_hi_u32 s1, s18, s4
	s_add_i32 s1, s1, s0
	s_mul_i32 s0, s18, s4
	s_lshl_b64 s[0:1], s[0:1], 1
	s_add_u32 s0, s14, s0
	v_cmp_neq_f16_e64 s[6:7], s20, 0
	v_lshl_add_u64 v[0:1], s[2:3], 0, v[0:1]
	s_addc_u32 s1, s15, s1
	s_and_b64 vcc, exec, s[6:7]
	v_mul_lo_u32 v6, v3, s16
	v_mul_lo_u32 v7, v2, s17
	v_lshrrev_b32_e32 v5, 16, v11
	v_lshlrev_b64 v[0:1], 1, v[0:1]
	v_lshrrev_b32_e32 v4, 16, v10
	s_cbranch_vccnz .LBB12_8
; %bb.5:
	v_mad_u64_u32 v[8:9], s[2:3], v2, s16, 0
	v_add3_u32 v9, v9, v7, v6
	v_lshl_add_u64 v[8:9], v[8:9], 1, s[0:1]
	v_mul_f16_sdwa v14, s5, v11 dst_sel:DWORD dst_unused:UNUSED_PAD src0_sel:DWORD src1_sel:WORD_1
	v_lshl_add_u64 v[12:13], v[8:9], 0, v[0:1]
	s_lshl_b64 s[2:3], s[16:17], 5
	global_store_short v[12:13], v14, off
	v_mul_f16_e32 v14, s5, v11
	v_lshl_add_u64 v[8:9], v[8:9], 0, s[2:3]
	global_store_short v[12:13], v14, off offset:32
	v_mul_f16_sdwa v12, s5, v10 dst_sel:DWORD dst_unused:UNUSED_PAD src0_sel:DWORD src1_sel:WORD_1
	v_lshl_add_u64 v[8:9], v[8:9], 0, v[0:1]
	global_store_short v[8:9], v12, off
	v_mul_f16_e32 v12, s5, v10
	global_store_short v[8:9], v12, off offset:32
	s_cbranch_execnz .LBB12_7
.LBB12_6:
	s_mul_i32 s2, s13, s4
	s_mul_hi_u32 s3, s12, s4
	s_add_i32 s3, s3, s2
	s_mul_i32 s2, s12, s4
	s_lshl_b64 s[2:3], s[2:3], 1
	s_add_u32 s2, s8, s2
	v_mul_lo_u32 v3, v3, s10
	v_mul_lo_u32 v12, v2, s11
	v_mad_u64_u32 v[8:9], s[6:7], v2, s10, 0
	s_addc_u32 s3, s9, s3
	v_add3_u32 v9, v9, v12, v3
	v_lshl_add_u64 v[8:9], v[8:9], 1, s[2:3]
	v_lshl_add_u64 v[12:13], v[8:9], 0, v[0:1]
	global_load_ushort v14, v[12:13], off
	v_mad_u64_u32 v[2:3], s[2:3], v2, s16, 0
	v_add3_u32 v3, v3, v7, v6
	v_lshl_add_u64 v[2:3], v[2:3], 1, s[0:1]
	v_lshl_add_u64 v[6:7], v[2:3], 0, v[0:1]
	s_lshl_b64 s[0:1], s[10:11], 5
	v_lshl_add_u64 v[8:9], v[8:9], 0, s[0:1]
	v_lshl_add_u64 v[8:9], v[8:9], 0, v[0:1]
	s_lshl_b64 s[0:1], s[16:17], 5
	v_lshl_add_u64 v[2:3], v[2:3], 0, s[0:1]
	v_lshl_add_u64 v[0:1], v[2:3], 0, v[0:1]
	s_waitcnt vmcnt(0)
	v_mul_f16_e32 v14, s20, v14
	v_fma_f16 v5, s5, v5, v14
	global_store_short v[6:7], v5, off
	global_load_ushort v5, v[12:13], off offset:32
	s_waitcnt vmcnt(0)
	v_mul_f16_e32 v5, s20, v5
	v_fma_f16 v5, s5, v11, v5
	global_store_short v[6:7], v5, off offset:32
	global_load_ushort v5, v[8:9], off
	s_waitcnt vmcnt(0)
	v_mul_f16_e32 v5, s20, v5
	v_fma_f16 v4, s5, v4, v5
	global_store_short v[0:1], v4, off
	global_load_ushort v2, v[8:9], off offset:32
	s_waitcnt vmcnt(0)
	v_mul_f16_e32 v2, s20, v2
	v_fma_f16 v2, s5, v10, v2
	global_store_short v[0:1], v2, off offset:32
.LBB12_7:
	s_endpgm
.LBB12_8:
	s_branch .LBB12_6
	.section	.rodata,"a",@progbits
	.p2align	6, 0x0
	.amdhsa_kernel _ZN12_GLOBAL__N_127rocblas_gemm_batched_kernelIDF16_Li16ELi16ELi32ELi32ELi8ELi32ELi8ELi8ELi32ELc84ELc78EKDF16_S1_DF16_EEvlllT_PT11_llS4_llS2_PT12_llPT13_lli
		.amdhsa_group_segment_fixed_size 1024
		.amdhsa_private_segment_fixed_size 0
		.amdhsa_kernarg_size 140
		.amdhsa_user_sgpr_count 2
		.amdhsa_user_sgpr_dispatch_ptr 0
		.amdhsa_user_sgpr_queue_ptr 0
		.amdhsa_user_sgpr_kernarg_segment_ptr 1
		.amdhsa_user_sgpr_dispatch_id 0
		.amdhsa_user_sgpr_kernarg_preload_length 0
		.amdhsa_user_sgpr_kernarg_preload_offset 0
		.amdhsa_user_sgpr_private_segment_size 0
		.amdhsa_uses_dynamic_stack 0
		.amdhsa_enable_private_segment 0
		.amdhsa_system_sgpr_workgroup_id_x 1
		.amdhsa_system_sgpr_workgroup_id_y 1
		.amdhsa_system_sgpr_workgroup_id_z 1
		.amdhsa_system_sgpr_workgroup_info 0
		.amdhsa_system_vgpr_workitem_id 1
		.amdhsa_next_free_vgpr 40
		.amdhsa_next_free_sgpr 24
		.amdhsa_accum_offset 40
		.amdhsa_reserve_vcc 1
		.amdhsa_float_round_mode_32 0
		.amdhsa_float_round_mode_16_64 0
		.amdhsa_float_denorm_mode_32 3
		.amdhsa_float_denorm_mode_16_64 3
		.amdhsa_dx10_clamp 1
		.amdhsa_ieee_mode 1
		.amdhsa_fp16_overflow 0
		.amdhsa_tg_split 0
		.amdhsa_exception_fp_ieee_invalid_op 0
		.amdhsa_exception_fp_denorm_src 0
		.amdhsa_exception_fp_ieee_div_zero 0
		.amdhsa_exception_fp_ieee_overflow 0
		.amdhsa_exception_fp_ieee_underflow 0
		.amdhsa_exception_fp_ieee_inexact 0
		.amdhsa_exception_int_div_zero 0
	.end_amdhsa_kernel
	.section	.text._ZN12_GLOBAL__N_127rocblas_gemm_batched_kernelIDF16_Li16ELi16ELi32ELi32ELi8ELi32ELi8ELi8ELi32ELc84ELc78EKDF16_S1_DF16_EEvlllT_PT11_llS4_llS2_PT12_llPT13_lli,"axG",@progbits,_ZN12_GLOBAL__N_127rocblas_gemm_batched_kernelIDF16_Li16ELi16ELi32ELi32ELi8ELi32ELi8ELi8ELi32ELc84ELc78EKDF16_S1_DF16_EEvlllT_PT11_llS4_llS2_PT12_llPT13_lli,comdat
.Lfunc_end12:
	.size	_ZN12_GLOBAL__N_127rocblas_gemm_batched_kernelIDF16_Li16ELi16ELi32ELi32ELi8ELi32ELi8ELi8ELi32ELc84ELc78EKDF16_S1_DF16_EEvlllT_PT11_llS4_llS2_PT12_llPT13_lli, .Lfunc_end12-_ZN12_GLOBAL__N_127rocblas_gemm_batched_kernelIDF16_Li16ELi16ELi32ELi32ELi8ELi32ELi8ELi8ELi32ELc84ELc78EKDF16_S1_DF16_EEvlllT_PT11_llS4_llS2_PT12_llPT13_lli
                                        ; -- End function
	.set _ZN12_GLOBAL__N_127rocblas_gemm_batched_kernelIDF16_Li16ELi16ELi32ELi32ELi8ELi32ELi8ELi8ELi32ELc84ELc78EKDF16_S1_DF16_EEvlllT_PT11_llS4_llS2_PT12_llPT13_lli.num_vgpr, 40
	.set _ZN12_GLOBAL__N_127rocblas_gemm_batched_kernelIDF16_Li16ELi16ELi32ELi32ELi8ELi32ELi8ELi8ELi32ELc84ELc78EKDF16_S1_DF16_EEvlllT_PT11_llS4_llS2_PT12_llPT13_lli.num_agpr, 0
	.set _ZN12_GLOBAL__N_127rocblas_gemm_batched_kernelIDF16_Li16ELi16ELi32ELi32ELi8ELi32ELi8ELi8ELi32ELc84ELc78EKDF16_S1_DF16_EEvlllT_PT11_llS4_llS2_PT12_llPT13_lli.numbered_sgpr, 24
	.set _ZN12_GLOBAL__N_127rocblas_gemm_batched_kernelIDF16_Li16ELi16ELi32ELi32ELi8ELi32ELi8ELi8ELi32ELc84ELc78EKDF16_S1_DF16_EEvlllT_PT11_llS4_llS2_PT12_llPT13_lli.num_named_barrier, 0
	.set _ZN12_GLOBAL__N_127rocblas_gemm_batched_kernelIDF16_Li16ELi16ELi32ELi32ELi8ELi32ELi8ELi8ELi32ELc84ELc78EKDF16_S1_DF16_EEvlllT_PT11_llS4_llS2_PT12_llPT13_lli.private_seg_size, 0
	.set _ZN12_GLOBAL__N_127rocblas_gemm_batched_kernelIDF16_Li16ELi16ELi32ELi32ELi8ELi32ELi8ELi8ELi32ELc84ELc78EKDF16_S1_DF16_EEvlllT_PT11_llS4_llS2_PT12_llPT13_lli.uses_vcc, 1
	.set _ZN12_GLOBAL__N_127rocblas_gemm_batched_kernelIDF16_Li16ELi16ELi32ELi32ELi8ELi32ELi8ELi8ELi32ELc84ELc78EKDF16_S1_DF16_EEvlllT_PT11_llS4_llS2_PT12_llPT13_lli.uses_flat_scratch, 0
	.set _ZN12_GLOBAL__N_127rocblas_gemm_batched_kernelIDF16_Li16ELi16ELi32ELi32ELi8ELi32ELi8ELi8ELi32ELc84ELc78EKDF16_S1_DF16_EEvlllT_PT11_llS4_llS2_PT12_llPT13_lli.has_dyn_sized_stack, 0
	.set _ZN12_GLOBAL__N_127rocblas_gemm_batched_kernelIDF16_Li16ELi16ELi32ELi32ELi8ELi32ELi8ELi8ELi32ELc84ELc78EKDF16_S1_DF16_EEvlllT_PT11_llS4_llS2_PT12_llPT13_lli.has_recursion, 0
	.set _ZN12_GLOBAL__N_127rocblas_gemm_batched_kernelIDF16_Li16ELi16ELi32ELi32ELi8ELi32ELi8ELi8ELi32ELc84ELc78EKDF16_S1_DF16_EEvlllT_PT11_llS4_llS2_PT12_llPT13_lli.has_indirect_call, 0
	.section	.AMDGPU.csdata,"",@progbits
; Kernel info:
; codeLenInByte = 1360
; TotalNumSgprs: 30
; NumVgprs: 40
; NumAgprs: 0
; TotalNumVgprs: 40
; ScratchSize: 0
; MemoryBound: 0
; FloatMode: 240
; IeeeMode: 1
; LDSByteSize: 1024 bytes/workgroup (compile time only)
; SGPRBlocks: 3
; VGPRBlocks: 4
; NumSGPRsForWavesPerEU: 30
; NumVGPRsForWavesPerEU: 40
; AccumOffset: 40
; Occupancy: 8
; WaveLimiterHint : 0
; COMPUTE_PGM_RSRC2:SCRATCH_EN: 0
; COMPUTE_PGM_RSRC2:USER_SGPR: 2
; COMPUTE_PGM_RSRC2:TRAP_HANDLER: 0
; COMPUTE_PGM_RSRC2:TGID_X_EN: 1
; COMPUTE_PGM_RSRC2:TGID_Y_EN: 1
; COMPUTE_PGM_RSRC2:TGID_Z_EN: 1
; COMPUTE_PGM_RSRC2:TIDIG_COMP_CNT: 1
; COMPUTE_PGM_RSRC3_GFX90A:ACCUM_OFFSET: 9
; COMPUTE_PGM_RSRC3_GFX90A:TG_SPLIT: 0
	.section	.text._ZN12_GLOBAL__N_127rocblas_gemm_batched_kernelIDF16_Li16ELi16ELi32ELi32ELi8ELi32ELi8ELi8ELi32ELc78ELc84EKDF16_S1_DF16_EEvlllT_PT11_llS4_llS2_PT12_llPT13_lli,"axG",@progbits,_ZN12_GLOBAL__N_127rocblas_gemm_batched_kernelIDF16_Li16ELi16ELi32ELi32ELi8ELi32ELi8ELi8ELi32ELc78ELc84EKDF16_S1_DF16_EEvlllT_PT11_llS4_llS2_PT12_llPT13_lli,comdat
	.globl	_ZN12_GLOBAL__N_127rocblas_gemm_batched_kernelIDF16_Li16ELi16ELi32ELi32ELi8ELi32ELi8ELi8ELi32ELc78ELc84EKDF16_S1_DF16_EEvlllT_PT11_llS4_llS2_PT12_llPT13_lli ; -- Begin function _ZN12_GLOBAL__N_127rocblas_gemm_batched_kernelIDF16_Li16ELi16ELi32ELi32ELi8ELi32ELi8ELi8ELi32ELc78ELc84EKDF16_S1_DF16_EEvlllT_PT11_llS4_llS2_PT12_llPT13_lli
	.p2align	8
	.type	_ZN12_GLOBAL__N_127rocblas_gemm_batched_kernelIDF16_Li16ELi16ELi32ELi32ELi8ELi32ELi8ELi8ELi32ELc78ELc84EKDF16_S1_DF16_EEvlllT_PT11_llS4_llS2_PT12_llPT13_lli,@function
_ZN12_GLOBAL__N_127rocblas_gemm_batched_kernelIDF16_Li16ELi16ELi32ELi32ELi8ELi32ELi8ELi8ELi32ELc78ELc84EKDF16_S1_DF16_EEvlllT_PT11_llS4_llS2_PT12_llPT13_lli: ; @_ZN12_GLOBAL__N_127rocblas_gemm_batched_kernelIDF16_Li16ELi16ELi32ELi32ELi8ELi32ELi8ELi8ELi32ELc78ELc84EKDF16_S1_DF16_EEvlllT_PT11_llS4_llS2_PT12_llPT13_lli
; %bb.0:
	s_load_dwordx2 s[16:17], s[0:1], 0x10
	s_mov_b32 s6, s3
	v_mov_b32_e32 v3, 0
	s_ashr_i32 s3, s2, 31
	s_ashr_i32 s7, s6, 31
	s_waitcnt lgkmcnt(0)
	v_cmp_lt_i64_e64 s[8:9], s[16:17], 1
	v_bfe_u32 v2, v0, 10, 10
	v_and_b32_e32 v0, 0x3ff, v0
	v_mov_b32_e32 v1, v3
	s_lshl_b64 s[2:3], s[2:3], 5
	s_lshl_b64 s[6:7], s[6:7], 5
	s_and_b64 vcc, exec, s[8:9]
	s_cbranch_vccnz .LBB13_3
; %bb.1:
	s_load_dwordx8 s[8:15], s[0:1], 0x20
	s_load_dwordx4 s[20:23], s[0:1], 0x40
	v_lshlrev_b32_e32 v8, 4, v2
	v_add_u32_e32 v9, v8, v0
	v_and_b32_e32 v6, 31, v9
	v_lshrrev_b32_e32 v4, 3, v9
	v_and_b32_e32 v10, 7, v0
	v_lshrrev_b32_e32 v11, 5, v9
	v_lshlrev_b32_e32 v9, 1, v6
	v_mov_b32_e32 v5, v3
	v_lshl_or_b32 v12, v11, 6, v9
	v_lshlrev_b32_e32 v9, 1, v10
	s_waitcnt lgkmcnt(0)
	s_mul_i32 s5, s23, s4
	s_mul_hi_u32 s18, s22, s4
	v_lshl_or_b32 v9, v4, 4, v9
	s_add_i32 s19, s18, s5
	s_mul_i32 s18, s22, s4
	v_mad_u64_u32 v[4:5], s[22:23], s20, v10, v[4:5]
	v_add_u32_e32 v15, 0x200, v8
	v_mov_b32_e32 v8, v5
	v_add_u32_e32 v13, 0x200, v9
	s_lshl_b64 s[18:19], s[18:19], 1
	v_mad_u64_u32 v[8:9], s[22:23], s21, v10, v[8:9]
	v_mov_b32_e32 v5, v8
	s_add_u32 s14, s14, s18
	v_mov_b64_e32 v[8:9], s[2:3]
	s_addc_u32 s15, s15, s19
	s_mul_i32 s5, s13, s4
	s_mul_hi_u32 s13, s12, s4
	v_mad_u64_u32 v[8:9], s[18:19], s10, v11, v[8:9]
	v_lshl_add_u64 v[4:5], v[4:5], 0, s[6:7]
	s_add_i32 s13, s13, s5
	s_mul_i32 s12, s12, s4
	v_mov_b32_e32 v10, v9
	v_lshl_add_u64 v[4:5], v[4:5], 1, s[14:15]
	s_lshl_b64 s[14:15], s[20:21], 4
	s_lshl_b64 s[12:13], s[12:13], 1
	v_mad_u64_u32 v[10:11], s[18:19], s11, v11, v[10:11]
	v_mov_b32_e32 v7, v3
	v_mov_b32_e32 v9, v10
	s_add_u32 s8, s8, s12
	v_lshl_add_u64 v[6:7], v[8:9], 0, v[6:7]
	s_addc_u32 s9, s9, s13
	v_lshlrev_b32_e32 v14, 1, v0
	v_lshl_add_u64 v[6:7], v[6:7], 1, s[8:9]
	s_lshl_b64 s[8:9], s[10:11], 4
	s_mov_b64 s[10:11], 0
	s_mov_b32 s5, 0x5040100
	v_mov_b64_e32 v[8:9], s[16:17]
	v_mov_b32_e32 v10, v3
	v_mov_b32_e32 v11, v3
.LBB13_2:                               ; =>This Inner Loop Header: Depth=1
	global_load_ushort v16, v[6:7], off
	global_load_ushort v17, v[4:5], off
	s_add_u32 s10, s10, 8
	s_addc_u32 s11, s11, 0
	v_cmp_lt_i64_e32 vcc, s[10:11], v[8:9]
	v_lshl_add_u64 v[4:5], v[4:5], 0, s[14:15]
	v_lshl_add_u64 v[6:7], v[6:7], 0, s[8:9]
	s_and_b64 vcc, exec, vcc
	s_waitcnt vmcnt(1)
	ds_write_b16 v12, v16
	s_waitcnt vmcnt(0)
	ds_write_b16 v13, v17
	s_waitcnt lgkmcnt(0)
	s_barrier
	ds_read_b128 v[16:19], v15
	ds_read_b128 v[20:23], v15 offset:256
	ds_read_u16 v24, v14
	ds_read_u16 v25, v14 offset:32
	ds_read_u16 v26, v14 offset:64
	;; [unrolled: 1-line block ×15, first 2 shown]
	s_waitcnt lgkmcnt(14)
	v_perm_b32 v24, v24, v25, s5
	s_waitcnt lgkmcnt(12)
	v_perm_b32 v25, v26, v27, s5
	v_pk_fma_f16 v11, v24, v16, v11 op_sel_hi:[1,0,1]
	v_pk_fma_f16 v10, v24, v20, v10 op_sel_hi:[1,0,1]
	s_waitcnt lgkmcnt(10)
	v_perm_b32 v26, v28, v29, s5
	v_pk_fma_f16 v11, v25, v16, v11 op_sel:[0,1,0]
	v_pk_fma_f16 v10, v25, v20, v10 op_sel:[0,1,0]
	s_waitcnt lgkmcnt(8)
	v_perm_b32 v27, v30, v31, s5
	v_pk_fma_f16 v11, v26, v17, v11 op_sel_hi:[1,0,1]
	v_pk_fma_f16 v10, v26, v21, v10 op_sel_hi:[1,0,1]
	s_waitcnt lgkmcnt(6)
	v_perm_b32 v28, v32, v33, s5
	v_pk_fma_f16 v11, v27, v17, v11 op_sel:[0,1,0]
	v_pk_fma_f16 v10, v27, v21, v10 op_sel:[0,1,0]
	;; [unrolled: 8-line block ×3, first 2 shown]
	s_waitcnt lgkmcnt(0)
	v_perm_b32 v31, v38, v39, s5
	v_pk_fma_f16 v11, v30, v19, v11 op_sel_hi:[1,0,1]
	v_pk_fma_f16 v10, v30, v23, v10 op_sel_hi:[1,0,1]
	v_pk_fma_f16 v11, v31, v19, v11 op_sel:[0,1,0]
	v_pk_fma_f16 v10, v31, v23, v10 op_sel:[0,1,0]
	s_barrier
	s_cbranch_vccnz .LBB13_2
	s_branch .LBB13_4
.LBB13_3:
	v_mov_b32_e32 v11, v3
	v_mov_b32_e32 v10, v3
.LBB13_4:
	s_load_dwordx4 s[16:19], s[0:1], 0x78
	s_load_dword s5, s[0:1], 0x18
	s_load_dword s20, s[0:1], 0x50
	s_load_dwordx8 s[8:15], s[0:1], 0x58
	v_lshl_add_u64 v[2:3], s[6:7], 0, v[2:3]
	s_waitcnt lgkmcnt(0)
	s_mul_i32 s0, s19, s4
	s_mul_hi_u32 s1, s18, s4
	s_add_i32 s1, s1, s0
	s_mul_i32 s0, s18, s4
	s_lshl_b64 s[0:1], s[0:1], 1
	s_add_u32 s0, s14, s0
	v_cmp_neq_f16_e64 s[6:7], s20, 0
	v_lshl_add_u64 v[0:1], s[2:3], 0, v[0:1]
	s_addc_u32 s1, s15, s1
	s_and_b64 vcc, exec, s[6:7]
	v_mul_lo_u32 v6, v3, s16
	v_mul_lo_u32 v7, v2, s17
	v_lshrrev_b32_e32 v5, 16, v11
	v_lshlrev_b64 v[0:1], 1, v[0:1]
	v_lshrrev_b32_e32 v4, 16, v10
	s_cbranch_vccnz .LBB13_8
; %bb.5:
	v_mad_u64_u32 v[8:9], s[2:3], v2, s16, 0
	v_add3_u32 v9, v9, v7, v6
	v_lshl_add_u64 v[8:9], v[8:9], 1, s[0:1]
	v_mul_f16_sdwa v14, s5, v11 dst_sel:DWORD dst_unused:UNUSED_PAD src0_sel:DWORD src1_sel:WORD_1
	v_lshl_add_u64 v[12:13], v[8:9], 0, v[0:1]
	s_lshl_b64 s[2:3], s[16:17], 5
	global_store_short v[12:13], v14, off
	v_mul_f16_e32 v14, s5, v11
	v_lshl_add_u64 v[8:9], v[8:9], 0, s[2:3]
	global_store_short v[12:13], v14, off offset:32
	v_mul_f16_sdwa v12, s5, v10 dst_sel:DWORD dst_unused:UNUSED_PAD src0_sel:DWORD src1_sel:WORD_1
	v_lshl_add_u64 v[8:9], v[8:9], 0, v[0:1]
	global_store_short v[8:9], v12, off
	v_mul_f16_e32 v12, s5, v10
	global_store_short v[8:9], v12, off offset:32
	s_cbranch_execnz .LBB13_7
.LBB13_6:
	s_mul_i32 s2, s13, s4
	s_mul_hi_u32 s3, s12, s4
	s_add_i32 s3, s3, s2
	s_mul_i32 s2, s12, s4
	s_lshl_b64 s[2:3], s[2:3], 1
	s_add_u32 s2, s8, s2
	v_mul_lo_u32 v3, v3, s10
	v_mul_lo_u32 v12, v2, s11
	v_mad_u64_u32 v[8:9], s[6:7], v2, s10, 0
	s_addc_u32 s3, s9, s3
	v_add3_u32 v9, v9, v12, v3
	v_lshl_add_u64 v[8:9], v[8:9], 1, s[2:3]
	v_lshl_add_u64 v[12:13], v[8:9], 0, v[0:1]
	global_load_ushort v14, v[12:13], off
	v_mad_u64_u32 v[2:3], s[2:3], v2, s16, 0
	v_add3_u32 v3, v3, v7, v6
	v_lshl_add_u64 v[2:3], v[2:3], 1, s[0:1]
	v_lshl_add_u64 v[6:7], v[2:3], 0, v[0:1]
	s_lshl_b64 s[0:1], s[10:11], 5
	v_lshl_add_u64 v[8:9], v[8:9], 0, s[0:1]
	v_lshl_add_u64 v[8:9], v[8:9], 0, v[0:1]
	s_lshl_b64 s[0:1], s[16:17], 5
	v_lshl_add_u64 v[2:3], v[2:3], 0, s[0:1]
	v_lshl_add_u64 v[0:1], v[2:3], 0, v[0:1]
	s_waitcnt vmcnt(0)
	v_mul_f16_e32 v14, s20, v14
	v_fma_f16 v5, s5, v5, v14
	global_store_short v[6:7], v5, off
	global_load_ushort v5, v[12:13], off offset:32
	s_waitcnt vmcnt(0)
	v_mul_f16_e32 v5, s20, v5
	v_fma_f16 v5, s5, v11, v5
	global_store_short v[6:7], v5, off offset:32
	global_load_ushort v5, v[8:9], off
	s_waitcnt vmcnt(0)
	v_mul_f16_e32 v5, s20, v5
	v_fma_f16 v4, s5, v4, v5
	global_store_short v[0:1], v4, off
	global_load_ushort v2, v[8:9], off offset:32
	s_waitcnt vmcnt(0)
	v_mul_f16_e32 v2, s20, v2
	v_fma_f16 v2, s5, v10, v2
	global_store_short v[0:1], v2, off offset:32
.LBB13_7:
	s_endpgm
.LBB13_8:
	s_branch .LBB13_6
	.section	.rodata,"a",@progbits
	.p2align	6, 0x0
	.amdhsa_kernel _ZN12_GLOBAL__N_127rocblas_gemm_batched_kernelIDF16_Li16ELi16ELi32ELi32ELi8ELi32ELi8ELi8ELi32ELc78ELc84EKDF16_S1_DF16_EEvlllT_PT11_llS4_llS2_PT12_llPT13_lli
		.amdhsa_group_segment_fixed_size 1024
		.amdhsa_private_segment_fixed_size 0
		.amdhsa_kernarg_size 140
		.amdhsa_user_sgpr_count 2
		.amdhsa_user_sgpr_dispatch_ptr 0
		.amdhsa_user_sgpr_queue_ptr 0
		.amdhsa_user_sgpr_kernarg_segment_ptr 1
		.amdhsa_user_sgpr_dispatch_id 0
		.amdhsa_user_sgpr_kernarg_preload_length 0
		.amdhsa_user_sgpr_kernarg_preload_offset 0
		.amdhsa_user_sgpr_private_segment_size 0
		.amdhsa_uses_dynamic_stack 0
		.amdhsa_enable_private_segment 0
		.amdhsa_system_sgpr_workgroup_id_x 1
		.amdhsa_system_sgpr_workgroup_id_y 1
		.amdhsa_system_sgpr_workgroup_id_z 1
		.amdhsa_system_sgpr_workgroup_info 0
		.amdhsa_system_vgpr_workitem_id 1
		.amdhsa_next_free_vgpr 40
		.amdhsa_next_free_sgpr 24
		.amdhsa_accum_offset 40
		.amdhsa_reserve_vcc 1
		.amdhsa_float_round_mode_32 0
		.amdhsa_float_round_mode_16_64 0
		.amdhsa_float_denorm_mode_32 3
		.amdhsa_float_denorm_mode_16_64 3
		.amdhsa_dx10_clamp 1
		.amdhsa_ieee_mode 1
		.amdhsa_fp16_overflow 0
		.amdhsa_tg_split 0
		.amdhsa_exception_fp_ieee_invalid_op 0
		.amdhsa_exception_fp_denorm_src 0
		.amdhsa_exception_fp_ieee_div_zero 0
		.amdhsa_exception_fp_ieee_overflow 0
		.amdhsa_exception_fp_ieee_underflow 0
		.amdhsa_exception_fp_ieee_inexact 0
		.amdhsa_exception_int_div_zero 0
	.end_amdhsa_kernel
	.section	.text._ZN12_GLOBAL__N_127rocblas_gemm_batched_kernelIDF16_Li16ELi16ELi32ELi32ELi8ELi32ELi8ELi8ELi32ELc78ELc84EKDF16_S1_DF16_EEvlllT_PT11_llS4_llS2_PT12_llPT13_lli,"axG",@progbits,_ZN12_GLOBAL__N_127rocblas_gemm_batched_kernelIDF16_Li16ELi16ELi32ELi32ELi8ELi32ELi8ELi8ELi32ELc78ELc84EKDF16_S1_DF16_EEvlllT_PT11_llS4_llS2_PT12_llPT13_lli,comdat
.Lfunc_end13:
	.size	_ZN12_GLOBAL__N_127rocblas_gemm_batched_kernelIDF16_Li16ELi16ELi32ELi32ELi8ELi32ELi8ELi8ELi32ELc78ELc84EKDF16_S1_DF16_EEvlllT_PT11_llS4_llS2_PT12_llPT13_lli, .Lfunc_end13-_ZN12_GLOBAL__N_127rocblas_gemm_batched_kernelIDF16_Li16ELi16ELi32ELi32ELi8ELi32ELi8ELi8ELi32ELc78ELc84EKDF16_S1_DF16_EEvlllT_PT11_llS4_llS2_PT12_llPT13_lli
                                        ; -- End function
	.set _ZN12_GLOBAL__N_127rocblas_gemm_batched_kernelIDF16_Li16ELi16ELi32ELi32ELi8ELi32ELi8ELi8ELi32ELc78ELc84EKDF16_S1_DF16_EEvlllT_PT11_llS4_llS2_PT12_llPT13_lli.num_vgpr, 40
	.set _ZN12_GLOBAL__N_127rocblas_gemm_batched_kernelIDF16_Li16ELi16ELi32ELi32ELi8ELi32ELi8ELi8ELi32ELc78ELc84EKDF16_S1_DF16_EEvlllT_PT11_llS4_llS2_PT12_llPT13_lli.num_agpr, 0
	.set _ZN12_GLOBAL__N_127rocblas_gemm_batched_kernelIDF16_Li16ELi16ELi32ELi32ELi8ELi32ELi8ELi8ELi32ELc78ELc84EKDF16_S1_DF16_EEvlllT_PT11_llS4_llS2_PT12_llPT13_lli.numbered_sgpr, 24
	.set _ZN12_GLOBAL__N_127rocblas_gemm_batched_kernelIDF16_Li16ELi16ELi32ELi32ELi8ELi32ELi8ELi8ELi32ELc78ELc84EKDF16_S1_DF16_EEvlllT_PT11_llS4_llS2_PT12_llPT13_lli.num_named_barrier, 0
	.set _ZN12_GLOBAL__N_127rocblas_gemm_batched_kernelIDF16_Li16ELi16ELi32ELi32ELi8ELi32ELi8ELi8ELi32ELc78ELc84EKDF16_S1_DF16_EEvlllT_PT11_llS4_llS2_PT12_llPT13_lli.private_seg_size, 0
	.set _ZN12_GLOBAL__N_127rocblas_gemm_batched_kernelIDF16_Li16ELi16ELi32ELi32ELi8ELi32ELi8ELi8ELi32ELc78ELc84EKDF16_S1_DF16_EEvlllT_PT11_llS4_llS2_PT12_llPT13_lli.uses_vcc, 1
	.set _ZN12_GLOBAL__N_127rocblas_gemm_batched_kernelIDF16_Li16ELi16ELi32ELi32ELi8ELi32ELi8ELi8ELi32ELc78ELc84EKDF16_S1_DF16_EEvlllT_PT11_llS4_llS2_PT12_llPT13_lli.uses_flat_scratch, 0
	.set _ZN12_GLOBAL__N_127rocblas_gemm_batched_kernelIDF16_Li16ELi16ELi32ELi32ELi8ELi32ELi8ELi8ELi32ELc78ELc84EKDF16_S1_DF16_EEvlllT_PT11_llS4_llS2_PT12_llPT13_lli.has_dyn_sized_stack, 0
	.set _ZN12_GLOBAL__N_127rocblas_gemm_batched_kernelIDF16_Li16ELi16ELi32ELi32ELi8ELi32ELi8ELi8ELi32ELc78ELc84EKDF16_S1_DF16_EEvlllT_PT11_llS4_llS2_PT12_llPT13_lli.has_recursion, 0
	.set _ZN12_GLOBAL__N_127rocblas_gemm_batched_kernelIDF16_Li16ELi16ELi32ELi32ELi8ELi32ELi8ELi8ELi32ELc78ELc84EKDF16_S1_DF16_EEvlllT_PT11_llS4_llS2_PT12_llPT13_lli.has_indirect_call, 0
	.section	.AMDGPU.csdata,"",@progbits
; Kernel info:
; codeLenInByte = 1332
; TotalNumSgprs: 30
; NumVgprs: 40
; NumAgprs: 0
; TotalNumVgprs: 40
; ScratchSize: 0
; MemoryBound: 0
; FloatMode: 240
; IeeeMode: 1
; LDSByteSize: 1024 bytes/workgroup (compile time only)
; SGPRBlocks: 3
; VGPRBlocks: 4
; NumSGPRsForWavesPerEU: 30
; NumVGPRsForWavesPerEU: 40
; AccumOffset: 40
; Occupancy: 8
; WaveLimiterHint : 0
; COMPUTE_PGM_RSRC2:SCRATCH_EN: 0
; COMPUTE_PGM_RSRC2:USER_SGPR: 2
; COMPUTE_PGM_RSRC2:TRAP_HANDLER: 0
; COMPUTE_PGM_RSRC2:TGID_X_EN: 1
; COMPUTE_PGM_RSRC2:TGID_Y_EN: 1
; COMPUTE_PGM_RSRC2:TGID_Z_EN: 1
; COMPUTE_PGM_RSRC2:TIDIG_COMP_CNT: 1
; COMPUTE_PGM_RSRC3_GFX90A:ACCUM_OFFSET: 9
; COMPUTE_PGM_RSRC3_GFX90A:TG_SPLIT: 0
	.section	.text._ZN12_GLOBAL__N_127rocblas_gemm_batched_kernelIDF16_Li16ELi16ELi32ELi32ELi8ELi32ELi8ELi8ELi32ELc84ELc84EKDF16_S1_DF16_EEvlllT_PT11_llS4_llS2_PT12_llPT13_lli,"axG",@progbits,_ZN12_GLOBAL__N_127rocblas_gemm_batched_kernelIDF16_Li16ELi16ELi32ELi32ELi8ELi32ELi8ELi8ELi32ELc84ELc84EKDF16_S1_DF16_EEvlllT_PT11_llS4_llS2_PT12_llPT13_lli,comdat
	.globl	_ZN12_GLOBAL__N_127rocblas_gemm_batched_kernelIDF16_Li16ELi16ELi32ELi32ELi8ELi32ELi8ELi8ELi32ELc84ELc84EKDF16_S1_DF16_EEvlllT_PT11_llS4_llS2_PT12_llPT13_lli ; -- Begin function _ZN12_GLOBAL__N_127rocblas_gemm_batched_kernelIDF16_Li16ELi16ELi32ELi32ELi8ELi32ELi8ELi8ELi32ELc84ELc84EKDF16_S1_DF16_EEvlllT_PT11_llS4_llS2_PT12_llPT13_lli
	.p2align	8
	.type	_ZN12_GLOBAL__N_127rocblas_gemm_batched_kernelIDF16_Li16ELi16ELi32ELi32ELi8ELi32ELi8ELi8ELi32ELc84ELc84EKDF16_S1_DF16_EEvlllT_PT11_llS4_llS2_PT12_llPT13_lli,@function
_ZN12_GLOBAL__N_127rocblas_gemm_batched_kernelIDF16_Li16ELi16ELi32ELi32ELi8ELi32ELi8ELi8ELi32ELc84ELc84EKDF16_S1_DF16_EEvlllT_PT11_llS4_llS2_PT12_llPT13_lli: ; @_ZN12_GLOBAL__N_127rocblas_gemm_batched_kernelIDF16_Li16ELi16ELi32ELi32ELi8ELi32ELi8ELi8ELi32ELc84ELc84EKDF16_S1_DF16_EEvlllT_PT11_llS4_llS2_PT12_llPT13_lli
; %bb.0:
	s_load_dwordx2 s[16:17], s[0:1], 0x10
	s_mov_b32 s6, s3
	v_mov_b32_e32 v3, 0
	s_ashr_i32 s3, s2, 31
	s_ashr_i32 s7, s6, 31
	s_waitcnt lgkmcnt(0)
	v_cmp_lt_i64_e64 s[8:9], s[16:17], 1
	v_bfe_u32 v2, v0, 10, 10
	v_and_b32_e32 v0, 0x3ff, v0
	v_mov_b32_e32 v1, v3
	s_lshl_b64 s[2:3], s[2:3], 5
	s_lshl_b64 s[6:7], s[6:7], 5
	s_and_b64 vcc, exec, s[8:9]
	s_cbranch_vccnz .LBB14_3
; %bb.1:
	s_load_dwordx8 s[8:15], s[0:1], 0x20
	s_load_dwordx4 s[20:23], s[0:1], 0x40
	v_lshlrev_b32_e32 v8, 4, v2
	v_add_u32_e32 v9, v8, v0
	v_and_b32_e32 v6, 31, v9
	v_lshrrev_b32_e32 v4, 3, v9
	v_and_b32_e32 v10, 7, v0
	v_lshrrev_b32_e32 v11, 5, v9
	v_lshlrev_b32_e32 v9, 1, v6
	v_mov_b32_e32 v5, v3
	v_lshl_or_b32 v12, v11, 6, v9
	v_lshlrev_b32_e32 v9, 1, v10
	s_waitcnt lgkmcnt(0)
	s_mul_i32 s5, s23, s4
	s_mul_hi_u32 s18, s22, s4
	v_lshl_or_b32 v9, v4, 4, v9
	s_add_i32 s19, s18, s5
	s_mul_i32 s18, s22, s4
	v_mad_u64_u32 v[4:5], s[22:23], s20, v10, v[4:5]
	v_mov_b32_e32 v7, v3
	v_add_u32_e32 v15, 0x200, v8
	v_mov_b32_e32 v8, v5
	v_add_u32_e32 v13, 0x200, v9
	v_mad_u64_u32 v[8:9], s[22:23], s21, v10, v[8:9]
	v_lshl_add_u64 v[6:7], s[2:3], 0, v[6:7]
	s_lshl_b64 s[18:19], s[18:19], 1
	v_mov_b32_e32 v5, v8
	v_mul_lo_u32 v8, s11, v6
	v_mul_lo_u32 v9, s10, v7
	v_mad_u64_u32 v[6:7], s[10:11], s10, v6, 0
	s_add_u32 s14, s14, s18
	s_mul_i32 s5, s13, s4
	s_mul_hi_u32 s10, s12, s4
	s_addc_u32 s15, s15, s19
	s_add_i32 s11, s10, s5
	s_mul_i32 s10, s12, s4
	v_add3_u32 v7, v7, v9, v8
	s_lshl_b64 s[10:11], s[10:11], 1
	v_lshl_add_u64 v[6:7], v[6:7], 1, s[10:11]
	v_lshlrev_b32_e32 v8, 1, v11
	v_mov_b32_e32 v9, v3
	v_lshl_add_u64 v[4:5], v[4:5], 0, s[6:7]
	v_lshl_add_u64 v[6:7], v[6:7], 0, v[8:9]
	v_lshlrev_b32_e32 v14, 1, v0
	v_lshl_add_u64 v[4:5], v[4:5], 1, s[14:15]
	s_lshl_b64 s[14:15], s[20:21], 4
	v_lshl_add_u64 v[6:7], s[8:9], 0, v[6:7]
	s_mov_b64 s[8:9], 0
	s_mov_b32 s5, 0x5040100
	v_mov_b64_e32 v[8:9], s[16:17]
	v_mov_b32_e32 v10, v3
	v_mov_b32_e32 v11, v3
.LBB14_2:                               ; =>This Inner Loop Header: Depth=1
	global_load_ushort v16, v[6:7], off
	global_load_ushort v17, v[4:5], off
	s_add_u32 s8, s8, 8
	s_addc_u32 s9, s9, 0
	v_cmp_lt_i64_e32 vcc, s[8:9], v[8:9]
	v_lshl_add_u64 v[4:5], v[4:5], 0, s[14:15]
	v_lshl_add_u64 v[6:7], v[6:7], 0, 16
	s_and_b64 vcc, exec, vcc
	s_waitcnt vmcnt(1)
	ds_write_b16 v12, v16
	s_waitcnt vmcnt(0)
	ds_write_b16 v13, v17
	s_waitcnt lgkmcnt(0)
	s_barrier
	ds_read_b128 v[16:19], v15
	ds_read_b128 v[20:23], v15 offset:256
	ds_read_u16 v24, v14
	ds_read_u16 v25, v14 offset:32
	ds_read_u16 v26, v14 offset:64
	;; [unrolled: 1-line block ×15, first 2 shown]
	s_waitcnt lgkmcnt(14)
	v_perm_b32 v24, v24, v25, s5
	s_waitcnt lgkmcnt(12)
	v_perm_b32 v25, v26, v27, s5
	v_pk_fma_f16 v11, v24, v16, v11 op_sel_hi:[1,0,1]
	v_pk_fma_f16 v10, v24, v20, v10 op_sel_hi:[1,0,1]
	s_waitcnt lgkmcnt(10)
	v_perm_b32 v26, v28, v29, s5
	v_pk_fma_f16 v11, v25, v16, v11 op_sel:[0,1,0]
	v_pk_fma_f16 v10, v25, v20, v10 op_sel:[0,1,0]
	s_waitcnt lgkmcnt(8)
	v_perm_b32 v27, v30, v31, s5
	v_pk_fma_f16 v11, v26, v17, v11 op_sel_hi:[1,0,1]
	v_pk_fma_f16 v10, v26, v21, v10 op_sel_hi:[1,0,1]
	s_waitcnt lgkmcnt(6)
	v_perm_b32 v28, v32, v33, s5
	v_pk_fma_f16 v11, v27, v17, v11 op_sel:[0,1,0]
	v_pk_fma_f16 v10, v27, v21, v10 op_sel:[0,1,0]
	;; [unrolled: 8-line block ×3, first 2 shown]
	s_waitcnt lgkmcnt(0)
	v_perm_b32 v31, v38, v39, s5
	v_pk_fma_f16 v11, v30, v19, v11 op_sel_hi:[1,0,1]
	v_pk_fma_f16 v10, v30, v23, v10 op_sel_hi:[1,0,1]
	v_pk_fma_f16 v11, v31, v19, v11 op_sel:[0,1,0]
	v_pk_fma_f16 v10, v31, v23, v10 op_sel:[0,1,0]
	s_barrier
	s_cbranch_vccnz .LBB14_2
	s_branch .LBB14_4
.LBB14_3:
	v_mov_b32_e32 v11, v3
	v_mov_b32_e32 v10, v3
.LBB14_4:
	s_load_dwordx4 s[16:19], s[0:1], 0x78
	s_load_dword s5, s[0:1], 0x18
	s_load_dword s20, s[0:1], 0x50
	s_load_dwordx8 s[8:15], s[0:1], 0x58
	v_lshl_add_u64 v[2:3], s[6:7], 0, v[2:3]
	s_waitcnt lgkmcnt(0)
	s_mul_i32 s0, s19, s4
	s_mul_hi_u32 s1, s18, s4
	s_add_i32 s1, s1, s0
	s_mul_i32 s0, s18, s4
	s_lshl_b64 s[0:1], s[0:1], 1
	s_add_u32 s0, s14, s0
	v_cmp_neq_f16_e64 s[6:7], s20, 0
	v_lshl_add_u64 v[0:1], s[2:3], 0, v[0:1]
	s_addc_u32 s1, s15, s1
	s_and_b64 vcc, exec, s[6:7]
	v_mul_lo_u32 v6, v3, s16
	v_mul_lo_u32 v7, v2, s17
	v_lshrrev_b32_e32 v5, 16, v11
	v_lshlrev_b64 v[0:1], 1, v[0:1]
	v_lshrrev_b32_e32 v4, 16, v10
	s_cbranch_vccnz .LBB14_8
; %bb.5:
	v_mad_u64_u32 v[8:9], s[2:3], v2, s16, 0
	v_add3_u32 v9, v9, v7, v6
	v_lshl_add_u64 v[8:9], v[8:9], 1, s[0:1]
	v_mul_f16_sdwa v14, s5, v11 dst_sel:DWORD dst_unused:UNUSED_PAD src0_sel:DWORD src1_sel:WORD_1
	v_lshl_add_u64 v[12:13], v[8:9], 0, v[0:1]
	s_lshl_b64 s[2:3], s[16:17], 5
	global_store_short v[12:13], v14, off
	v_mul_f16_e32 v14, s5, v11
	v_lshl_add_u64 v[8:9], v[8:9], 0, s[2:3]
	global_store_short v[12:13], v14, off offset:32
	v_mul_f16_sdwa v12, s5, v10 dst_sel:DWORD dst_unused:UNUSED_PAD src0_sel:DWORD src1_sel:WORD_1
	v_lshl_add_u64 v[8:9], v[8:9], 0, v[0:1]
	global_store_short v[8:9], v12, off
	v_mul_f16_e32 v12, s5, v10
	global_store_short v[8:9], v12, off offset:32
	s_cbranch_execnz .LBB14_7
.LBB14_6:
	s_mul_i32 s2, s13, s4
	s_mul_hi_u32 s3, s12, s4
	s_add_i32 s3, s3, s2
	s_mul_i32 s2, s12, s4
	s_lshl_b64 s[2:3], s[2:3], 1
	s_add_u32 s2, s8, s2
	v_mul_lo_u32 v3, v3, s10
	v_mul_lo_u32 v12, v2, s11
	v_mad_u64_u32 v[8:9], s[6:7], v2, s10, 0
	s_addc_u32 s3, s9, s3
	v_add3_u32 v9, v9, v12, v3
	v_lshl_add_u64 v[8:9], v[8:9], 1, s[2:3]
	v_lshl_add_u64 v[12:13], v[8:9], 0, v[0:1]
	global_load_ushort v14, v[12:13], off
	v_mad_u64_u32 v[2:3], s[2:3], v2, s16, 0
	v_add3_u32 v3, v3, v7, v6
	v_lshl_add_u64 v[2:3], v[2:3], 1, s[0:1]
	v_lshl_add_u64 v[6:7], v[2:3], 0, v[0:1]
	s_lshl_b64 s[0:1], s[10:11], 5
	v_lshl_add_u64 v[8:9], v[8:9], 0, s[0:1]
	v_lshl_add_u64 v[8:9], v[8:9], 0, v[0:1]
	s_lshl_b64 s[0:1], s[16:17], 5
	v_lshl_add_u64 v[2:3], v[2:3], 0, s[0:1]
	v_lshl_add_u64 v[0:1], v[2:3], 0, v[0:1]
	s_waitcnt vmcnt(0)
	v_mul_f16_e32 v14, s20, v14
	v_fma_f16 v5, s5, v5, v14
	global_store_short v[6:7], v5, off
	global_load_ushort v5, v[12:13], off offset:32
	s_waitcnt vmcnt(0)
	v_mul_f16_e32 v5, s20, v5
	v_fma_f16 v5, s5, v11, v5
	global_store_short v[6:7], v5, off offset:32
	global_load_ushort v5, v[8:9], off
	s_waitcnt vmcnt(0)
	v_mul_f16_e32 v5, s20, v5
	v_fma_f16 v4, s5, v4, v5
	global_store_short v[0:1], v4, off
	global_load_ushort v2, v[8:9], off offset:32
	s_waitcnt vmcnt(0)
	v_mul_f16_e32 v2, s20, v2
	v_fma_f16 v2, s5, v10, v2
	global_store_short v[0:1], v2, off offset:32
.LBB14_7:
	s_endpgm
.LBB14_8:
	s_branch .LBB14_6
	.section	.rodata,"a",@progbits
	.p2align	6, 0x0
	.amdhsa_kernel _ZN12_GLOBAL__N_127rocblas_gemm_batched_kernelIDF16_Li16ELi16ELi32ELi32ELi8ELi32ELi8ELi8ELi32ELc84ELc84EKDF16_S1_DF16_EEvlllT_PT11_llS4_llS2_PT12_llPT13_lli
		.amdhsa_group_segment_fixed_size 1024
		.amdhsa_private_segment_fixed_size 0
		.amdhsa_kernarg_size 140
		.amdhsa_user_sgpr_count 2
		.amdhsa_user_sgpr_dispatch_ptr 0
		.amdhsa_user_sgpr_queue_ptr 0
		.amdhsa_user_sgpr_kernarg_segment_ptr 1
		.amdhsa_user_sgpr_dispatch_id 0
		.amdhsa_user_sgpr_kernarg_preload_length 0
		.amdhsa_user_sgpr_kernarg_preload_offset 0
		.amdhsa_user_sgpr_private_segment_size 0
		.amdhsa_uses_dynamic_stack 0
		.amdhsa_enable_private_segment 0
		.amdhsa_system_sgpr_workgroup_id_x 1
		.amdhsa_system_sgpr_workgroup_id_y 1
		.amdhsa_system_sgpr_workgroup_id_z 1
		.amdhsa_system_sgpr_workgroup_info 0
		.amdhsa_system_vgpr_workitem_id 1
		.amdhsa_next_free_vgpr 40
		.amdhsa_next_free_sgpr 24
		.amdhsa_accum_offset 40
		.amdhsa_reserve_vcc 1
		.amdhsa_float_round_mode_32 0
		.amdhsa_float_round_mode_16_64 0
		.amdhsa_float_denorm_mode_32 3
		.amdhsa_float_denorm_mode_16_64 3
		.amdhsa_dx10_clamp 1
		.amdhsa_ieee_mode 1
		.amdhsa_fp16_overflow 0
		.amdhsa_tg_split 0
		.amdhsa_exception_fp_ieee_invalid_op 0
		.amdhsa_exception_fp_denorm_src 0
		.amdhsa_exception_fp_ieee_div_zero 0
		.amdhsa_exception_fp_ieee_overflow 0
		.amdhsa_exception_fp_ieee_underflow 0
		.amdhsa_exception_fp_ieee_inexact 0
		.amdhsa_exception_int_div_zero 0
	.end_amdhsa_kernel
	.section	.text._ZN12_GLOBAL__N_127rocblas_gemm_batched_kernelIDF16_Li16ELi16ELi32ELi32ELi8ELi32ELi8ELi8ELi32ELc84ELc84EKDF16_S1_DF16_EEvlllT_PT11_llS4_llS2_PT12_llPT13_lli,"axG",@progbits,_ZN12_GLOBAL__N_127rocblas_gemm_batched_kernelIDF16_Li16ELi16ELi32ELi32ELi8ELi32ELi8ELi8ELi32ELc84ELc84EKDF16_S1_DF16_EEvlllT_PT11_llS4_llS2_PT12_llPT13_lli,comdat
.Lfunc_end14:
	.size	_ZN12_GLOBAL__N_127rocblas_gemm_batched_kernelIDF16_Li16ELi16ELi32ELi32ELi8ELi32ELi8ELi8ELi32ELc84ELc84EKDF16_S1_DF16_EEvlllT_PT11_llS4_llS2_PT12_llPT13_lli, .Lfunc_end14-_ZN12_GLOBAL__N_127rocblas_gemm_batched_kernelIDF16_Li16ELi16ELi32ELi32ELi8ELi32ELi8ELi8ELi32ELc84ELc84EKDF16_S1_DF16_EEvlllT_PT11_llS4_llS2_PT12_llPT13_lli
                                        ; -- End function
	.set _ZN12_GLOBAL__N_127rocblas_gemm_batched_kernelIDF16_Li16ELi16ELi32ELi32ELi8ELi32ELi8ELi8ELi32ELc84ELc84EKDF16_S1_DF16_EEvlllT_PT11_llS4_llS2_PT12_llPT13_lli.num_vgpr, 40
	.set _ZN12_GLOBAL__N_127rocblas_gemm_batched_kernelIDF16_Li16ELi16ELi32ELi32ELi8ELi32ELi8ELi8ELi32ELc84ELc84EKDF16_S1_DF16_EEvlllT_PT11_llS4_llS2_PT12_llPT13_lli.num_agpr, 0
	.set _ZN12_GLOBAL__N_127rocblas_gemm_batched_kernelIDF16_Li16ELi16ELi32ELi32ELi8ELi32ELi8ELi8ELi32ELc84ELc84EKDF16_S1_DF16_EEvlllT_PT11_llS4_llS2_PT12_llPT13_lli.numbered_sgpr, 24
	.set _ZN12_GLOBAL__N_127rocblas_gemm_batched_kernelIDF16_Li16ELi16ELi32ELi32ELi8ELi32ELi8ELi8ELi32ELc84ELc84EKDF16_S1_DF16_EEvlllT_PT11_llS4_llS2_PT12_llPT13_lli.num_named_barrier, 0
	.set _ZN12_GLOBAL__N_127rocblas_gemm_batched_kernelIDF16_Li16ELi16ELi32ELi32ELi8ELi32ELi8ELi8ELi32ELc84ELc84EKDF16_S1_DF16_EEvlllT_PT11_llS4_llS2_PT12_llPT13_lli.private_seg_size, 0
	.set _ZN12_GLOBAL__N_127rocblas_gemm_batched_kernelIDF16_Li16ELi16ELi32ELi32ELi8ELi32ELi8ELi8ELi32ELc84ELc84EKDF16_S1_DF16_EEvlllT_PT11_llS4_llS2_PT12_llPT13_lli.uses_vcc, 1
	.set _ZN12_GLOBAL__N_127rocblas_gemm_batched_kernelIDF16_Li16ELi16ELi32ELi32ELi8ELi32ELi8ELi8ELi32ELc84ELc84EKDF16_S1_DF16_EEvlllT_PT11_llS4_llS2_PT12_llPT13_lli.uses_flat_scratch, 0
	.set _ZN12_GLOBAL__N_127rocblas_gemm_batched_kernelIDF16_Li16ELi16ELi32ELi32ELi8ELi32ELi8ELi8ELi32ELc84ELc84EKDF16_S1_DF16_EEvlllT_PT11_llS4_llS2_PT12_llPT13_lli.has_dyn_sized_stack, 0
	.set _ZN12_GLOBAL__N_127rocblas_gemm_batched_kernelIDF16_Li16ELi16ELi32ELi32ELi8ELi32ELi8ELi8ELi32ELc84ELc84EKDF16_S1_DF16_EEvlllT_PT11_llS4_llS2_PT12_llPT13_lli.has_recursion, 0
	.set _ZN12_GLOBAL__N_127rocblas_gemm_batched_kernelIDF16_Li16ELi16ELi32ELi32ELi8ELi32ELi8ELi8ELi32ELc84ELc84EKDF16_S1_DF16_EEvlllT_PT11_llS4_llS2_PT12_llPT13_lli.has_indirect_call, 0
	.section	.AMDGPU.csdata,"",@progbits
; Kernel info:
; codeLenInByte = 1348
; TotalNumSgprs: 30
; NumVgprs: 40
; NumAgprs: 0
; TotalNumVgprs: 40
; ScratchSize: 0
; MemoryBound: 0
; FloatMode: 240
; IeeeMode: 1
; LDSByteSize: 1024 bytes/workgroup (compile time only)
; SGPRBlocks: 3
; VGPRBlocks: 4
; NumSGPRsForWavesPerEU: 30
; NumVGPRsForWavesPerEU: 40
; AccumOffset: 40
; Occupancy: 8
; WaveLimiterHint : 0
; COMPUTE_PGM_RSRC2:SCRATCH_EN: 0
; COMPUTE_PGM_RSRC2:USER_SGPR: 2
; COMPUTE_PGM_RSRC2:TRAP_HANDLER: 0
; COMPUTE_PGM_RSRC2:TGID_X_EN: 1
; COMPUTE_PGM_RSRC2:TGID_Y_EN: 1
; COMPUTE_PGM_RSRC2:TGID_Z_EN: 1
; COMPUTE_PGM_RSRC2:TIDIG_COMP_CNT: 1
; COMPUTE_PGM_RSRC3_GFX90A:ACCUM_OFFSET: 9
; COMPUTE_PGM_RSRC3_GFX90A:TG_SPLIT: 0
	.section	.text._ZN12_GLOBAL__N_127rocblas_gemm_batched_kernelIDF16_Li16ELi16ELi32ELi32ELi8ELi32ELi8ELi8ELi32ELc67ELc67EKDF16_S1_DF16_EEvlllT_PT11_llS4_llS2_PT12_llPT13_lli,"axG",@progbits,_ZN12_GLOBAL__N_127rocblas_gemm_batched_kernelIDF16_Li16ELi16ELi32ELi32ELi8ELi32ELi8ELi8ELi32ELc67ELc67EKDF16_S1_DF16_EEvlllT_PT11_llS4_llS2_PT12_llPT13_lli,comdat
	.globl	_ZN12_GLOBAL__N_127rocblas_gemm_batched_kernelIDF16_Li16ELi16ELi32ELi32ELi8ELi32ELi8ELi8ELi32ELc67ELc67EKDF16_S1_DF16_EEvlllT_PT11_llS4_llS2_PT12_llPT13_lli ; -- Begin function _ZN12_GLOBAL__N_127rocblas_gemm_batched_kernelIDF16_Li16ELi16ELi32ELi32ELi8ELi32ELi8ELi8ELi32ELc67ELc67EKDF16_S1_DF16_EEvlllT_PT11_llS4_llS2_PT12_llPT13_lli
	.p2align	8
	.type	_ZN12_GLOBAL__N_127rocblas_gemm_batched_kernelIDF16_Li16ELi16ELi32ELi32ELi8ELi32ELi8ELi8ELi32ELc67ELc67EKDF16_S1_DF16_EEvlllT_PT11_llS4_llS2_PT12_llPT13_lli,@function
_ZN12_GLOBAL__N_127rocblas_gemm_batched_kernelIDF16_Li16ELi16ELi32ELi32ELi8ELi32ELi8ELi8ELi32ELc67ELc67EKDF16_S1_DF16_EEvlllT_PT11_llS4_llS2_PT12_llPT13_lli: ; @_ZN12_GLOBAL__N_127rocblas_gemm_batched_kernelIDF16_Li16ELi16ELi32ELi32ELi8ELi32ELi8ELi8ELi32ELc67ELc67EKDF16_S1_DF16_EEvlllT_PT11_llS4_llS2_PT12_llPT13_lli
; %bb.0:
	s_load_dwordx2 s[16:17], s[0:1], 0x10
	s_mov_b32 s6, s3
	v_mov_b32_e32 v3, 0
	s_ashr_i32 s3, s2, 31
	s_ashr_i32 s7, s6, 31
	s_waitcnt lgkmcnt(0)
	v_cmp_lt_i64_e64 s[8:9], s[16:17], 1
	v_bfe_u32 v2, v0, 10, 10
	v_and_b32_e32 v0, 0x3ff, v0
	v_mov_b32_e32 v1, v3
	s_lshl_b64 s[2:3], s[2:3], 5
	s_lshl_b64 s[6:7], s[6:7], 5
	s_and_b64 vcc, exec, s[8:9]
	s_cbranch_vccnz .LBB15_3
; %bb.1:
	s_load_dwordx8 s[8:15], s[0:1], 0x20
	s_load_dwordx4 s[20:23], s[0:1], 0x40
	v_lshlrev_b32_e32 v8, 4, v2
	v_add_u32_e32 v9, v8, v0
	v_and_b32_e32 v6, 31, v9
	v_lshrrev_b32_e32 v4, 3, v9
	v_and_b32_e32 v10, 7, v0
	v_lshrrev_b32_e32 v11, 5, v9
	v_lshlrev_b32_e32 v9, 1, v6
	v_mov_b32_e32 v5, v3
	v_lshl_or_b32 v12, v11, 6, v9
	v_lshlrev_b32_e32 v9, 1, v10
	s_waitcnt lgkmcnt(0)
	s_mul_i32 s5, s23, s4
	s_mul_hi_u32 s18, s22, s4
	v_lshl_or_b32 v9, v4, 4, v9
	s_add_i32 s19, s18, s5
	s_mul_i32 s18, s22, s4
	v_mad_u64_u32 v[4:5], s[22:23], s20, v10, v[4:5]
	v_mov_b32_e32 v7, v3
	v_add_u32_e32 v15, 0x200, v8
	v_mov_b32_e32 v8, v5
	v_add_u32_e32 v13, 0x200, v9
	v_mad_u64_u32 v[8:9], s[22:23], s21, v10, v[8:9]
	v_lshl_add_u64 v[6:7], s[2:3], 0, v[6:7]
	s_lshl_b64 s[18:19], s[18:19], 1
	v_mov_b32_e32 v5, v8
	v_mul_lo_u32 v8, s11, v6
	v_mul_lo_u32 v9, s10, v7
	v_mad_u64_u32 v[6:7], s[10:11], s10, v6, 0
	s_add_u32 s14, s14, s18
	s_mul_i32 s5, s13, s4
	s_mul_hi_u32 s10, s12, s4
	s_addc_u32 s15, s15, s19
	s_add_i32 s11, s10, s5
	s_mul_i32 s10, s12, s4
	v_add3_u32 v7, v7, v9, v8
	s_lshl_b64 s[10:11], s[10:11], 1
	v_lshl_add_u64 v[6:7], v[6:7], 1, s[10:11]
	v_lshlrev_b32_e32 v8, 1, v11
	v_mov_b32_e32 v9, v3
	v_lshl_add_u64 v[4:5], v[4:5], 0, s[6:7]
	v_lshl_add_u64 v[6:7], v[6:7], 0, v[8:9]
	v_lshlrev_b32_e32 v14, 1, v0
	v_lshl_add_u64 v[4:5], v[4:5], 1, s[14:15]
	s_lshl_b64 s[14:15], s[20:21], 4
	v_lshl_add_u64 v[6:7], s[8:9], 0, v[6:7]
	s_mov_b64 s[8:9], 0
	s_mov_b32 s5, 0x5040100
	v_mov_b64_e32 v[8:9], s[16:17]
	v_mov_b32_e32 v10, v3
	v_mov_b32_e32 v11, v3
.LBB15_2:                               ; =>This Inner Loop Header: Depth=1
	global_load_ushort v16, v[6:7], off
	global_load_ushort v17, v[4:5], off
	s_add_u32 s8, s8, 8
	s_addc_u32 s9, s9, 0
	v_cmp_lt_i64_e32 vcc, s[8:9], v[8:9]
	v_lshl_add_u64 v[4:5], v[4:5], 0, s[14:15]
	v_lshl_add_u64 v[6:7], v[6:7], 0, 16
	s_and_b64 vcc, exec, vcc
	s_waitcnt vmcnt(1)
	ds_write_b16 v12, v16
	s_waitcnt vmcnt(0)
	ds_write_b16 v13, v17
	s_waitcnt lgkmcnt(0)
	s_barrier
	ds_read_b128 v[16:19], v15
	ds_read_b128 v[20:23], v15 offset:256
	ds_read_u16 v24, v14
	ds_read_u16 v25, v14 offset:32
	ds_read_u16 v26, v14 offset:64
	;; [unrolled: 1-line block ×15, first 2 shown]
	s_waitcnt lgkmcnt(14)
	v_perm_b32 v24, v24, v25, s5
	s_waitcnt lgkmcnt(12)
	v_perm_b32 v25, v26, v27, s5
	v_pk_fma_f16 v11, v24, v16, v11 op_sel_hi:[1,0,1]
	v_pk_fma_f16 v10, v24, v20, v10 op_sel_hi:[1,0,1]
	s_waitcnt lgkmcnt(10)
	v_perm_b32 v26, v28, v29, s5
	v_pk_fma_f16 v11, v25, v16, v11 op_sel:[0,1,0]
	v_pk_fma_f16 v10, v25, v20, v10 op_sel:[0,1,0]
	s_waitcnt lgkmcnt(8)
	v_perm_b32 v27, v30, v31, s5
	v_pk_fma_f16 v11, v26, v17, v11 op_sel_hi:[1,0,1]
	v_pk_fma_f16 v10, v26, v21, v10 op_sel_hi:[1,0,1]
	s_waitcnt lgkmcnt(6)
	v_perm_b32 v28, v32, v33, s5
	v_pk_fma_f16 v11, v27, v17, v11 op_sel:[0,1,0]
	v_pk_fma_f16 v10, v27, v21, v10 op_sel:[0,1,0]
	;; [unrolled: 8-line block ×3, first 2 shown]
	s_waitcnt lgkmcnt(0)
	v_perm_b32 v31, v38, v39, s5
	v_pk_fma_f16 v11, v30, v19, v11 op_sel_hi:[1,0,1]
	v_pk_fma_f16 v10, v30, v23, v10 op_sel_hi:[1,0,1]
	v_pk_fma_f16 v11, v31, v19, v11 op_sel:[0,1,0]
	v_pk_fma_f16 v10, v31, v23, v10 op_sel:[0,1,0]
	s_barrier
	s_cbranch_vccnz .LBB15_2
	s_branch .LBB15_4
.LBB15_3:
	v_mov_b32_e32 v11, v3
	v_mov_b32_e32 v10, v3
.LBB15_4:
	s_load_dwordx4 s[16:19], s[0:1], 0x78
	s_load_dword s5, s[0:1], 0x18
	s_load_dword s20, s[0:1], 0x50
	s_load_dwordx8 s[8:15], s[0:1], 0x58
	v_lshl_add_u64 v[2:3], s[6:7], 0, v[2:3]
	s_waitcnt lgkmcnt(0)
	s_mul_i32 s0, s19, s4
	s_mul_hi_u32 s1, s18, s4
	s_add_i32 s1, s1, s0
	s_mul_i32 s0, s18, s4
	s_lshl_b64 s[0:1], s[0:1], 1
	s_add_u32 s0, s14, s0
	v_cmp_neq_f16_e64 s[6:7], s20, 0
	v_lshl_add_u64 v[0:1], s[2:3], 0, v[0:1]
	s_addc_u32 s1, s15, s1
	s_and_b64 vcc, exec, s[6:7]
	v_mul_lo_u32 v6, v3, s16
	v_mul_lo_u32 v7, v2, s17
	v_lshrrev_b32_e32 v5, 16, v11
	v_lshlrev_b64 v[0:1], 1, v[0:1]
	v_lshrrev_b32_e32 v4, 16, v10
	s_cbranch_vccnz .LBB15_8
; %bb.5:
	v_mad_u64_u32 v[8:9], s[2:3], v2, s16, 0
	v_add3_u32 v9, v9, v7, v6
	v_lshl_add_u64 v[8:9], v[8:9], 1, s[0:1]
	v_mul_f16_sdwa v14, s5, v11 dst_sel:DWORD dst_unused:UNUSED_PAD src0_sel:DWORD src1_sel:WORD_1
	v_lshl_add_u64 v[12:13], v[8:9], 0, v[0:1]
	s_lshl_b64 s[2:3], s[16:17], 5
	global_store_short v[12:13], v14, off
	v_mul_f16_e32 v14, s5, v11
	v_lshl_add_u64 v[8:9], v[8:9], 0, s[2:3]
	global_store_short v[12:13], v14, off offset:32
	v_mul_f16_sdwa v12, s5, v10 dst_sel:DWORD dst_unused:UNUSED_PAD src0_sel:DWORD src1_sel:WORD_1
	v_lshl_add_u64 v[8:9], v[8:9], 0, v[0:1]
	global_store_short v[8:9], v12, off
	v_mul_f16_e32 v12, s5, v10
	global_store_short v[8:9], v12, off offset:32
	s_cbranch_execnz .LBB15_7
.LBB15_6:
	s_mul_i32 s2, s13, s4
	s_mul_hi_u32 s3, s12, s4
	s_add_i32 s3, s3, s2
	s_mul_i32 s2, s12, s4
	s_lshl_b64 s[2:3], s[2:3], 1
	s_add_u32 s2, s8, s2
	v_mul_lo_u32 v3, v3, s10
	v_mul_lo_u32 v12, v2, s11
	v_mad_u64_u32 v[8:9], s[6:7], v2, s10, 0
	s_addc_u32 s3, s9, s3
	v_add3_u32 v9, v9, v12, v3
	v_lshl_add_u64 v[8:9], v[8:9], 1, s[2:3]
	v_lshl_add_u64 v[12:13], v[8:9], 0, v[0:1]
	global_load_ushort v14, v[12:13], off
	v_mad_u64_u32 v[2:3], s[2:3], v2, s16, 0
	v_add3_u32 v3, v3, v7, v6
	v_lshl_add_u64 v[2:3], v[2:3], 1, s[0:1]
	v_lshl_add_u64 v[6:7], v[2:3], 0, v[0:1]
	s_lshl_b64 s[0:1], s[10:11], 5
	v_lshl_add_u64 v[8:9], v[8:9], 0, s[0:1]
	v_lshl_add_u64 v[8:9], v[8:9], 0, v[0:1]
	s_lshl_b64 s[0:1], s[16:17], 5
	v_lshl_add_u64 v[2:3], v[2:3], 0, s[0:1]
	v_lshl_add_u64 v[0:1], v[2:3], 0, v[0:1]
	s_waitcnt vmcnt(0)
	v_mul_f16_e32 v14, s20, v14
	v_fma_f16 v5, s5, v5, v14
	global_store_short v[6:7], v5, off
	global_load_ushort v5, v[12:13], off offset:32
	s_waitcnt vmcnt(0)
	v_mul_f16_e32 v5, s20, v5
	v_fma_f16 v5, s5, v11, v5
	global_store_short v[6:7], v5, off offset:32
	global_load_ushort v5, v[8:9], off
	s_waitcnt vmcnt(0)
	v_mul_f16_e32 v5, s20, v5
	v_fma_f16 v4, s5, v4, v5
	global_store_short v[0:1], v4, off
	global_load_ushort v2, v[8:9], off offset:32
	s_waitcnt vmcnt(0)
	v_mul_f16_e32 v2, s20, v2
	v_fma_f16 v2, s5, v10, v2
	global_store_short v[0:1], v2, off offset:32
.LBB15_7:
	s_endpgm
.LBB15_8:
	s_branch .LBB15_6
	.section	.rodata,"a",@progbits
	.p2align	6, 0x0
	.amdhsa_kernel _ZN12_GLOBAL__N_127rocblas_gemm_batched_kernelIDF16_Li16ELi16ELi32ELi32ELi8ELi32ELi8ELi8ELi32ELc67ELc67EKDF16_S1_DF16_EEvlllT_PT11_llS4_llS2_PT12_llPT13_lli
		.amdhsa_group_segment_fixed_size 1024
		.amdhsa_private_segment_fixed_size 0
		.amdhsa_kernarg_size 140
		.amdhsa_user_sgpr_count 2
		.amdhsa_user_sgpr_dispatch_ptr 0
		.amdhsa_user_sgpr_queue_ptr 0
		.amdhsa_user_sgpr_kernarg_segment_ptr 1
		.amdhsa_user_sgpr_dispatch_id 0
		.amdhsa_user_sgpr_kernarg_preload_length 0
		.amdhsa_user_sgpr_kernarg_preload_offset 0
		.amdhsa_user_sgpr_private_segment_size 0
		.amdhsa_uses_dynamic_stack 0
		.amdhsa_enable_private_segment 0
		.amdhsa_system_sgpr_workgroup_id_x 1
		.amdhsa_system_sgpr_workgroup_id_y 1
		.amdhsa_system_sgpr_workgroup_id_z 1
		.amdhsa_system_sgpr_workgroup_info 0
		.amdhsa_system_vgpr_workitem_id 1
		.amdhsa_next_free_vgpr 40
		.amdhsa_next_free_sgpr 24
		.amdhsa_accum_offset 40
		.amdhsa_reserve_vcc 1
		.amdhsa_float_round_mode_32 0
		.amdhsa_float_round_mode_16_64 0
		.amdhsa_float_denorm_mode_32 3
		.amdhsa_float_denorm_mode_16_64 3
		.amdhsa_dx10_clamp 1
		.amdhsa_ieee_mode 1
		.amdhsa_fp16_overflow 0
		.amdhsa_tg_split 0
		.amdhsa_exception_fp_ieee_invalid_op 0
		.amdhsa_exception_fp_denorm_src 0
		.amdhsa_exception_fp_ieee_div_zero 0
		.amdhsa_exception_fp_ieee_overflow 0
		.amdhsa_exception_fp_ieee_underflow 0
		.amdhsa_exception_fp_ieee_inexact 0
		.amdhsa_exception_int_div_zero 0
	.end_amdhsa_kernel
	.section	.text._ZN12_GLOBAL__N_127rocblas_gemm_batched_kernelIDF16_Li16ELi16ELi32ELi32ELi8ELi32ELi8ELi8ELi32ELc67ELc67EKDF16_S1_DF16_EEvlllT_PT11_llS4_llS2_PT12_llPT13_lli,"axG",@progbits,_ZN12_GLOBAL__N_127rocblas_gemm_batched_kernelIDF16_Li16ELi16ELi32ELi32ELi8ELi32ELi8ELi8ELi32ELc67ELc67EKDF16_S1_DF16_EEvlllT_PT11_llS4_llS2_PT12_llPT13_lli,comdat
.Lfunc_end15:
	.size	_ZN12_GLOBAL__N_127rocblas_gemm_batched_kernelIDF16_Li16ELi16ELi32ELi32ELi8ELi32ELi8ELi8ELi32ELc67ELc67EKDF16_S1_DF16_EEvlllT_PT11_llS4_llS2_PT12_llPT13_lli, .Lfunc_end15-_ZN12_GLOBAL__N_127rocblas_gemm_batched_kernelIDF16_Li16ELi16ELi32ELi32ELi8ELi32ELi8ELi8ELi32ELc67ELc67EKDF16_S1_DF16_EEvlllT_PT11_llS4_llS2_PT12_llPT13_lli
                                        ; -- End function
	.set _ZN12_GLOBAL__N_127rocblas_gemm_batched_kernelIDF16_Li16ELi16ELi32ELi32ELi8ELi32ELi8ELi8ELi32ELc67ELc67EKDF16_S1_DF16_EEvlllT_PT11_llS4_llS2_PT12_llPT13_lli.num_vgpr, 40
	.set _ZN12_GLOBAL__N_127rocblas_gemm_batched_kernelIDF16_Li16ELi16ELi32ELi32ELi8ELi32ELi8ELi8ELi32ELc67ELc67EKDF16_S1_DF16_EEvlllT_PT11_llS4_llS2_PT12_llPT13_lli.num_agpr, 0
	.set _ZN12_GLOBAL__N_127rocblas_gemm_batched_kernelIDF16_Li16ELi16ELi32ELi32ELi8ELi32ELi8ELi8ELi32ELc67ELc67EKDF16_S1_DF16_EEvlllT_PT11_llS4_llS2_PT12_llPT13_lli.numbered_sgpr, 24
	.set _ZN12_GLOBAL__N_127rocblas_gemm_batched_kernelIDF16_Li16ELi16ELi32ELi32ELi8ELi32ELi8ELi8ELi32ELc67ELc67EKDF16_S1_DF16_EEvlllT_PT11_llS4_llS2_PT12_llPT13_lli.num_named_barrier, 0
	.set _ZN12_GLOBAL__N_127rocblas_gemm_batched_kernelIDF16_Li16ELi16ELi32ELi32ELi8ELi32ELi8ELi8ELi32ELc67ELc67EKDF16_S1_DF16_EEvlllT_PT11_llS4_llS2_PT12_llPT13_lli.private_seg_size, 0
	.set _ZN12_GLOBAL__N_127rocblas_gemm_batched_kernelIDF16_Li16ELi16ELi32ELi32ELi8ELi32ELi8ELi8ELi32ELc67ELc67EKDF16_S1_DF16_EEvlllT_PT11_llS4_llS2_PT12_llPT13_lli.uses_vcc, 1
	.set _ZN12_GLOBAL__N_127rocblas_gemm_batched_kernelIDF16_Li16ELi16ELi32ELi32ELi8ELi32ELi8ELi8ELi32ELc67ELc67EKDF16_S1_DF16_EEvlllT_PT11_llS4_llS2_PT12_llPT13_lli.uses_flat_scratch, 0
	.set _ZN12_GLOBAL__N_127rocblas_gemm_batched_kernelIDF16_Li16ELi16ELi32ELi32ELi8ELi32ELi8ELi8ELi32ELc67ELc67EKDF16_S1_DF16_EEvlllT_PT11_llS4_llS2_PT12_llPT13_lli.has_dyn_sized_stack, 0
	.set _ZN12_GLOBAL__N_127rocblas_gemm_batched_kernelIDF16_Li16ELi16ELi32ELi32ELi8ELi32ELi8ELi8ELi32ELc67ELc67EKDF16_S1_DF16_EEvlllT_PT11_llS4_llS2_PT12_llPT13_lli.has_recursion, 0
	.set _ZN12_GLOBAL__N_127rocblas_gemm_batched_kernelIDF16_Li16ELi16ELi32ELi32ELi8ELi32ELi8ELi8ELi32ELc67ELc67EKDF16_S1_DF16_EEvlllT_PT11_llS4_llS2_PT12_llPT13_lli.has_indirect_call, 0
	.section	.AMDGPU.csdata,"",@progbits
; Kernel info:
; codeLenInByte = 1348
; TotalNumSgprs: 30
; NumVgprs: 40
; NumAgprs: 0
; TotalNumVgprs: 40
; ScratchSize: 0
; MemoryBound: 0
; FloatMode: 240
; IeeeMode: 1
; LDSByteSize: 1024 bytes/workgroup (compile time only)
; SGPRBlocks: 3
; VGPRBlocks: 4
; NumSGPRsForWavesPerEU: 30
; NumVGPRsForWavesPerEU: 40
; AccumOffset: 40
; Occupancy: 8
; WaveLimiterHint : 0
; COMPUTE_PGM_RSRC2:SCRATCH_EN: 0
; COMPUTE_PGM_RSRC2:USER_SGPR: 2
; COMPUTE_PGM_RSRC2:TRAP_HANDLER: 0
; COMPUTE_PGM_RSRC2:TGID_X_EN: 1
; COMPUTE_PGM_RSRC2:TGID_Y_EN: 1
; COMPUTE_PGM_RSRC2:TGID_Z_EN: 1
; COMPUTE_PGM_RSRC2:TIDIG_COMP_CNT: 1
; COMPUTE_PGM_RSRC3_GFX90A:ACCUM_OFFSET: 9
; COMPUTE_PGM_RSRC3_GFX90A:TG_SPLIT: 0
	.section	.text._ZN12_GLOBAL__N_127rocblas_gemm_batched_kernelIDF16_Li16ELi16ELi32ELi32ELi8ELi32ELi8ELi8ELi32ELc67ELc78EKDF16_S1_DF16_EEvlllT_PT11_llS4_llS2_PT12_llPT13_lli,"axG",@progbits,_ZN12_GLOBAL__N_127rocblas_gemm_batched_kernelIDF16_Li16ELi16ELi32ELi32ELi8ELi32ELi8ELi8ELi32ELc67ELc78EKDF16_S1_DF16_EEvlllT_PT11_llS4_llS2_PT12_llPT13_lli,comdat
	.globl	_ZN12_GLOBAL__N_127rocblas_gemm_batched_kernelIDF16_Li16ELi16ELi32ELi32ELi8ELi32ELi8ELi8ELi32ELc67ELc78EKDF16_S1_DF16_EEvlllT_PT11_llS4_llS2_PT12_llPT13_lli ; -- Begin function _ZN12_GLOBAL__N_127rocblas_gemm_batched_kernelIDF16_Li16ELi16ELi32ELi32ELi8ELi32ELi8ELi8ELi32ELc67ELc78EKDF16_S1_DF16_EEvlllT_PT11_llS4_llS2_PT12_llPT13_lli
	.p2align	8
	.type	_ZN12_GLOBAL__N_127rocblas_gemm_batched_kernelIDF16_Li16ELi16ELi32ELi32ELi8ELi32ELi8ELi8ELi32ELc67ELc78EKDF16_S1_DF16_EEvlllT_PT11_llS4_llS2_PT12_llPT13_lli,@function
_ZN12_GLOBAL__N_127rocblas_gemm_batched_kernelIDF16_Li16ELi16ELi32ELi32ELi8ELi32ELi8ELi8ELi32ELc67ELc78EKDF16_S1_DF16_EEvlllT_PT11_llS4_llS2_PT12_llPT13_lli: ; @_ZN12_GLOBAL__N_127rocblas_gemm_batched_kernelIDF16_Li16ELi16ELi32ELi32ELi8ELi32ELi8ELi8ELi32ELc67ELc78EKDF16_S1_DF16_EEvlllT_PT11_llS4_llS2_PT12_llPT13_lli
; %bb.0:
	s_load_dwordx2 s[16:17], s[0:1], 0x10
	s_mov_b32 s6, s3
	v_mov_b32_e32 v3, 0
	s_ashr_i32 s3, s2, 31
	s_ashr_i32 s7, s6, 31
	s_waitcnt lgkmcnt(0)
	v_cmp_lt_i64_e64 s[8:9], s[16:17], 1
	v_bfe_u32 v2, v0, 10, 10
	v_and_b32_e32 v0, 0x3ff, v0
	v_mov_b32_e32 v1, v3
	s_lshl_b64 s[2:3], s[2:3], 5
	s_lshl_b64 s[6:7], s[6:7], 5
	s_and_b64 vcc, exec, s[8:9]
	s_cbranch_vccnz .LBB16_3
; %bb.1:
	v_lshlrev_b32_e32 v11, 4, v2
	s_load_dwordx8 s[8:15], s[0:1], 0x20
	s_load_dwordx4 s[20:23], s[0:1], 0x40
	v_add_u32_e32 v10, v11, v0
	v_lshrrev_b32_e32 v4, 3, v10
	v_mov_b32_e32 v5, v3
	v_and_b32_e32 v8, 31, v10
	v_lshl_add_u64 v[6:7], v[4:5], 0, s[6:7]
	v_and_b32_e32 v5, 7, v0
	v_lshrrev_b32_e32 v16, 5, v10
	v_lshlrev_b32_e32 v10, 1, v8
	v_lshl_or_b32 v12, v16, 6, v10
	v_lshlrev_b32_e32 v10, 1, v5
	v_lshl_or_b32 v4, v4, 4, v10
	v_mov_b32_e32 v9, v3
	v_add_u32_e32 v13, 0x200, v4
	v_add_u32_e32 v15, 0x200, v11
	s_waitcnt lgkmcnt(0)
	v_mul_lo_u32 v11, s21, v6
	v_mul_lo_u32 v7, s20, v7
	v_mad_u64_u32 v[4:5], s[18:19], s20, v6, 0
	v_add3_u32 v5, v5, v7, v11
	v_lshl_add_u64 v[6:7], s[2:3], 0, v[8:9]
	s_mul_i32 s5, s23, s4
	s_mul_hi_u32 s18, s22, s4
	v_mul_lo_u32 v8, s11, v6
	v_mul_lo_u32 v9, s10, v7
	v_mad_u64_u32 v[6:7], s[10:11], s10, v6, 0
	s_add_i32 s19, s18, s5
	s_mul_i32 s5, s13, s4
	s_mul_hi_u32 s10, s12, s4
	s_mul_i32 s18, s22, s4
	s_add_i32 s11, s10, s5
	s_mul_i32 s10, s12, s4
	s_lshl_b64 s[18:19], s[18:19], 1
	v_add3_u32 v7, v7, v9, v8
	s_lshl_b64 s[10:11], s[10:11], 1
	v_lshl_add_u64 v[4:5], v[4:5], 1, s[18:19]
	v_mov_b32_e32 v11, v3
	v_lshl_add_u64 v[6:7], v[6:7], 1, s[10:11]
	v_lshlrev_b32_e32 v8, 1, v16
	v_mov_b32_e32 v9, v3
	v_lshl_add_u64 v[4:5], v[4:5], 0, v[10:11]
	v_lshl_add_u64 v[6:7], v[6:7], 0, v[8:9]
	v_lshlrev_b32_e32 v14, 1, v0
	v_lshl_add_u64 v[4:5], s[14:15], 0, v[4:5]
	v_lshl_add_u64 v[6:7], s[8:9], 0, v[6:7]
	s_mov_b64 s[8:9], 0
	s_mov_b32 s5, 0x5040100
	v_mov_b64_e32 v[8:9], s[16:17]
	v_mov_b32_e32 v10, v3
.LBB16_2:                               ; =>This Inner Loop Header: Depth=1
	global_load_ushort v16, v[6:7], off
	global_load_ushort v17, v[4:5], off
	s_add_u32 s8, s8, 8
	s_addc_u32 s9, s9, 0
	v_cmp_lt_i64_e32 vcc, s[8:9], v[8:9]
	v_lshl_add_u64 v[4:5], v[4:5], 0, 16
	v_lshl_add_u64 v[6:7], v[6:7], 0, 16
	s_and_b64 vcc, exec, vcc
	s_waitcnt vmcnt(1)
	ds_write_b16 v12, v16
	s_waitcnt vmcnt(0)
	ds_write_b16 v13, v17
	s_waitcnt lgkmcnt(0)
	s_barrier
	ds_read_b128 v[16:19], v15
	ds_read_b128 v[20:23], v15 offset:256
	ds_read_u16 v24, v14
	ds_read_u16 v25, v14 offset:32
	ds_read_u16 v26, v14 offset:64
	;; [unrolled: 1-line block ×15, first 2 shown]
	s_waitcnt lgkmcnt(14)
	v_perm_b32 v24, v24, v25, s5
	s_waitcnt lgkmcnt(12)
	v_perm_b32 v25, v26, v27, s5
	v_pk_fma_f16 v11, v24, v16, v11 op_sel_hi:[1,0,1]
	v_pk_fma_f16 v10, v24, v20, v10 op_sel_hi:[1,0,1]
	s_waitcnt lgkmcnt(10)
	v_perm_b32 v26, v28, v29, s5
	v_pk_fma_f16 v11, v25, v16, v11 op_sel:[0,1,0]
	v_pk_fma_f16 v10, v25, v20, v10 op_sel:[0,1,0]
	s_waitcnt lgkmcnt(8)
	v_perm_b32 v27, v30, v31, s5
	v_pk_fma_f16 v11, v26, v17, v11 op_sel_hi:[1,0,1]
	v_pk_fma_f16 v10, v26, v21, v10 op_sel_hi:[1,0,1]
	s_waitcnt lgkmcnt(6)
	v_perm_b32 v28, v32, v33, s5
	v_pk_fma_f16 v11, v27, v17, v11 op_sel:[0,1,0]
	v_pk_fma_f16 v10, v27, v21, v10 op_sel:[0,1,0]
	;; [unrolled: 8-line block ×3, first 2 shown]
	s_waitcnt lgkmcnt(0)
	v_perm_b32 v31, v38, v39, s5
	v_pk_fma_f16 v11, v30, v19, v11 op_sel_hi:[1,0,1]
	v_pk_fma_f16 v10, v30, v23, v10 op_sel_hi:[1,0,1]
	v_pk_fma_f16 v11, v31, v19, v11 op_sel:[0,1,0]
	v_pk_fma_f16 v10, v31, v23, v10 op_sel:[0,1,0]
	s_barrier
	s_cbranch_vccnz .LBB16_2
	s_branch .LBB16_4
.LBB16_3:
	v_mov_b32_e32 v11, v3
	v_mov_b32_e32 v10, v3
.LBB16_4:
	s_load_dwordx4 s[16:19], s[0:1], 0x78
	s_load_dword s5, s[0:1], 0x18
	s_load_dword s20, s[0:1], 0x50
	s_load_dwordx8 s[8:15], s[0:1], 0x58
	v_lshl_add_u64 v[2:3], s[6:7], 0, v[2:3]
	s_waitcnt lgkmcnt(0)
	s_mul_i32 s0, s19, s4
	s_mul_hi_u32 s1, s18, s4
	s_add_i32 s1, s1, s0
	s_mul_i32 s0, s18, s4
	s_lshl_b64 s[0:1], s[0:1], 1
	s_add_u32 s0, s14, s0
	v_cmp_neq_f16_e64 s[6:7], s20, 0
	v_lshl_add_u64 v[0:1], s[2:3], 0, v[0:1]
	s_addc_u32 s1, s15, s1
	s_and_b64 vcc, exec, s[6:7]
	v_mul_lo_u32 v6, v3, s16
	v_mul_lo_u32 v7, v2, s17
	v_lshrrev_b32_e32 v5, 16, v11
	v_lshlrev_b64 v[0:1], 1, v[0:1]
	v_lshrrev_b32_e32 v4, 16, v10
	s_cbranch_vccnz .LBB16_8
; %bb.5:
	v_mad_u64_u32 v[8:9], s[2:3], v2, s16, 0
	v_add3_u32 v9, v9, v7, v6
	v_lshl_add_u64 v[8:9], v[8:9], 1, s[0:1]
	v_mul_f16_sdwa v14, s5, v11 dst_sel:DWORD dst_unused:UNUSED_PAD src0_sel:DWORD src1_sel:WORD_1
	v_lshl_add_u64 v[12:13], v[8:9], 0, v[0:1]
	s_lshl_b64 s[2:3], s[16:17], 5
	global_store_short v[12:13], v14, off
	v_mul_f16_e32 v14, s5, v11
	v_lshl_add_u64 v[8:9], v[8:9], 0, s[2:3]
	global_store_short v[12:13], v14, off offset:32
	v_mul_f16_sdwa v12, s5, v10 dst_sel:DWORD dst_unused:UNUSED_PAD src0_sel:DWORD src1_sel:WORD_1
	v_lshl_add_u64 v[8:9], v[8:9], 0, v[0:1]
	global_store_short v[8:9], v12, off
	v_mul_f16_e32 v12, s5, v10
	global_store_short v[8:9], v12, off offset:32
	s_cbranch_execnz .LBB16_7
.LBB16_6:
	s_mul_i32 s2, s13, s4
	s_mul_hi_u32 s3, s12, s4
	s_add_i32 s3, s3, s2
	s_mul_i32 s2, s12, s4
	s_lshl_b64 s[2:3], s[2:3], 1
	s_add_u32 s2, s8, s2
	v_mul_lo_u32 v3, v3, s10
	v_mul_lo_u32 v12, v2, s11
	v_mad_u64_u32 v[8:9], s[6:7], v2, s10, 0
	s_addc_u32 s3, s9, s3
	v_add3_u32 v9, v9, v12, v3
	v_lshl_add_u64 v[8:9], v[8:9], 1, s[2:3]
	v_lshl_add_u64 v[12:13], v[8:9], 0, v[0:1]
	global_load_ushort v14, v[12:13], off
	v_mad_u64_u32 v[2:3], s[2:3], v2, s16, 0
	v_add3_u32 v3, v3, v7, v6
	v_lshl_add_u64 v[2:3], v[2:3], 1, s[0:1]
	v_lshl_add_u64 v[6:7], v[2:3], 0, v[0:1]
	s_lshl_b64 s[0:1], s[10:11], 5
	v_lshl_add_u64 v[8:9], v[8:9], 0, s[0:1]
	v_lshl_add_u64 v[8:9], v[8:9], 0, v[0:1]
	s_lshl_b64 s[0:1], s[16:17], 5
	v_lshl_add_u64 v[2:3], v[2:3], 0, s[0:1]
	v_lshl_add_u64 v[0:1], v[2:3], 0, v[0:1]
	s_waitcnt vmcnt(0)
	v_mul_f16_e32 v14, s20, v14
	v_fma_f16 v5, s5, v5, v14
	global_store_short v[6:7], v5, off
	global_load_ushort v5, v[12:13], off offset:32
	s_waitcnt vmcnt(0)
	v_mul_f16_e32 v5, s20, v5
	v_fma_f16 v5, s5, v11, v5
	global_store_short v[6:7], v5, off offset:32
	global_load_ushort v5, v[8:9], off
	s_waitcnt vmcnt(0)
	v_mul_f16_e32 v5, s20, v5
	v_fma_f16 v4, s5, v4, v5
	global_store_short v[0:1], v4, off
	global_load_ushort v2, v[8:9], off offset:32
	s_waitcnt vmcnt(0)
	v_mul_f16_e32 v2, s20, v2
	v_fma_f16 v2, s5, v10, v2
	global_store_short v[0:1], v2, off offset:32
.LBB16_7:
	s_endpgm
.LBB16_8:
	s_branch .LBB16_6
	.section	.rodata,"a",@progbits
	.p2align	6, 0x0
	.amdhsa_kernel _ZN12_GLOBAL__N_127rocblas_gemm_batched_kernelIDF16_Li16ELi16ELi32ELi32ELi8ELi32ELi8ELi8ELi32ELc67ELc78EKDF16_S1_DF16_EEvlllT_PT11_llS4_llS2_PT12_llPT13_lli
		.amdhsa_group_segment_fixed_size 1024
		.amdhsa_private_segment_fixed_size 0
		.amdhsa_kernarg_size 140
		.amdhsa_user_sgpr_count 2
		.amdhsa_user_sgpr_dispatch_ptr 0
		.amdhsa_user_sgpr_queue_ptr 0
		.amdhsa_user_sgpr_kernarg_segment_ptr 1
		.amdhsa_user_sgpr_dispatch_id 0
		.amdhsa_user_sgpr_kernarg_preload_length 0
		.amdhsa_user_sgpr_kernarg_preload_offset 0
		.amdhsa_user_sgpr_private_segment_size 0
		.amdhsa_uses_dynamic_stack 0
		.amdhsa_enable_private_segment 0
		.amdhsa_system_sgpr_workgroup_id_x 1
		.amdhsa_system_sgpr_workgroup_id_y 1
		.amdhsa_system_sgpr_workgroup_id_z 1
		.amdhsa_system_sgpr_workgroup_info 0
		.amdhsa_system_vgpr_workitem_id 1
		.amdhsa_next_free_vgpr 40
		.amdhsa_next_free_sgpr 24
		.amdhsa_accum_offset 40
		.amdhsa_reserve_vcc 1
		.amdhsa_float_round_mode_32 0
		.amdhsa_float_round_mode_16_64 0
		.amdhsa_float_denorm_mode_32 3
		.amdhsa_float_denorm_mode_16_64 3
		.amdhsa_dx10_clamp 1
		.amdhsa_ieee_mode 1
		.amdhsa_fp16_overflow 0
		.amdhsa_tg_split 0
		.amdhsa_exception_fp_ieee_invalid_op 0
		.amdhsa_exception_fp_denorm_src 0
		.amdhsa_exception_fp_ieee_div_zero 0
		.amdhsa_exception_fp_ieee_overflow 0
		.amdhsa_exception_fp_ieee_underflow 0
		.amdhsa_exception_fp_ieee_inexact 0
		.amdhsa_exception_int_div_zero 0
	.end_amdhsa_kernel
	.section	.text._ZN12_GLOBAL__N_127rocblas_gemm_batched_kernelIDF16_Li16ELi16ELi32ELi32ELi8ELi32ELi8ELi8ELi32ELc67ELc78EKDF16_S1_DF16_EEvlllT_PT11_llS4_llS2_PT12_llPT13_lli,"axG",@progbits,_ZN12_GLOBAL__N_127rocblas_gemm_batched_kernelIDF16_Li16ELi16ELi32ELi32ELi8ELi32ELi8ELi8ELi32ELc67ELc78EKDF16_S1_DF16_EEvlllT_PT11_llS4_llS2_PT12_llPT13_lli,comdat
.Lfunc_end16:
	.size	_ZN12_GLOBAL__N_127rocblas_gemm_batched_kernelIDF16_Li16ELi16ELi32ELi32ELi8ELi32ELi8ELi8ELi32ELc67ELc78EKDF16_S1_DF16_EEvlllT_PT11_llS4_llS2_PT12_llPT13_lli, .Lfunc_end16-_ZN12_GLOBAL__N_127rocblas_gemm_batched_kernelIDF16_Li16ELi16ELi32ELi32ELi8ELi32ELi8ELi8ELi32ELc67ELc78EKDF16_S1_DF16_EEvlllT_PT11_llS4_llS2_PT12_llPT13_lli
                                        ; -- End function
	.set _ZN12_GLOBAL__N_127rocblas_gemm_batched_kernelIDF16_Li16ELi16ELi32ELi32ELi8ELi32ELi8ELi8ELi32ELc67ELc78EKDF16_S1_DF16_EEvlllT_PT11_llS4_llS2_PT12_llPT13_lli.num_vgpr, 40
	.set _ZN12_GLOBAL__N_127rocblas_gemm_batched_kernelIDF16_Li16ELi16ELi32ELi32ELi8ELi32ELi8ELi8ELi32ELc67ELc78EKDF16_S1_DF16_EEvlllT_PT11_llS4_llS2_PT12_llPT13_lli.num_agpr, 0
	.set _ZN12_GLOBAL__N_127rocblas_gemm_batched_kernelIDF16_Li16ELi16ELi32ELi32ELi8ELi32ELi8ELi8ELi32ELc67ELc78EKDF16_S1_DF16_EEvlllT_PT11_llS4_llS2_PT12_llPT13_lli.numbered_sgpr, 24
	.set _ZN12_GLOBAL__N_127rocblas_gemm_batched_kernelIDF16_Li16ELi16ELi32ELi32ELi8ELi32ELi8ELi8ELi32ELc67ELc78EKDF16_S1_DF16_EEvlllT_PT11_llS4_llS2_PT12_llPT13_lli.num_named_barrier, 0
	.set _ZN12_GLOBAL__N_127rocblas_gemm_batched_kernelIDF16_Li16ELi16ELi32ELi32ELi8ELi32ELi8ELi8ELi32ELc67ELc78EKDF16_S1_DF16_EEvlllT_PT11_llS4_llS2_PT12_llPT13_lli.private_seg_size, 0
	.set _ZN12_GLOBAL__N_127rocblas_gemm_batched_kernelIDF16_Li16ELi16ELi32ELi32ELi8ELi32ELi8ELi8ELi32ELc67ELc78EKDF16_S1_DF16_EEvlllT_PT11_llS4_llS2_PT12_llPT13_lli.uses_vcc, 1
	.set _ZN12_GLOBAL__N_127rocblas_gemm_batched_kernelIDF16_Li16ELi16ELi32ELi32ELi8ELi32ELi8ELi8ELi32ELc67ELc78EKDF16_S1_DF16_EEvlllT_PT11_llS4_llS2_PT12_llPT13_lli.uses_flat_scratch, 0
	.set _ZN12_GLOBAL__N_127rocblas_gemm_batched_kernelIDF16_Li16ELi16ELi32ELi32ELi8ELi32ELi8ELi8ELi32ELc67ELc78EKDF16_S1_DF16_EEvlllT_PT11_llS4_llS2_PT12_llPT13_lli.has_dyn_sized_stack, 0
	.set _ZN12_GLOBAL__N_127rocblas_gemm_batched_kernelIDF16_Li16ELi16ELi32ELi32ELi8ELi32ELi8ELi8ELi32ELc67ELc78EKDF16_S1_DF16_EEvlllT_PT11_llS4_llS2_PT12_llPT13_lli.has_recursion, 0
	.set _ZN12_GLOBAL__N_127rocblas_gemm_batched_kernelIDF16_Li16ELi16ELi32ELi32ELi8ELi32ELi8ELi8ELi32ELc67ELc78EKDF16_S1_DF16_EEvlllT_PT11_llS4_llS2_PT12_llPT13_lli.has_indirect_call, 0
	.section	.AMDGPU.csdata,"",@progbits
; Kernel info:
; codeLenInByte = 1360
; TotalNumSgprs: 30
; NumVgprs: 40
; NumAgprs: 0
; TotalNumVgprs: 40
; ScratchSize: 0
; MemoryBound: 0
; FloatMode: 240
; IeeeMode: 1
; LDSByteSize: 1024 bytes/workgroup (compile time only)
; SGPRBlocks: 3
; VGPRBlocks: 4
; NumSGPRsForWavesPerEU: 30
; NumVGPRsForWavesPerEU: 40
; AccumOffset: 40
; Occupancy: 8
; WaveLimiterHint : 0
; COMPUTE_PGM_RSRC2:SCRATCH_EN: 0
; COMPUTE_PGM_RSRC2:USER_SGPR: 2
; COMPUTE_PGM_RSRC2:TRAP_HANDLER: 0
; COMPUTE_PGM_RSRC2:TGID_X_EN: 1
; COMPUTE_PGM_RSRC2:TGID_Y_EN: 1
; COMPUTE_PGM_RSRC2:TGID_Z_EN: 1
; COMPUTE_PGM_RSRC2:TIDIG_COMP_CNT: 1
; COMPUTE_PGM_RSRC3_GFX90A:ACCUM_OFFSET: 9
; COMPUTE_PGM_RSRC3_GFX90A:TG_SPLIT: 0
	.section	.text._ZN12_GLOBAL__N_127rocblas_gemm_batched_kernelIDF16_Li16ELi16ELi32ELi32ELi8ELi32ELi8ELi8ELi32ELc67ELc84EKDF16_S1_DF16_EEvlllT_PT11_llS4_llS2_PT12_llPT13_lli,"axG",@progbits,_ZN12_GLOBAL__N_127rocblas_gemm_batched_kernelIDF16_Li16ELi16ELi32ELi32ELi8ELi32ELi8ELi8ELi32ELc67ELc84EKDF16_S1_DF16_EEvlllT_PT11_llS4_llS2_PT12_llPT13_lli,comdat
	.globl	_ZN12_GLOBAL__N_127rocblas_gemm_batched_kernelIDF16_Li16ELi16ELi32ELi32ELi8ELi32ELi8ELi8ELi32ELc67ELc84EKDF16_S1_DF16_EEvlllT_PT11_llS4_llS2_PT12_llPT13_lli ; -- Begin function _ZN12_GLOBAL__N_127rocblas_gemm_batched_kernelIDF16_Li16ELi16ELi32ELi32ELi8ELi32ELi8ELi8ELi32ELc67ELc84EKDF16_S1_DF16_EEvlllT_PT11_llS4_llS2_PT12_llPT13_lli
	.p2align	8
	.type	_ZN12_GLOBAL__N_127rocblas_gemm_batched_kernelIDF16_Li16ELi16ELi32ELi32ELi8ELi32ELi8ELi8ELi32ELc67ELc84EKDF16_S1_DF16_EEvlllT_PT11_llS4_llS2_PT12_llPT13_lli,@function
_ZN12_GLOBAL__N_127rocblas_gemm_batched_kernelIDF16_Li16ELi16ELi32ELi32ELi8ELi32ELi8ELi8ELi32ELc67ELc84EKDF16_S1_DF16_EEvlllT_PT11_llS4_llS2_PT12_llPT13_lli: ; @_ZN12_GLOBAL__N_127rocblas_gemm_batched_kernelIDF16_Li16ELi16ELi32ELi32ELi8ELi32ELi8ELi8ELi32ELc67ELc84EKDF16_S1_DF16_EEvlllT_PT11_llS4_llS2_PT12_llPT13_lli
; %bb.0:
	s_load_dwordx2 s[16:17], s[0:1], 0x10
	s_mov_b32 s6, s3
	v_mov_b32_e32 v3, 0
	s_ashr_i32 s3, s2, 31
	s_ashr_i32 s7, s6, 31
	s_waitcnt lgkmcnt(0)
	v_cmp_lt_i64_e64 s[8:9], s[16:17], 1
	v_bfe_u32 v2, v0, 10, 10
	v_and_b32_e32 v0, 0x3ff, v0
	v_mov_b32_e32 v1, v3
	s_lshl_b64 s[2:3], s[2:3], 5
	s_lshl_b64 s[6:7], s[6:7], 5
	s_and_b64 vcc, exec, s[8:9]
	s_cbranch_vccnz .LBB17_3
; %bb.1:
	s_load_dwordx8 s[8:15], s[0:1], 0x20
	s_load_dwordx4 s[20:23], s[0:1], 0x40
	v_lshlrev_b32_e32 v8, 4, v2
	v_add_u32_e32 v9, v8, v0
	v_and_b32_e32 v6, 31, v9
	v_lshrrev_b32_e32 v4, 3, v9
	v_and_b32_e32 v10, 7, v0
	v_lshrrev_b32_e32 v11, 5, v9
	v_lshlrev_b32_e32 v9, 1, v6
	v_mov_b32_e32 v5, v3
	v_lshl_or_b32 v12, v11, 6, v9
	v_lshlrev_b32_e32 v9, 1, v10
	s_waitcnt lgkmcnt(0)
	s_mul_i32 s5, s23, s4
	s_mul_hi_u32 s18, s22, s4
	v_lshl_or_b32 v9, v4, 4, v9
	s_add_i32 s19, s18, s5
	s_mul_i32 s18, s22, s4
	v_mad_u64_u32 v[4:5], s[22:23], s20, v10, v[4:5]
	v_mov_b32_e32 v7, v3
	v_add_u32_e32 v15, 0x200, v8
	v_mov_b32_e32 v8, v5
	v_add_u32_e32 v13, 0x200, v9
	v_mad_u64_u32 v[8:9], s[22:23], s21, v10, v[8:9]
	v_lshl_add_u64 v[6:7], s[2:3], 0, v[6:7]
	s_lshl_b64 s[18:19], s[18:19], 1
	v_mov_b32_e32 v5, v8
	v_mul_lo_u32 v8, s11, v6
	v_mul_lo_u32 v9, s10, v7
	v_mad_u64_u32 v[6:7], s[10:11], s10, v6, 0
	s_add_u32 s14, s14, s18
	s_mul_i32 s5, s13, s4
	s_mul_hi_u32 s10, s12, s4
	s_addc_u32 s15, s15, s19
	s_add_i32 s11, s10, s5
	s_mul_i32 s10, s12, s4
	v_add3_u32 v7, v7, v9, v8
	s_lshl_b64 s[10:11], s[10:11], 1
	v_lshl_add_u64 v[6:7], v[6:7], 1, s[10:11]
	v_lshlrev_b32_e32 v8, 1, v11
	v_mov_b32_e32 v9, v3
	v_lshl_add_u64 v[4:5], v[4:5], 0, s[6:7]
	v_lshl_add_u64 v[6:7], v[6:7], 0, v[8:9]
	v_lshlrev_b32_e32 v14, 1, v0
	v_lshl_add_u64 v[4:5], v[4:5], 1, s[14:15]
	s_lshl_b64 s[14:15], s[20:21], 4
	v_lshl_add_u64 v[6:7], s[8:9], 0, v[6:7]
	s_mov_b64 s[8:9], 0
	s_mov_b32 s5, 0x5040100
	v_mov_b64_e32 v[8:9], s[16:17]
	v_mov_b32_e32 v10, v3
	v_mov_b32_e32 v11, v3
.LBB17_2:                               ; =>This Inner Loop Header: Depth=1
	global_load_ushort v16, v[6:7], off
	global_load_ushort v17, v[4:5], off
	s_add_u32 s8, s8, 8
	s_addc_u32 s9, s9, 0
	v_cmp_lt_i64_e32 vcc, s[8:9], v[8:9]
	v_lshl_add_u64 v[4:5], v[4:5], 0, s[14:15]
	v_lshl_add_u64 v[6:7], v[6:7], 0, 16
	s_and_b64 vcc, exec, vcc
	s_waitcnt vmcnt(1)
	ds_write_b16 v12, v16
	s_waitcnt vmcnt(0)
	ds_write_b16 v13, v17
	s_waitcnt lgkmcnt(0)
	s_barrier
	ds_read_b128 v[16:19], v15
	ds_read_b128 v[20:23], v15 offset:256
	ds_read_u16 v24, v14
	ds_read_u16 v25, v14 offset:32
	ds_read_u16 v26, v14 offset:64
	;; [unrolled: 1-line block ×15, first 2 shown]
	s_waitcnt lgkmcnt(14)
	v_perm_b32 v24, v24, v25, s5
	s_waitcnt lgkmcnt(12)
	v_perm_b32 v25, v26, v27, s5
	v_pk_fma_f16 v11, v24, v16, v11 op_sel_hi:[1,0,1]
	v_pk_fma_f16 v10, v24, v20, v10 op_sel_hi:[1,0,1]
	s_waitcnt lgkmcnt(10)
	v_perm_b32 v26, v28, v29, s5
	v_pk_fma_f16 v11, v25, v16, v11 op_sel:[0,1,0]
	v_pk_fma_f16 v10, v25, v20, v10 op_sel:[0,1,0]
	s_waitcnt lgkmcnt(8)
	v_perm_b32 v27, v30, v31, s5
	v_pk_fma_f16 v11, v26, v17, v11 op_sel_hi:[1,0,1]
	v_pk_fma_f16 v10, v26, v21, v10 op_sel_hi:[1,0,1]
	s_waitcnt lgkmcnt(6)
	v_perm_b32 v28, v32, v33, s5
	v_pk_fma_f16 v11, v27, v17, v11 op_sel:[0,1,0]
	v_pk_fma_f16 v10, v27, v21, v10 op_sel:[0,1,0]
	;; [unrolled: 8-line block ×3, first 2 shown]
	s_waitcnt lgkmcnt(0)
	v_perm_b32 v31, v38, v39, s5
	v_pk_fma_f16 v11, v30, v19, v11 op_sel_hi:[1,0,1]
	v_pk_fma_f16 v10, v30, v23, v10 op_sel_hi:[1,0,1]
	v_pk_fma_f16 v11, v31, v19, v11 op_sel:[0,1,0]
	v_pk_fma_f16 v10, v31, v23, v10 op_sel:[0,1,0]
	s_barrier
	s_cbranch_vccnz .LBB17_2
	s_branch .LBB17_4
.LBB17_3:
	v_mov_b32_e32 v11, v3
	v_mov_b32_e32 v10, v3
.LBB17_4:
	s_load_dwordx4 s[16:19], s[0:1], 0x78
	s_load_dword s5, s[0:1], 0x18
	s_load_dword s20, s[0:1], 0x50
	s_load_dwordx8 s[8:15], s[0:1], 0x58
	v_lshl_add_u64 v[2:3], s[6:7], 0, v[2:3]
	s_waitcnt lgkmcnt(0)
	s_mul_i32 s0, s19, s4
	s_mul_hi_u32 s1, s18, s4
	s_add_i32 s1, s1, s0
	s_mul_i32 s0, s18, s4
	s_lshl_b64 s[0:1], s[0:1], 1
	s_add_u32 s0, s14, s0
	v_cmp_neq_f16_e64 s[6:7], s20, 0
	v_lshl_add_u64 v[0:1], s[2:3], 0, v[0:1]
	s_addc_u32 s1, s15, s1
	s_and_b64 vcc, exec, s[6:7]
	v_mul_lo_u32 v6, v3, s16
	v_mul_lo_u32 v7, v2, s17
	v_lshrrev_b32_e32 v5, 16, v11
	v_lshlrev_b64 v[0:1], 1, v[0:1]
	v_lshrrev_b32_e32 v4, 16, v10
	s_cbranch_vccnz .LBB17_8
; %bb.5:
	v_mad_u64_u32 v[8:9], s[2:3], v2, s16, 0
	v_add3_u32 v9, v9, v7, v6
	v_lshl_add_u64 v[8:9], v[8:9], 1, s[0:1]
	v_mul_f16_sdwa v14, s5, v11 dst_sel:DWORD dst_unused:UNUSED_PAD src0_sel:DWORD src1_sel:WORD_1
	v_lshl_add_u64 v[12:13], v[8:9], 0, v[0:1]
	s_lshl_b64 s[2:3], s[16:17], 5
	global_store_short v[12:13], v14, off
	v_mul_f16_e32 v14, s5, v11
	v_lshl_add_u64 v[8:9], v[8:9], 0, s[2:3]
	global_store_short v[12:13], v14, off offset:32
	v_mul_f16_sdwa v12, s5, v10 dst_sel:DWORD dst_unused:UNUSED_PAD src0_sel:DWORD src1_sel:WORD_1
	v_lshl_add_u64 v[8:9], v[8:9], 0, v[0:1]
	global_store_short v[8:9], v12, off
	v_mul_f16_e32 v12, s5, v10
	global_store_short v[8:9], v12, off offset:32
	s_cbranch_execnz .LBB17_7
.LBB17_6:
	s_mul_i32 s2, s13, s4
	s_mul_hi_u32 s3, s12, s4
	s_add_i32 s3, s3, s2
	s_mul_i32 s2, s12, s4
	s_lshl_b64 s[2:3], s[2:3], 1
	s_add_u32 s2, s8, s2
	v_mul_lo_u32 v3, v3, s10
	v_mul_lo_u32 v12, v2, s11
	v_mad_u64_u32 v[8:9], s[6:7], v2, s10, 0
	s_addc_u32 s3, s9, s3
	v_add3_u32 v9, v9, v12, v3
	v_lshl_add_u64 v[8:9], v[8:9], 1, s[2:3]
	v_lshl_add_u64 v[12:13], v[8:9], 0, v[0:1]
	global_load_ushort v14, v[12:13], off
	v_mad_u64_u32 v[2:3], s[2:3], v2, s16, 0
	v_add3_u32 v3, v3, v7, v6
	v_lshl_add_u64 v[2:3], v[2:3], 1, s[0:1]
	v_lshl_add_u64 v[6:7], v[2:3], 0, v[0:1]
	s_lshl_b64 s[0:1], s[10:11], 5
	v_lshl_add_u64 v[8:9], v[8:9], 0, s[0:1]
	v_lshl_add_u64 v[8:9], v[8:9], 0, v[0:1]
	s_lshl_b64 s[0:1], s[16:17], 5
	v_lshl_add_u64 v[2:3], v[2:3], 0, s[0:1]
	v_lshl_add_u64 v[0:1], v[2:3], 0, v[0:1]
	s_waitcnt vmcnt(0)
	v_mul_f16_e32 v14, s20, v14
	v_fma_f16 v5, s5, v5, v14
	global_store_short v[6:7], v5, off
	global_load_ushort v5, v[12:13], off offset:32
	s_waitcnt vmcnt(0)
	v_mul_f16_e32 v5, s20, v5
	v_fma_f16 v5, s5, v11, v5
	global_store_short v[6:7], v5, off offset:32
	global_load_ushort v5, v[8:9], off
	s_waitcnt vmcnt(0)
	v_mul_f16_e32 v5, s20, v5
	v_fma_f16 v4, s5, v4, v5
	global_store_short v[0:1], v4, off
	global_load_ushort v2, v[8:9], off offset:32
	s_waitcnt vmcnt(0)
	v_mul_f16_e32 v2, s20, v2
	v_fma_f16 v2, s5, v10, v2
	global_store_short v[0:1], v2, off offset:32
.LBB17_7:
	s_endpgm
.LBB17_8:
	s_branch .LBB17_6
	.section	.rodata,"a",@progbits
	.p2align	6, 0x0
	.amdhsa_kernel _ZN12_GLOBAL__N_127rocblas_gemm_batched_kernelIDF16_Li16ELi16ELi32ELi32ELi8ELi32ELi8ELi8ELi32ELc67ELc84EKDF16_S1_DF16_EEvlllT_PT11_llS4_llS2_PT12_llPT13_lli
		.amdhsa_group_segment_fixed_size 1024
		.amdhsa_private_segment_fixed_size 0
		.amdhsa_kernarg_size 140
		.amdhsa_user_sgpr_count 2
		.amdhsa_user_sgpr_dispatch_ptr 0
		.amdhsa_user_sgpr_queue_ptr 0
		.amdhsa_user_sgpr_kernarg_segment_ptr 1
		.amdhsa_user_sgpr_dispatch_id 0
		.amdhsa_user_sgpr_kernarg_preload_length 0
		.amdhsa_user_sgpr_kernarg_preload_offset 0
		.amdhsa_user_sgpr_private_segment_size 0
		.amdhsa_uses_dynamic_stack 0
		.amdhsa_enable_private_segment 0
		.amdhsa_system_sgpr_workgroup_id_x 1
		.amdhsa_system_sgpr_workgroup_id_y 1
		.amdhsa_system_sgpr_workgroup_id_z 1
		.amdhsa_system_sgpr_workgroup_info 0
		.amdhsa_system_vgpr_workitem_id 1
		.amdhsa_next_free_vgpr 40
		.amdhsa_next_free_sgpr 24
		.amdhsa_accum_offset 40
		.amdhsa_reserve_vcc 1
		.amdhsa_float_round_mode_32 0
		.amdhsa_float_round_mode_16_64 0
		.amdhsa_float_denorm_mode_32 3
		.amdhsa_float_denorm_mode_16_64 3
		.amdhsa_dx10_clamp 1
		.amdhsa_ieee_mode 1
		.amdhsa_fp16_overflow 0
		.amdhsa_tg_split 0
		.amdhsa_exception_fp_ieee_invalid_op 0
		.amdhsa_exception_fp_denorm_src 0
		.amdhsa_exception_fp_ieee_div_zero 0
		.amdhsa_exception_fp_ieee_overflow 0
		.amdhsa_exception_fp_ieee_underflow 0
		.amdhsa_exception_fp_ieee_inexact 0
		.amdhsa_exception_int_div_zero 0
	.end_amdhsa_kernel
	.section	.text._ZN12_GLOBAL__N_127rocblas_gemm_batched_kernelIDF16_Li16ELi16ELi32ELi32ELi8ELi32ELi8ELi8ELi32ELc67ELc84EKDF16_S1_DF16_EEvlllT_PT11_llS4_llS2_PT12_llPT13_lli,"axG",@progbits,_ZN12_GLOBAL__N_127rocblas_gemm_batched_kernelIDF16_Li16ELi16ELi32ELi32ELi8ELi32ELi8ELi8ELi32ELc67ELc84EKDF16_S1_DF16_EEvlllT_PT11_llS4_llS2_PT12_llPT13_lli,comdat
.Lfunc_end17:
	.size	_ZN12_GLOBAL__N_127rocblas_gemm_batched_kernelIDF16_Li16ELi16ELi32ELi32ELi8ELi32ELi8ELi8ELi32ELc67ELc84EKDF16_S1_DF16_EEvlllT_PT11_llS4_llS2_PT12_llPT13_lli, .Lfunc_end17-_ZN12_GLOBAL__N_127rocblas_gemm_batched_kernelIDF16_Li16ELi16ELi32ELi32ELi8ELi32ELi8ELi8ELi32ELc67ELc84EKDF16_S1_DF16_EEvlllT_PT11_llS4_llS2_PT12_llPT13_lli
                                        ; -- End function
	.set _ZN12_GLOBAL__N_127rocblas_gemm_batched_kernelIDF16_Li16ELi16ELi32ELi32ELi8ELi32ELi8ELi8ELi32ELc67ELc84EKDF16_S1_DF16_EEvlllT_PT11_llS4_llS2_PT12_llPT13_lli.num_vgpr, 40
	.set _ZN12_GLOBAL__N_127rocblas_gemm_batched_kernelIDF16_Li16ELi16ELi32ELi32ELi8ELi32ELi8ELi8ELi32ELc67ELc84EKDF16_S1_DF16_EEvlllT_PT11_llS4_llS2_PT12_llPT13_lli.num_agpr, 0
	.set _ZN12_GLOBAL__N_127rocblas_gemm_batched_kernelIDF16_Li16ELi16ELi32ELi32ELi8ELi32ELi8ELi8ELi32ELc67ELc84EKDF16_S1_DF16_EEvlllT_PT11_llS4_llS2_PT12_llPT13_lli.numbered_sgpr, 24
	.set _ZN12_GLOBAL__N_127rocblas_gemm_batched_kernelIDF16_Li16ELi16ELi32ELi32ELi8ELi32ELi8ELi8ELi32ELc67ELc84EKDF16_S1_DF16_EEvlllT_PT11_llS4_llS2_PT12_llPT13_lli.num_named_barrier, 0
	.set _ZN12_GLOBAL__N_127rocblas_gemm_batched_kernelIDF16_Li16ELi16ELi32ELi32ELi8ELi32ELi8ELi8ELi32ELc67ELc84EKDF16_S1_DF16_EEvlllT_PT11_llS4_llS2_PT12_llPT13_lli.private_seg_size, 0
	.set _ZN12_GLOBAL__N_127rocblas_gemm_batched_kernelIDF16_Li16ELi16ELi32ELi32ELi8ELi32ELi8ELi8ELi32ELc67ELc84EKDF16_S1_DF16_EEvlllT_PT11_llS4_llS2_PT12_llPT13_lli.uses_vcc, 1
	.set _ZN12_GLOBAL__N_127rocblas_gemm_batched_kernelIDF16_Li16ELi16ELi32ELi32ELi8ELi32ELi8ELi8ELi32ELc67ELc84EKDF16_S1_DF16_EEvlllT_PT11_llS4_llS2_PT12_llPT13_lli.uses_flat_scratch, 0
	.set _ZN12_GLOBAL__N_127rocblas_gemm_batched_kernelIDF16_Li16ELi16ELi32ELi32ELi8ELi32ELi8ELi8ELi32ELc67ELc84EKDF16_S1_DF16_EEvlllT_PT11_llS4_llS2_PT12_llPT13_lli.has_dyn_sized_stack, 0
	.set _ZN12_GLOBAL__N_127rocblas_gemm_batched_kernelIDF16_Li16ELi16ELi32ELi32ELi8ELi32ELi8ELi8ELi32ELc67ELc84EKDF16_S1_DF16_EEvlllT_PT11_llS4_llS2_PT12_llPT13_lli.has_recursion, 0
	.set _ZN12_GLOBAL__N_127rocblas_gemm_batched_kernelIDF16_Li16ELi16ELi32ELi32ELi8ELi32ELi8ELi8ELi32ELc67ELc84EKDF16_S1_DF16_EEvlllT_PT11_llS4_llS2_PT12_llPT13_lli.has_indirect_call, 0
	.section	.AMDGPU.csdata,"",@progbits
; Kernel info:
; codeLenInByte = 1348
; TotalNumSgprs: 30
; NumVgprs: 40
; NumAgprs: 0
; TotalNumVgprs: 40
; ScratchSize: 0
; MemoryBound: 0
; FloatMode: 240
; IeeeMode: 1
; LDSByteSize: 1024 bytes/workgroup (compile time only)
; SGPRBlocks: 3
; VGPRBlocks: 4
; NumSGPRsForWavesPerEU: 30
; NumVGPRsForWavesPerEU: 40
; AccumOffset: 40
; Occupancy: 8
; WaveLimiterHint : 0
; COMPUTE_PGM_RSRC2:SCRATCH_EN: 0
; COMPUTE_PGM_RSRC2:USER_SGPR: 2
; COMPUTE_PGM_RSRC2:TRAP_HANDLER: 0
; COMPUTE_PGM_RSRC2:TGID_X_EN: 1
; COMPUTE_PGM_RSRC2:TGID_Y_EN: 1
; COMPUTE_PGM_RSRC2:TGID_Z_EN: 1
; COMPUTE_PGM_RSRC2:TIDIG_COMP_CNT: 1
; COMPUTE_PGM_RSRC3_GFX90A:ACCUM_OFFSET: 9
; COMPUTE_PGM_RSRC3_GFX90A:TG_SPLIT: 0
	.section	.text._ZN12_GLOBAL__N_127rocblas_gemm_batched_kernelIDF16_Li16ELi16ELi32ELi32ELi8ELi32ELi8ELi8ELi32ELc78ELc67EKDF16_S1_DF16_EEvlllT_PT11_llS4_llS2_PT12_llPT13_lli,"axG",@progbits,_ZN12_GLOBAL__N_127rocblas_gemm_batched_kernelIDF16_Li16ELi16ELi32ELi32ELi8ELi32ELi8ELi8ELi32ELc78ELc67EKDF16_S1_DF16_EEvlllT_PT11_llS4_llS2_PT12_llPT13_lli,comdat
	.globl	_ZN12_GLOBAL__N_127rocblas_gemm_batched_kernelIDF16_Li16ELi16ELi32ELi32ELi8ELi32ELi8ELi8ELi32ELc78ELc67EKDF16_S1_DF16_EEvlllT_PT11_llS4_llS2_PT12_llPT13_lli ; -- Begin function _ZN12_GLOBAL__N_127rocblas_gemm_batched_kernelIDF16_Li16ELi16ELi32ELi32ELi8ELi32ELi8ELi8ELi32ELc78ELc67EKDF16_S1_DF16_EEvlllT_PT11_llS4_llS2_PT12_llPT13_lli
	.p2align	8
	.type	_ZN12_GLOBAL__N_127rocblas_gemm_batched_kernelIDF16_Li16ELi16ELi32ELi32ELi8ELi32ELi8ELi8ELi32ELc78ELc67EKDF16_S1_DF16_EEvlllT_PT11_llS4_llS2_PT12_llPT13_lli,@function
_ZN12_GLOBAL__N_127rocblas_gemm_batched_kernelIDF16_Li16ELi16ELi32ELi32ELi8ELi32ELi8ELi8ELi32ELc78ELc67EKDF16_S1_DF16_EEvlllT_PT11_llS4_llS2_PT12_llPT13_lli: ; @_ZN12_GLOBAL__N_127rocblas_gemm_batched_kernelIDF16_Li16ELi16ELi32ELi32ELi8ELi32ELi8ELi8ELi32ELc78ELc67EKDF16_S1_DF16_EEvlllT_PT11_llS4_llS2_PT12_llPT13_lli
; %bb.0:
	s_load_dwordx2 s[16:17], s[0:1], 0x10
	s_mov_b32 s6, s3
	v_mov_b32_e32 v3, 0
	s_ashr_i32 s3, s2, 31
	s_ashr_i32 s7, s6, 31
	s_waitcnt lgkmcnt(0)
	v_cmp_lt_i64_e64 s[8:9], s[16:17], 1
	v_bfe_u32 v2, v0, 10, 10
	v_and_b32_e32 v0, 0x3ff, v0
	v_mov_b32_e32 v1, v3
	s_lshl_b64 s[2:3], s[2:3], 5
	s_lshl_b64 s[6:7], s[6:7], 5
	s_and_b64 vcc, exec, s[8:9]
	s_cbranch_vccnz .LBB18_3
; %bb.1:
	s_load_dwordx8 s[8:15], s[0:1], 0x20
	s_load_dwordx4 s[20:23], s[0:1], 0x40
	v_lshlrev_b32_e32 v8, 4, v2
	v_add_u32_e32 v9, v8, v0
	v_and_b32_e32 v6, 31, v9
	v_lshrrev_b32_e32 v4, 3, v9
	v_and_b32_e32 v10, 7, v0
	v_lshrrev_b32_e32 v11, 5, v9
	v_lshlrev_b32_e32 v9, 1, v6
	v_mov_b32_e32 v5, v3
	v_lshl_or_b32 v12, v11, 6, v9
	v_lshlrev_b32_e32 v9, 1, v10
	s_waitcnt lgkmcnt(0)
	s_mul_i32 s5, s23, s4
	s_mul_hi_u32 s18, s22, s4
	v_lshl_or_b32 v9, v4, 4, v9
	s_add_i32 s19, s18, s5
	s_mul_i32 s18, s22, s4
	v_mad_u64_u32 v[4:5], s[22:23], s20, v10, v[4:5]
	v_add_u32_e32 v15, 0x200, v8
	v_mov_b32_e32 v8, v5
	v_add_u32_e32 v13, 0x200, v9
	s_lshl_b64 s[18:19], s[18:19], 1
	v_mad_u64_u32 v[8:9], s[22:23], s21, v10, v[8:9]
	v_mov_b32_e32 v5, v8
	s_add_u32 s14, s14, s18
	v_mov_b64_e32 v[8:9], s[2:3]
	s_addc_u32 s15, s15, s19
	s_mul_i32 s5, s13, s4
	s_mul_hi_u32 s13, s12, s4
	v_mad_u64_u32 v[8:9], s[18:19], s10, v11, v[8:9]
	v_lshl_add_u64 v[4:5], v[4:5], 0, s[6:7]
	s_add_i32 s13, s13, s5
	s_mul_i32 s12, s12, s4
	v_mov_b32_e32 v10, v9
	v_lshl_add_u64 v[4:5], v[4:5], 1, s[14:15]
	s_lshl_b64 s[14:15], s[20:21], 4
	s_lshl_b64 s[12:13], s[12:13], 1
	v_mad_u64_u32 v[10:11], s[18:19], s11, v11, v[10:11]
	v_mov_b32_e32 v7, v3
	v_mov_b32_e32 v9, v10
	s_add_u32 s8, s8, s12
	v_lshl_add_u64 v[6:7], v[8:9], 0, v[6:7]
	s_addc_u32 s9, s9, s13
	v_lshlrev_b32_e32 v14, 1, v0
	v_lshl_add_u64 v[6:7], v[6:7], 1, s[8:9]
	s_lshl_b64 s[8:9], s[10:11], 4
	s_mov_b64 s[10:11], 0
	s_mov_b32 s5, 0x5040100
	v_mov_b64_e32 v[8:9], s[16:17]
	v_mov_b32_e32 v10, v3
	v_mov_b32_e32 v11, v3
.LBB18_2:                               ; =>This Inner Loop Header: Depth=1
	global_load_ushort v16, v[6:7], off
	global_load_ushort v17, v[4:5], off
	s_add_u32 s10, s10, 8
	s_addc_u32 s11, s11, 0
	v_cmp_lt_i64_e32 vcc, s[10:11], v[8:9]
	v_lshl_add_u64 v[4:5], v[4:5], 0, s[14:15]
	v_lshl_add_u64 v[6:7], v[6:7], 0, s[8:9]
	s_and_b64 vcc, exec, vcc
	s_waitcnt vmcnt(1)
	ds_write_b16 v12, v16
	s_waitcnt vmcnt(0)
	ds_write_b16 v13, v17
	s_waitcnt lgkmcnt(0)
	s_barrier
	ds_read_b128 v[16:19], v15
	ds_read_b128 v[20:23], v15 offset:256
	ds_read_u16 v24, v14
	ds_read_u16 v25, v14 offset:32
	ds_read_u16 v26, v14 offset:64
	;; [unrolled: 1-line block ×15, first 2 shown]
	s_waitcnt lgkmcnt(14)
	v_perm_b32 v24, v24, v25, s5
	s_waitcnt lgkmcnt(12)
	v_perm_b32 v25, v26, v27, s5
	v_pk_fma_f16 v11, v24, v16, v11 op_sel_hi:[1,0,1]
	v_pk_fma_f16 v10, v24, v20, v10 op_sel_hi:[1,0,1]
	s_waitcnt lgkmcnt(10)
	v_perm_b32 v26, v28, v29, s5
	v_pk_fma_f16 v11, v25, v16, v11 op_sel:[0,1,0]
	v_pk_fma_f16 v10, v25, v20, v10 op_sel:[0,1,0]
	s_waitcnt lgkmcnt(8)
	v_perm_b32 v27, v30, v31, s5
	v_pk_fma_f16 v11, v26, v17, v11 op_sel_hi:[1,0,1]
	v_pk_fma_f16 v10, v26, v21, v10 op_sel_hi:[1,0,1]
	s_waitcnt lgkmcnt(6)
	v_perm_b32 v28, v32, v33, s5
	v_pk_fma_f16 v11, v27, v17, v11 op_sel:[0,1,0]
	v_pk_fma_f16 v10, v27, v21, v10 op_sel:[0,1,0]
	;; [unrolled: 8-line block ×3, first 2 shown]
	s_waitcnt lgkmcnt(0)
	v_perm_b32 v31, v38, v39, s5
	v_pk_fma_f16 v11, v30, v19, v11 op_sel_hi:[1,0,1]
	v_pk_fma_f16 v10, v30, v23, v10 op_sel_hi:[1,0,1]
	v_pk_fma_f16 v11, v31, v19, v11 op_sel:[0,1,0]
	v_pk_fma_f16 v10, v31, v23, v10 op_sel:[0,1,0]
	s_barrier
	s_cbranch_vccnz .LBB18_2
	s_branch .LBB18_4
.LBB18_3:
	v_mov_b32_e32 v11, v3
	v_mov_b32_e32 v10, v3
.LBB18_4:
	s_load_dwordx4 s[16:19], s[0:1], 0x78
	s_load_dword s5, s[0:1], 0x18
	s_load_dword s20, s[0:1], 0x50
	s_load_dwordx8 s[8:15], s[0:1], 0x58
	v_lshl_add_u64 v[2:3], s[6:7], 0, v[2:3]
	s_waitcnt lgkmcnt(0)
	s_mul_i32 s0, s19, s4
	s_mul_hi_u32 s1, s18, s4
	s_add_i32 s1, s1, s0
	s_mul_i32 s0, s18, s4
	s_lshl_b64 s[0:1], s[0:1], 1
	s_add_u32 s0, s14, s0
	v_cmp_neq_f16_e64 s[6:7], s20, 0
	v_lshl_add_u64 v[0:1], s[2:3], 0, v[0:1]
	s_addc_u32 s1, s15, s1
	s_and_b64 vcc, exec, s[6:7]
	v_mul_lo_u32 v6, v3, s16
	v_mul_lo_u32 v7, v2, s17
	v_lshrrev_b32_e32 v5, 16, v11
	v_lshlrev_b64 v[0:1], 1, v[0:1]
	v_lshrrev_b32_e32 v4, 16, v10
	s_cbranch_vccnz .LBB18_8
; %bb.5:
	v_mad_u64_u32 v[8:9], s[2:3], v2, s16, 0
	v_add3_u32 v9, v9, v7, v6
	v_lshl_add_u64 v[8:9], v[8:9], 1, s[0:1]
	v_mul_f16_sdwa v14, s5, v11 dst_sel:DWORD dst_unused:UNUSED_PAD src0_sel:DWORD src1_sel:WORD_1
	v_lshl_add_u64 v[12:13], v[8:9], 0, v[0:1]
	s_lshl_b64 s[2:3], s[16:17], 5
	global_store_short v[12:13], v14, off
	v_mul_f16_e32 v14, s5, v11
	v_lshl_add_u64 v[8:9], v[8:9], 0, s[2:3]
	global_store_short v[12:13], v14, off offset:32
	v_mul_f16_sdwa v12, s5, v10 dst_sel:DWORD dst_unused:UNUSED_PAD src0_sel:DWORD src1_sel:WORD_1
	v_lshl_add_u64 v[8:9], v[8:9], 0, v[0:1]
	global_store_short v[8:9], v12, off
	v_mul_f16_e32 v12, s5, v10
	global_store_short v[8:9], v12, off offset:32
	s_cbranch_execnz .LBB18_7
.LBB18_6:
	s_mul_i32 s2, s13, s4
	s_mul_hi_u32 s3, s12, s4
	s_add_i32 s3, s3, s2
	s_mul_i32 s2, s12, s4
	s_lshl_b64 s[2:3], s[2:3], 1
	s_add_u32 s2, s8, s2
	v_mul_lo_u32 v3, v3, s10
	v_mul_lo_u32 v12, v2, s11
	v_mad_u64_u32 v[8:9], s[6:7], v2, s10, 0
	s_addc_u32 s3, s9, s3
	v_add3_u32 v9, v9, v12, v3
	v_lshl_add_u64 v[8:9], v[8:9], 1, s[2:3]
	v_lshl_add_u64 v[12:13], v[8:9], 0, v[0:1]
	global_load_ushort v14, v[12:13], off
	v_mad_u64_u32 v[2:3], s[2:3], v2, s16, 0
	v_add3_u32 v3, v3, v7, v6
	v_lshl_add_u64 v[2:3], v[2:3], 1, s[0:1]
	v_lshl_add_u64 v[6:7], v[2:3], 0, v[0:1]
	s_lshl_b64 s[0:1], s[10:11], 5
	v_lshl_add_u64 v[8:9], v[8:9], 0, s[0:1]
	v_lshl_add_u64 v[8:9], v[8:9], 0, v[0:1]
	s_lshl_b64 s[0:1], s[16:17], 5
	v_lshl_add_u64 v[2:3], v[2:3], 0, s[0:1]
	v_lshl_add_u64 v[0:1], v[2:3], 0, v[0:1]
	s_waitcnt vmcnt(0)
	v_mul_f16_e32 v14, s20, v14
	v_fma_f16 v5, s5, v5, v14
	global_store_short v[6:7], v5, off
	global_load_ushort v5, v[12:13], off offset:32
	s_waitcnt vmcnt(0)
	v_mul_f16_e32 v5, s20, v5
	v_fma_f16 v5, s5, v11, v5
	global_store_short v[6:7], v5, off offset:32
	global_load_ushort v5, v[8:9], off
	s_waitcnt vmcnt(0)
	v_mul_f16_e32 v5, s20, v5
	v_fma_f16 v4, s5, v4, v5
	global_store_short v[0:1], v4, off
	global_load_ushort v2, v[8:9], off offset:32
	s_waitcnt vmcnt(0)
	v_mul_f16_e32 v2, s20, v2
	v_fma_f16 v2, s5, v10, v2
	global_store_short v[0:1], v2, off offset:32
.LBB18_7:
	s_endpgm
.LBB18_8:
	s_branch .LBB18_6
	.section	.rodata,"a",@progbits
	.p2align	6, 0x0
	.amdhsa_kernel _ZN12_GLOBAL__N_127rocblas_gemm_batched_kernelIDF16_Li16ELi16ELi32ELi32ELi8ELi32ELi8ELi8ELi32ELc78ELc67EKDF16_S1_DF16_EEvlllT_PT11_llS4_llS2_PT12_llPT13_lli
		.amdhsa_group_segment_fixed_size 1024
		.amdhsa_private_segment_fixed_size 0
		.amdhsa_kernarg_size 140
		.amdhsa_user_sgpr_count 2
		.amdhsa_user_sgpr_dispatch_ptr 0
		.amdhsa_user_sgpr_queue_ptr 0
		.amdhsa_user_sgpr_kernarg_segment_ptr 1
		.amdhsa_user_sgpr_dispatch_id 0
		.amdhsa_user_sgpr_kernarg_preload_length 0
		.amdhsa_user_sgpr_kernarg_preload_offset 0
		.amdhsa_user_sgpr_private_segment_size 0
		.amdhsa_uses_dynamic_stack 0
		.amdhsa_enable_private_segment 0
		.amdhsa_system_sgpr_workgroup_id_x 1
		.amdhsa_system_sgpr_workgroup_id_y 1
		.amdhsa_system_sgpr_workgroup_id_z 1
		.amdhsa_system_sgpr_workgroup_info 0
		.amdhsa_system_vgpr_workitem_id 1
		.amdhsa_next_free_vgpr 40
		.amdhsa_next_free_sgpr 24
		.amdhsa_accum_offset 40
		.amdhsa_reserve_vcc 1
		.amdhsa_float_round_mode_32 0
		.amdhsa_float_round_mode_16_64 0
		.amdhsa_float_denorm_mode_32 3
		.amdhsa_float_denorm_mode_16_64 3
		.amdhsa_dx10_clamp 1
		.amdhsa_ieee_mode 1
		.amdhsa_fp16_overflow 0
		.amdhsa_tg_split 0
		.amdhsa_exception_fp_ieee_invalid_op 0
		.amdhsa_exception_fp_denorm_src 0
		.amdhsa_exception_fp_ieee_div_zero 0
		.amdhsa_exception_fp_ieee_overflow 0
		.amdhsa_exception_fp_ieee_underflow 0
		.amdhsa_exception_fp_ieee_inexact 0
		.amdhsa_exception_int_div_zero 0
	.end_amdhsa_kernel
	.section	.text._ZN12_GLOBAL__N_127rocblas_gemm_batched_kernelIDF16_Li16ELi16ELi32ELi32ELi8ELi32ELi8ELi8ELi32ELc78ELc67EKDF16_S1_DF16_EEvlllT_PT11_llS4_llS2_PT12_llPT13_lli,"axG",@progbits,_ZN12_GLOBAL__N_127rocblas_gemm_batched_kernelIDF16_Li16ELi16ELi32ELi32ELi8ELi32ELi8ELi8ELi32ELc78ELc67EKDF16_S1_DF16_EEvlllT_PT11_llS4_llS2_PT12_llPT13_lli,comdat
.Lfunc_end18:
	.size	_ZN12_GLOBAL__N_127rocblas_gemm_batched_kernelIDF16_Li16ELi16ELi32ELi32ELi8ELi32ELi8ELi8ELi32ELc78ELc67EKDF16_S1_DF16_EEvlllT_PT11_llS4_llS2_PT12_llPT13_lli, .Lfunc_end18-_ZN12_GLOBAL__N_127rocblas_gemm_batched_kernelIDF16_Li16ELi16ELi32ELi32ELi8ELi32ELi8ELi8ELi32ELc78ELc67EKDF16_S1_DF16_EEvlllT_PT11_llS4_llS2_PT12_llPT13_lli
                                        ; -- End function
	.set _ZN12_GLOBAL__N_127rocblas_gemm_batched_kernelIDF16_Li16ELi16ELi32ELi32ELi8ELi32ELi8ELi8ELi32ELc78ELc67EKDF16_S1_DF16_EEvlllT_PT11_llS4_llS2_PT12_llPT13_lli.num_vgpr, 40
	.set _ZN12_GLOBAL__N_127rocblas_gemm_batched_kernelIDF16_Li16ELi16ELi32ELi32ELi8ELi32ELi8ELi8ELi32ELc78ELc67EKDF16_S1_DF16_EEvlllT_PT11_llS4_llS2_PT12_llPT13_lli.num_agpr, 0
	.set _ZN12_GLOBAL__N_127rocblas_gemm_batched_kernelIDF16_Li16ELi16ELi32ELi32ELi8ELi32ELi8ELi8ELi32ELc78ELc67EKDF16_S1_DF16_EEvlllT_PT11_llS4_llS2_PT12_llPT13_lli.numbered_sgpr, 24
	.set _ZN12_GLOBAL__N_127rocblas_gemm_batched_kernelIDF16_Li16ELi16ELi32ELi32ELi8ELi32ELi8ELi8ELi32ELc78ELc67EKDF16_S1_DF16_EEvlllT_PT11_llS4_llS2_PT12_llPT13_lli.num_named_barrier, 0
	.set _ZN12_GLOBAL__N_127rocblas_gemm_batched_kernelIDF16_Li16ELi16ELi32ELi32ELi8ELi32ELi8ELi8ELi32ELc78ELc67EKDF16_S1_DF16_EEvlllT_PT11_llS4_llS2_PT12_llPT13_lli.private_seg_size, 0
	.set _ZN12_GLOBAL__N_127rocblas_gemm_batched_kernelIDF16_Li16ELi16ELi32ELi32ELi8ELi32ELi8ELi8ELi32ELc78ELc67EKDF16_S1_DF16_EEvlllT_PT11_llS4_llS2_PT12_llPT13_lli.uses_vcc, 1
	.set _ZN12_GLOBAL__N_127rocblas_gemm_batched_kernelIDF16_Li16ELi16ELi32ELi32ELi8ELi32ELi8ELi8ELi32ELc78ELc67EKDF16_S1_DF16_EEvlllT_PT11_llS4_llS2_PT12_llPT13_lli.uses_flat_scratch, 0
	.set _ZN12_GLOBAL__N_127rocblas_gemm_batched_kernelIDF16_Li16ELi16ELi32ELi32ELi8ELi32ELi8ELi8ELi32ELc78ELc67EKDF16_S1_DF16_EEvlllT_PT11_llS4_llS2_PT12_llPT13_lli.has_dyn_sized_stack, 0
	.set _ZN12_GLOBAL__N_127rocblas_gemm_batched_kernelIDF16_Li16ELi16ELi32ELi32ELi8ELi32ELi8ELi8ELi32ELc78ELc67EKDF16_S1_DF16_EEvlllT_PT11_llS4_llS2_PT12_llPT13_lli.has_recursion, 0
	.set _ZN12_GLOBAL__N_127rocblas_gemm_batched_kernelIDF16_Li16ELi16ELi32ELi32ELi8ELi32ELi8ELi8ELi32ELc78ELc67EKDF16_S1_DF16_EEvlllT_PT11_llS4_llS2_PT12_llPT13_lli.has_indirect_call, 0
	.section	.AMDGPU.csdata,"",@progbits
; Kernel info:
; codeLenInByte = 1332
; TotalNumSgprs: 30
; NumVgprs: 40
; NumAgprs: 0
; TotalNumVgprs: 40
; ScratchSize: 0
; MemoryBound: 0
; FloatMode: 240
; IeeeMode: 1
; LDSByteSize: 1024 bytes/workgroup (compile time only)
; SGPRBlocks: 3
; VGPRBlocks: 4
; NumSGPRsForWavesPerEU: 30
; NumVGPRsForWavesPerEU: 40
; AccumOffset: 40
; Occupancy: 8
; WaveLimiterHint : 0
; COMPUTE_PGM_RSRC2:SCRATCH_EN: 0
; COMPUTE_PGM_RSRC2:USER_SGPR: 2
; COMPUTE_PGM_RSRC2:TRAP_HANDLER: 0
; COMPUTE_PGM_RSRC2:TGID_X_EN: 1
; COMPUTE_PGM_RSRC2:TGID_Y_EN: 1
; COMPUTE_PGM_RSRC2:TGID_Z_EN: 1
; COMPUTE_PGM_RSRC2:TIDIG_COMP_CNT: 1
; COMPUTE_PGM_RSRC3_GFX90A:ACCUM_OFFSET: 9
; COMPUTE_PGM_RSRC3_GFX90A:TG_SPLIT: 0
	.section	.text._ZN12_GLOBAL__N_127rocblas_gemm_batched_kernelIDF16_Li16ELi16ELi32ELi32ELi8ELi32ELi8ELi8ELi32ELc84ELc67EKDF16_S1_DF16_EEvlllT_PT11_llS4_llS2_PT12_llPT13_lli,"axG",@progbits,_ZN12_GLOBAL__N_127rocblas_gemm_batched_kernelIDF16_Li16ELi16ELi32ELi32ELi8ELi32ELi8ELi8ELi32ELc84ELc67EKDF16_S1_DF16_EEvlllT_PT11_llS4_llS2_PT12_llPT13_lli,comdat
	.globl	_ZN12_GLOBAL__N_127rocblas_gemm_batched_kernelIDF16_Li16ELi16ELi32ELi32ELi8ELi32ELi8ELi8ELi32ELc84ELc67EKDF16_S1_DF16_EEvlllT_PT11_llS4_llS2_PT12_llPT13_lli ; -- Begin function _ZN12_GLOBAL__N_127rocblas_gemm_batched_kernelIDF16_Li16ELi16ELi32ELi32ELi8ELi32ELi8ELi8ELi32ELc84ELc67EKDF16_S1_DF16_EEvlllT_PT11_llS4_llS2_PT12_llPT13_lli
	.p2align	8
	.type	_ZN12_GLOBAL__N_127rocblas_gemm_batched_kernelIDF16_Li16ELi16ELi32ELi32ELi8ELi32ELi8ELi8ELi32ELc84ELc67EKDF16_S1_DF16_EEvlllT_PT11_llS4_llS2_PT12_llPT13_lli,@function
_ZN12_GLOBAL__N_127rocblas_gemm_batched_kernelIDF16_Li16ELi16ELi32ELi32ELi8ELi32ELi8ELi8ELi32ELc84ELc67EKDF16_S1_DF16_EEvlllT_PT11_llS4_llS2_PT12_llPT13_lli: ; @_ZN12_GLOBAL__N_127rocblas_gemm_batched_kernelIDF16_Li16ELi16ELi32ELi32ELi8ELi32ELi8ELi8ELi32ELc84ELc67EKDF16_S1_DF16_EEvlllT_PT11_llS4_llS2_PT12_llPT13_lli
; %bb.0:
	s_load_dwordx2 s[16:17], s[0:1], 0x10
	s_mov_b32 s6, s3
	v_mov_b32_e32 v3, 0
	s_ashr_i32 s3, s2, 31
	s_ashr_i32 s7, s6, 31
	s_waitcnt lgkmcnt(0)
	v_cmp_lt_i64_e64 s[8:9], s[16:17], 1
	v_bfe_u32 v2, v0, 10, 10
	v_and_b32_e32 v0, 0x3ff, v0
	v_mov_b32_e32 v1, v3
	s_lshl_b64 s[2:3], s[2:3], 5
	s_lshl_b64 s[6:7], s[6:7], 5
	s_and_b64 vcc, exec, s[8:9]
	s_cbranch_vccnz .LBB19_3
; %bb.1:
	s_load_dwordx8 s[8:15], s[0:1], 0x20
	s_load_dwordx4 s[20:23], s[0:1], 0x40
	v_lshlrev_b32_e32 v8, 4, v2
	v_add_u32_e32 v9, v8, v0
	v_and_b32_e32 v6, 31, v9
	v_lshrrev_b32_e32 v4, 3, v9
	v_and_b32_e32 v10, 7, v0
	v_lshrrev_b32_e32 v11, 5, v9
	v_lshlrev_b32_e32 v9, 1, v6
	v_mov_b32_e32 v5, v3
	v_lshl_or_b32 v12, v11, 6, v9
	v_lshlrev_b32_e32 v9, 1, v10
	s_waitcnt lgkmcnt(0)
	s_mul_i32 s5, s23, s4
	s_mul_hi_u32 s18, s22, s4
	v_lshl_or_b32 v9, v4, 4, v9
	s_add_i32 s19, s18, s5
	s_mul_i32 s18, s22, s4
	v_mad_u64_u32 v[4:5], s[22:23], s20, v10, v[4:5]
	v_mov_b32_e32 v7, v3
	v_add_u32_e32 v15, 0x200, v8
	v_mov_b32_e32 v8, v5
	v_add_u32_e32 v13, 0x200, v9
	v_mad_u64_u32 v[8:9], s[22:23], s21, v10, v[8:9]
	v_lshl_add_u64 v[6:7], s[2:3], 0, v[6:7]
	s_lshl_b64 s[18:19], s[18:19], 1
	v_mov_b32_e32 v5, v8
	v_mul_lo_u32 v8, s11, v6
	v_mul_lo_u32 v9, s10, v7
	v_mad_u64_u32 v[6:7], s[10:11], s10, v6, 0
	s_add_u32 s14, s14, s18
	s_mul_i32 s5, s13, s4
	s_mul_hi_u32 s10, s12, s4
	s_addc_u32 s15, s15, s19
	s_add_i32 s11, s10, s5
	s_mul_i32 s10, s12, s4
	v_add3_u32 v7, v7, v9, v8
	s_lshl_b64 s[10:11], s[10:11], 1
	v_lshl_add_u64 v[6:7], v[6:7], 1, s[10:11]
	v_lshlrev_b32_e32 v8, 1, v11
	v_mov_b32_e32 v9, v3
	v_lshl_add_u64 v[4:5], v[4:5], 0, s[6:7]
	v_lshl_add_u64 v[6:7], v[6:7], 0, v[8:9]
	v_lshlrev_b32_e32 v14, 1, v0
	v_lshl_add_u64 v[4:5], v[4:5], 1, s[14:15]
	s_lshl_b64 s[14:15], s[20:21], 4
	v_lshl_add_u64 v[6:7], s[8:9], 0, v[6:7]
	s_mov_b64 s[8:9], 0
	s_mov_b32 s5, 0x5040100
	v_mov_b64_e32 v[8:9], s[16:17]
	v_mov_b32_e32 v10, v3
	v_mov_b32_e32 v11, v3
.LBB19_2:                               ; =>This Inner Loop Header: Depth=1
	global_load_ushort v16, v[6:7], off
	global_load_ushort v17, v[4:5], off
	s_add_u32 s8, s8, 8
	s_addc_u32 s9, s9, 0
	v_cmp_lt_i64_e32 vcc, s[8:9], v[8:9]
	v_lshl_add_u64 v[4:5], v[4:5], 0, s[14:15]
	v_lshl_add_u64 v[6:7], v[6:7], 0, 16
	s_and_b64 vcc, exec, vcc
	s_waitcnt vmcnt(1)
	ds_write_b16 v12, v16
	s_waitcnt vmcnt(0)
	ds_write_b16 v13, v17
	s_waitcnt lgkmcnt(0)
	s_barrier
	ds_read_b128 v[16:19], v15
	ds_read_b128 v[20:23], v15 offset:256
	ds_read_u16 v24, v14
	ds_read_u16 v25, v14 offset:32
	ds_read_u16 v26, v14 offset:64
	;; [unrolled: 1-line block ×15, first 2 shown]
	s_waitcnt lgkmcnt(14)
	v_perm_b32 v24, v24, v25, s5
	s_waitcnt lgkmcnt(12)
	v_perm_b32 v25, v26, v27, s5
	v_pk_fma_f16 v11, v24, v16, v11 op_sel_hi:[1,0,1]
	v_pk_fma_f16 v10, v24, v20, v10 op_sel_hi:[1,0,1]
	s_waitcnt lgkmcnt(10)
	v_perm_b32 v26, v28, v29, s5
	v_pk_fma_f16 v11, v25, v16, v11 op_sel:[0,1,0]
	v_pk_fma_f16 v10, v25, v20, v10 op_sel:[0,1,0]
	s_waitcnt lgkmcnt(8)
	v_perm_b32 v27, v30, v31, s5
	v_pk_fma_f16 v11, v26, v17, v11 op_sel_hi:[1,0,1]
	v_pk_fma_f16 v10, v26, v21, v10 op_sel_hi:[1,0,1]
	s_waitcnt lgkmcnt(6)
	v_perm_b32 v28, v32, v33, s5
	v_pk_fma_f16 v11, v27, v17, v11 op_sel:[0,1,0]
	v_pk_fma_f16 v10, v27, v21, v10 op_sel:[0,1,0]
	;; [unrolled: 8-line block ×3, first 2 shown]
	s_waitcnt lgkmcnt(0)
	v_perm_b32 v31, v38, v39, s5
	v_pk_fma_f16 v11, v30, v19, v11 op_sel_hi:[1,0,1]
	v_pk_fma_f16 v10, v30, v23, v10 op_sel_hi:[1,0,1]
	v_pk_fma_f16 v11, v31, v19, v11 op_sel:[0,1,0]
	v_pk_fma_f16 v10, v31, v23, v10 op_sel:[0,1,0]
	s_barrier
	s_cbranch_vccnz .LBB19_2
	s_branch .LBB19_4
.LBB19_3:
	v_mov_b32_e32 v11, v3
	v_mov_b32_e32 v10, v3
.LBB19_4:
	s_load_dwordx4 s[16:19], s[0:1], 0x78
	s_load_dword s5, s[0:1], 0x18
	s_load_dword s20, s[0:1], 0x50
	s_load_dwordx8 s[8:15], s[0:1], 0x58
	v_lshl_add_u64 v[2:3], s[6:7], 0, v[2:3]
	s_waitcnt lgkmcnt(0)
	s_mul_i32 s0, s19, s4
	s_mul_hi_u32 s1, s18, s4
	s_add_i32 s1, s1, s0
	s_mul_i32 s0, s18, s4
	s_lshl_b64 s[0:1], s[0:1], 1
	s_add_u32 s0, s14, s0
	v_cmp_neq_f16_e64 s[6:7], s20, 0
	v_lshl_add_u64 v[0:1], s[2:3], 0, v[0:1]
	s_addc_u32 s1, s15, s1
	s_and_b64 vcc, exec, s[6:7]
	v_mul_lo_u32 v6, v3, s16
	v_mul_lo_u32 v7, v2, s17
	v_lshrrev_b32_e32 v5, 16, v11
	v_lshlrev_b64 v[0:1], 1, v[0:1]
	v_lshrrev_b32_e32 v4, 16, v10
	s_cbranch_vccnz .LBB19_8
; %bb.5:
	v_mad_u64_u32 v[8:9], s[2:3], v2, s16, 0
	v_add3_u32 v9, v9, v7, v6
	v_lshl_add_u64 v[8:9], v[8:9], 1, s[0:1]
	v_mul_f16_sdwa v14, s5, v11 dst_sel:DWORD dst_unused:UNUSED_PAD src0_sel:DWORD src1_sel:WORD_1
	v_lshl_add_u64 v[12:13], v[8:9], 0, v[0:1]
	s_lshl_b64 s[2:3], s[16:17], 5
	global_store_short v[12:13], v14, off
	v_mul_f16_e32 v14, s5, v11
	v_lshl_add_u64 v[8:9], v[8:9], 0, s[2:3]
	global_store_short v[12:13], v14, off offset:32
	v_mul_f16_sdwa v12, s5, v10 dst_sel:DWORD dst_unused:UNUSED_PAD src0_sel:DWORD src1_sel:WORD_1
	v_lshl_add_u64 v[8:9], v[8:9], 0, v[0:1]
	global_store_short v[8:9], v12, off
	v_mul_f16_e32 v12, s5, v10
	global_store_short v[8:9], v12, off offset:32
	s_cbranch_execnz .LBB19_7
.LBB19_6:
	s_mul_i32 s2, s13, s4
	s_mul_hi_u32 s3, s12, s4
	s_add_i32 s3, s3, s2
	s_mul_i32 s2, s12, s4
	s_lshl_b64 s[2:3], s[2:3], 1
	s_add_u32 s2, s8, s2
	v_mul_lo_u32 v3, v3, s10
	v_mul_lo_u32 v12, v2, s11
	v_mad_u64_u32 v[8:9], s[6:7], v2, s10, 0
	s_addc_u32 s3, s9, s3
	v_add3_u32 v9, v9, v12, v3
	v_lshl_add_u64 v[8:9], v[8:9], 1, s[2:3]
	v_lshl_add_u64 v[12:13], v[8:9], 0, v[0:1]
	global_load_ushort v14, v[12:13], off
	v_mad_u64_u32 v[2:3], s[2:3], v2, s16, 0
	v_add3_u32 v3, v3, v7, v6
	v_lshl_add_u64 v[2:3], v[2:3], 1, s[0:1]
	v_lshl_add_u64 v[6:7], v[2:3], 0, v[0:1]
	s_lshl_b64 s[0:1], s[10:11], 5
	v_lshl_add_u64 v[8:9], v[8:9], 0, s[0:1]
	v_lshl_add_u64 v[8:9], v[8:9], 0, v[0:1]
	s_lshl_b64 s[0:1], s[16:17], 5
	v_lshl_add_u64 v[2:3], v[2:3], 0, s[0:1]
	v_lshl_add_u64 v[0:1], v[2:3], 0, v[0:1]
	s_waitcnt vmcnt(0)
	v_mul_f16_e32 v14, s20, v14
	v_fma_f16 v5, s5, v5, v14
	global_store_short v[6:7], v5, off
	global_load_ushort v5, v[12:13], off offset:32
	s_waitcnt vmcnt(0)
	v_mul_f16_e32 v5, s20, v5
	v_fma_f16 v5, s5, v11, v5
	global_store_short v[6:7], v5, off offset:32
	global_load_ushort v5, v[8:9], off
	s_waitcnt vmcnt(0)
	v_mul_f16_e32 v5, s20, v5
	v_fma_f16 v4, s5, v4, v5
	global_store_short v[0:1], v4, off
	global_load_ushort v2, v[8:9], off offset:32
	s_waitcnt vmcnt(0)
	v_mul_f16_e32 v2, s20, v2
	v_fma_f16 v2, s5, v10, v2
	global_store_short v[0:1], v2, off offset:32
.LBB19_7:
	s_endpgm
.LBB19_8:
	s_branch .LBB19_6
	.section	.rodata,"a",@progbits
	.p2align	6, 0x0
	.amdhsa_kernel _ZN12_GLOBAL__N_127rocblas_gemm_batched_kernelIDF16_Li16ELi16ELi32ELi32ELi8ELi32ELi8ELi8ELi32ELc84ELc67EKDF16_S1_DF16_EEvlllT_PT11_llS4_llS2_PT12_llPT13_lli
		.amdhsa_group_segment_fixed_size 1024
		.amdhsa_private_segment_fixed_size 0
		.amdhsa_kernarg_size 140
		.amdhsa_user_sgpr_count 2
		.amdhsa_user_sgpr_dispatch_ptr 0
		.amdhsa_user_sgpr_queue_ptr 0
		.amdhsa_user_sgpr_kernarg_segment_ptr 1
		.amdhsa_user_sgpr_dispatch_id 0
		.amdhsa_user_sgpr_kernarg_preload_length 0
		.amdhsa_user_sgpr_kernarg_preload_offset 0
		.amdhsa_user_sgpr_private_segment_size 0
		.amdhsa_uses_dynamic_stack 0
		.amdhsa_enable_private_segment 0
		.amdhsa_system_sgpr_workgroup_id_x 1
		.amdhsa_system_sgpr_workgroup_id_y 1
		.amdhsa_system_sgpr_workgroup_id_z 1
		.amdhsa_system_sgpr_workgroup_info 0
		.amdhsa_system_vgpr_workitem_id 1
		.amdhsa_next_free_vgpr 40
		.amdhsa_next_free_sgpr 24
		.amdhsa_accum_offset 40
		.amdhsa_reserve_vcc 1
		.amdhsa_float_round_mode_32 0
		.amdhsa_float_round_mode_16_64 0
		.amdhsa_float_denorm_mode_32 3
		.amdhsa_float_denorm_mode_16_64 3
		.amdhsa_dx10_clamp 1
		.amdhsa_ieee_mode 1
		.amdhsa_fp16_overflow 0
		.amdhsa_tg_split 0
		.amdhsa_exception_fp_ieee_invalid_op 0
		.amdhsa_exception_fp_denorm_src 0
		.amdhsa_exception_fp_ieee_div_zero 0
		.amdhsa_exception_fp_ieee_overflow 0
		.amdhsa_exception_fp_ieee_underflow 0
		.amdhsa_exception_fp_ieee_inexact 0
		.amdhsa_exception_int_div_zero 0
	.end_amdhsa_kernel
	.section	.text._ZN12_GLOBAL__N_127rocblas_gemm_batched_kernelIDF16_Li16ELi16ELi32ELi32ELi8ELi32ELi8ELi8ELi32ELc84ELc67EKDF16_S1_DF16_EEvlllT_PT11_llS4_llS2_PT12_llPT13_lli,"axG",@progbits,_ZN12_GLOBAL__N_127rocblas_gemm_batched_kernelIDF16_Li16ELi16ELi32ELi32ELi8ELi32ELi8ELi8ELi32ELc84ELc67EKDF16_S1_DF16_EEvlllT_PT11_llS4_llS2_PT12_llPT13_lli,comdat
.Lfunc_end19:
	.size	_ZN12_GLOBAL__N_127rocblas_gemm_batched_kernelIDF16_Li16ELi16ELi32ELi32ELi8ELi32ELi8ELi8ELi32ELc84ELc67EKDF16_S1_DF16_EEvlllT_PT11_llS4_llS2_PT12_llPT13_lli, .Lfunc_end19-_ZN12_GLOBAL__N_127rocblas_gemm_batched_kernelIDF16_Li16ELi16ELi32ELi32ELi8ELi32ELi8ELi8ELi32ELc84ELc67EKDF16_S1_DF16_EEvlllT_PT11_llS4_llS2_PT12_llPT13_lli
                                        ; -- End function
	.set _ZN12_GLOBAL__N_127rocblas_gemm_batched_kernelIDF16_Li16ELi16ELi32ELi32ELi8ELi32ELi8ELi8ELi32ELc84ELc67EKDF16_S1_DF16_EEvlllT_PT11_llS4_llS2_PT12_llPT13_lli.num_vgpr, 40
	.set _ZN12_GLOBAL__N_127rocblas_gemm_batched_kernelIDF16_Li16ELi16ELi32ELi32ELi8ELi32ELi8ELi8ELi32ELc84ELc67EKDF16_S1_DF16_EEvlllT_PT11_llS4_llS2_PT12_llPT13_lli.num_agpr, 0
	.set _ZN12_GLOBAL__N_127rocblas_gemm_batched_kernelIDF16_Li16ELi16ELi32ELi32ELi8ELi32ELi8ELi8ELi32ELc84ELc67EKDF16_S1_DF16_EEvlllT_PT11_llS4_llS2_PT12_llPT13_lli.numbered_sgpr, 24
	.set _ZN12_GLOBAL__N_127rocblas_gemm_batched_kernelIDF16_Li16ELi16ELi32ELi32ELi8ELi32ELi8ELi8ELi32ELc84ELc67EKDF16_S1_DF16_EEvlllT_PT11_llS4_llS2_PT12_llPT13_lli.num_named_barrier, 0
	.set _ZN12_GLOBAL__N_127rocblas_gemm_batched_kernelIDF16_Li16ELi16ELi32ELi32ELi8ELi32ELi8ELi8ELi32ELc84ELc67EKDF16_S1_DF16_EEvlllT_PT11_llS4_llS2_PT12_llPT13_lli.private_seg_size, 0
	.set _ZN12_GLOBAL__N_127rocblas_gemm_batched_kernelIDF16_Li16ELi16ELi32ELi32ELi8ELi32ELi8ELi8ELi32ELc84ELc67EKDF16_S1_DF16_EEvlllT_PT11_llS4_llS2_PT12_llPT13_lli.uses_vcc, 1
	.set _ZN12_GLOBAL__N_127rocblas_gemm_batched_kernelIDF16_Li16ELi16ELi32ELi32ELi8ELi32ELi8ELi8ELi32ELc84ELc67EKDF16_S1_DF16_EEvlllT_PT11_llS4_llS2_PT12_llPT13_lli.uses_flat_scratch, 0
	.set _ZN12_GLOBAL__N_127rocblas_gemm_batched_kernelIDF16_Li16ELi16ELi32ELi32ELi8ELi32ELi8ELi8ELi32ELc84ELc67EKDF16_S1_DF16_EEvlllT_PT11_llS4_llS2_PT12_llPT13_lli.has_dyn_sized_stack, 0
	.set _ZN12_GLOBAL__N_127rocblas_gemm_batched_kernelIDF16_Li16ELi16ELi32ELi32ELi8ELi32ELi8ELi8ELi32ELc84ELc67EKDF16_S1_DF16_EEvlllT_PT11_llS4_llS2_PT12_llPT13_lli.has_recursion, 0
	.set _ZN12_GLOBAL__N_127rocblas_gemm_batched_kernelIDF16_Li16ELi16ELi32ELi32ELi8ELi32ELi8ELi8ELi32ELc84ELc67EKDF16_S1_DF16_EEvlllT_PT11_llS4_llS2_PT12_llPT13_lli.has_indirect_call, 0
	.section	.AMDGPU.csdata,"",@progbits
; Kernel info:
; codeLenInByte = 1348
; TotalNumSgprs: 30
; NumVgprs: 40
; NumAgprs: 0
; TotalNumVgprs: 40
; ScratchSize: 0
; MemoryBound: 0
; FloatMode: 240
; IeeeMode: 1
; LDSByteSize: 1024 bytes/workgroup (compile time only)
; SGPRBlocks: 3
; VGPRBlocks: 4
; NumSGPRsForWavesPerEU: 30
; NumVGPRsForWavesPerEU: 40
; AccumOffset: 40
; Occupancy: 8
; WaveLimiterHint : 0
; COMPUTE_PGM_RSRC2:SCRATCH_EN: 0
; COMPUTE_PGM_RSRC2:USER_SGPR: 2
; COMPUTE_PGM_RSRC2:TRAP_HANDLER: 0
; COMPUTE_PGM_RSRC2:TGID_X_EN: 1
; COMPUTE_PGM_RSRC2:TGID_Y_EN: 1
; COMPUTE_PGM_RSRC2:TGID_Z_EN: 1
; COMPUTE_PGM_RSRC2:TIDIG_COMP_CNT: 1
; COMPUTE_PGM_RSRC3_GFX90A:ACCUM_OFFSET: 9
; COMPUTE_PGM_RSRC3_GFX90A:TG_SPLIT: 0
	.section	.text._ZN12_GLOBAL__N_135rocblas_gemm_batched_general_kernelIDF16_Li16ELi16ELi32ELi32ELi8ELi32ELi8ELi8ELi32ELc78ELc78EKDF16_S1_DF16_EEvlllT_PT11_llS4_llS2_PT12_llPT13_lli,"axG",@progbits,_ZN12_GLOBAL__N_135rocblas_gemm_batched_general_kernelIDF16_Li16ELi16ELi32ELi32ELi8ELi32ELi8ELi8ELi32ELc78ELc78EKDF16_S1_DF16_EEvlllT_PT11_llS4_llS2_PT12_llPT13_lli,comdat
	.globl	_ZN12_GLOBAL__N_135rocblas_gemm_batched_general_kernelIDF16_Li16ELi16ELi32ELi32ELi8ELi32ELi8ELi8ELi32ELc78ELc78EKDF16_S1_DF16_EEvlllT_PT11_llS4_llS2_PT12_llPT13_lli ; -- Begin function _ZN12_GLOBAL__N_135rocblas_gemm_batched_general_kernelIDF16_Li16ELi16ELi32ELi32ELi8ELi32ELi8ELi8ELi32ELc78ELc78EKDF16_S1_DF16_EEvlllT_PT11_llS4_llS2_PT12_llPT13_lli
	.p2align	8
	.type	_ZN12_GLOBAL__N_135rocblas_gemm_batched_general_kernelIDF16_Li16ELi16ELi32ELi32ELi8ELi32ELi8ELi8ELi32ELc78ELc78EKDF16_S1_DF16_EEvlllT_PT11_llS4_llS2_PT12_llPT13_lli,@function
_ZN12_GLOBAL__N_135rocblas_gemm_batched_general_kernelIDF16_Li16ELi16ELi32ELi32ELi8ELi32ELi8ELi8ELi32ELc78ELc78EKDF16_S1_DF16_EEvlllT_PT11_llS4_llS2_PT12_llPT13_lli: ; @_ZN12_GLOBAL__N_135rocblas_gemm_batched_general_kernelIDF16_Li16ELi16ELi32ELi32ELi8ELi32ELi8ELi8ELi32ELc78ELc78EKDF16_S1_DF16_EEvlllT_PT11_llS4_llS2_PT12_llPT13_lli
; %bb.0:
	s_load_dwordx4 s[20:23], s[0:1], 0x0
	s_load_dwordx2 s[10:11], s[0:1], 0x10
	s_mov_b32 s6, s3
	s_ashr_i32 s7, s6, 31
	v_mov_b32_e32 v1, 0
	s_ashr_i32 s3, s2, 31
	s_lshl_b64 s[26:27], s[6:7], 5
	s_waitcnt lgkmcnt(0)
	v_cmp_lt_i64_e64 s[6:7], s[10:11], 1
	v_and_b32_e32 v2, 0x3ff, v0
	v_bfe_u32 v0, v0, 10, 10
	v_mov_b32_e32 v3, v1
	s_lshl_b64 s[24:25], s[2:3], 5
	s_and_b64 vcc, exec, s[6:7]
	s_cbranch_vccnz .LBB20_7
; %bb.1:
	s_load_dwordx8 s[12:19], s[0:1], 0x20
	s_load_dwordx4 s[28:31], s[0:1], 0x40
	v_lshlrev_b32_e32 v15, 4, v0
	v_add_u32_e32 v12, v15, v2
	v_and_b32_e32 v6, 7, v2
	v_lshrrev_b32_e32 v8, 3, v12
	v_mov_b32_e32 v9, v1
	v_lshl_add_u64 v[10:11], v[8:9], 0, s[26:27]
	v_and_b32_e32 v9, 31, v12
	v_lshlrev_b32_e32 v14, 1, v6
	v_lshrrev_b32_e32 v4, 5, v12
	v_or_b32_e32 v12, s24, v9
	v_mov_b32_e32 v13, s25
	v_lshl_or_b32 v8, v8, 4, v14
	v_cmp_gt_i64_e64 s[6:7], s[20:21], v[12:13]
	v_lshlrev_b32_e32 v12, 1, v9
	v_cmp_gt_i64_e64 s[8:9], s[22:23], v[10:11]
	v_add_u32_e32 v17, 0x200, v8
	s_waitcnt lgkmcnt(0)
	v_mul_lo_u32 v13, s29, v10
	v_mul_lo_u32 v11, s28, v11
	v_mad_u64_u32 v[8:9], s[28:29], s28, v10, 0
	s_mul_i32 s5, s31, s4
	s_mul_hi_u32 s28, s30, s4
	s_add_i32 s29, s28, s5
	s_mul_i32 s28, s30, s4
	v_add3_u32 v9, v9, v11, v13
	s_lshl_b64 s[28:29], s[28:29], 1
	v_add_u32_e32 v19, 0x200, v15
	v_lshl_add_u64 v[8:9], v[8:9], 1, s[28:29]
	v_mov_b32_e32 v15, v1
	v_lshl_add_u64 v[8:9], v[8:9], 0, v[14:15]
	s_mul_i32 s5, s17, s4
	s_mul_hi_u32 s17, s16, s4
	v_lshl_add_u64 v[8:9], s[18:19], 0, v[8:9]
	v_mad_u64_u32 v[10:11], s[18:19], s14, v4, 0
	s_add_i32 s17, s17, s5
	s_mul_i32 s16, s16, s4
	v_mov_b32_e32 v14, v11
	s_lshl_b64 s[16:17], s[16:17], 1
	s_lshl_b64 s[2:3], s[2:3], 6
	v_mad_u64_u32 v[14:15], s[18:19], s15, v4, v[14:15]
	s_add_u32 s2, s2, s16
	v_mov_b32_e32 v11, v14
	s_addc_u32 s3, s3, s17
	v_lshl_add_u64 v[10:11], v[10:11], 1, s[2:3]
	v_mov_b32_e32 v13, v1
	v_lshl_add_u64 v[10:11], v[10:11], 0, v[12:13]
	v_mov_b32_e32 v5, v1
	v_mov_b32_e32 v7, v1
	v_lshl_or_b32 v16, v4, 6, v12
	v_lshlrev_b32_e32 v18, 1, v2
	v_lshl_add_u64 v[10:11], s[12:13], 0, v[10:11]
	s_lshl_b64 s[2:3], s[14:15], 4
	s_mov_b64 s[12:13], 0
	s_mov_b32 s5, 0x5040100
	v_mov_b64_e32 v[12:13], s[10:11]
	v_mov_b32_e32 v15, v1
	v_mov_b32_e32 v14, v1
	s_branch .LBB20_3
.LBB20_2:                               ;   in Loop: Header=BB20_3 Depth=1
	s_or_b64 exec, exec, s[14:15]
	s_waitcnt vmcnt(0)
	ds_write_b16 v17, v20
	s_waitcnt lgkmcnt(0)
	s_barrier
	ds_read_u16 v28, v18
	ds_read_u16 v29, v18 offset:32
	ds_read_u16 v30, v18 offset:64
	;; [unrolled: 1-line block ×7, first 2 shown]
	ds_read_b128 v[20:23], v19
	ds_read_b128 v[24:27], v19 offset:256
	ds_read_u16 v36, v18 offset:256
	ds_read_u16 v37, v18 offset:288
	;; [unrolled: 1-line block ×8, first 2 shown]
	s_waitcnt lgkmcnt(14)
	v_perm_b32 v28, v29, v28, s5
	s_waitcnt lgkmcnt(8)
	v_pk_fma_f16 v14, v28, v24, v14 op_sel_hi:[1,0,1]
	v_pk_fma_f16 v15, v28, v20, v15 op_sel_hi:[1,0,1]
	v_perm_b32 v28, v31, v30, s5
	v_pk_fma_f16 v15, v28, v20, v15 op_sel:[0,1,0]
	v_pk_fma_f16 v14, v28, v24, v14 op_sel:[0,1,0]
	v_perm_b32 v20, v33, v32, s5
	v_pk_fma_f16 v14, v20, v25, v14 op_sel_hi:[1,0,1]
	v_pk_fma_f16 v15, v20, v21, v15 op_sel_hi:[1,0,1]
	v_perm_b32 v20, v35, v34, s5
	v_pk_fma_f16 v15, v20, v21, v15 op_sel:[0,1,0]
	v_pk_fma_f16 v14, v20, v25, v14 op_sel:[0,1,0]
	s_waitcnt lgkmcnt(6)
	v_perm_b32 v20, v37, v36, s5
	v_pk_fma_f16 v14, v20, v26, v14 op_sel_hi:[1,0,1]
	v_pk_fma_f16 v15, v20, v22, v15 op_sel_hi:[1,0,1]
	s_waitcnt lgkmcnt(4)
	v_perm_b32 v20, v39, v38, s5
	s_add_u32 s12, s12, 8
	v_pk_fma_f16 v15, v20, v22, v15 op_sel:[0,1,0]
	v_pk_fma_f16 v14, v20, v26, v14 op_sel:[0,1,0]
	s_waitcnt lgkmcnt(2)
	v_perm_b32 v20, v41, v40, s5
	s_addc_u32 s13, s13, 0
	v_pk_fma_f16 v14, v20, v27, v14 op_sel_hi:[1,0,1]
	v_pk_fma_f16 v15, v20, v23, v15 op_sel_hi:[1,0,1]
	s_waitcnt lgkmcnt(0)
	v_perm_b32 v20, v43, v42, s5
	v_cmp_lt_i64_e32 vcc, s[12:13], v[12:13]
	v_pk_fma_f16 v15, v20, v23, v15 op_sel:[0,1,0]
	v_pk_fma_f16 v14, v20, v27, v14 op_sel:[0,1,0]
	v_lshl_add_u64 v[8:9], v[8:9], 0, 16
	v_lshl_add_u64 v[10:11], v[10:11], 0, s[2:3]
	s_barrier
	s_cbranch_vccz .LBB20_8
.LBB20_3:                               ; =>This Inner Loop Header: Depth=1
	v_lshl_add_u64 v[20:21], v[4:5], 0, s[12:13]
	v_cmp_gt_i64_e32 vcc, s[10:11], v[20:21]
	s_and_b64 s[16:17], s[6:7], vcc
	v_mov_b32_e32 v20, 0
	v_mov_b32_e32 v21, 0
	s_and_saveexec_b64 s[14:15], s[16:17]
	s_cbranch_execz .LBB20_5
; %bb.4:                                ;   in Loop: Header=BB20_3 Depth=1
	global_load_ushort v21, v[10:11], off
.LBB20_5:                               ;   in Loop: Header=BB20_3 Depth=1
	s_or_b64 exec, exec, s[14:15]
	v_lshl_add_u64 v[22:23], v[6:7], 0, s[12:13]
	v_cmp_gt_i64_e32 vcc, s[10:11], v[22:23]
	s_and_b64 s[16:17], vcc, s[8:9]
	s_waitcnt vmcnt(0)
	ds_write_b16 v16, v21
	s_and_saveexec_b64 s[14:15], s[16:17]
	s_cbranch_execz .LBB20_2
; %bb.6:                                ;   in Loop: Header=BB20_3 Depth=1
	global_load_ushort v20, v[8:9], off
	s_branch .LBB20_2
.LBB20_7:
	v_mov_b32_e32 v14, v1
	v_mov_b32_e32 v15, v1
.LBB20_8:
	s_load_dwordx4 s[16:19], s[0:1], 0x78
	s_load_dword s5, s[0:1], 0x18
	s_load_dword s28, s[0:1], 0x50
	s_load_dwordx8 s[8:15], s[0:1], 0x58
	v_lshl_add_u64 v[0:1], s[26:27], 0, v[0:1]
	s_waitcnt lgkmcnt(0)
	s_mul_i32 s0, s19, s4
	s_mul_hi_u32 s1, s18, s4
	s_add_i32 s1, s1, s0
	s_mul_i32 s0, s18, s4
	s_lshl_b64 s[0:1], s[0:1], 1
	s_add_u32 s14, s14, s0
	v_cmp_neq_f16_e64 s[2:3], s28, 0
	s_addc_u32 s15, s15, s1
	v_cmp_gt_i64_e64 s[0:1], s[22:23], v[0:1]
	s_and_b64 vcc, exec, s[2:3]
	s_cbranch_vccnz .LBB20_21
; %bb.9:
	s_and_saveexec_b64 s[18:19], s[0:1]
	s_cbranch_execz .LBB20_19
; %bb.10:
	v_mul_lo_u32 v8, v1, s16
	v_mul_lo_u32 v9, v0, s17
	v_mad_u64_u32 v[6:7], s[2:3], v0, s16, 0
	v_add3_u32 v7, v7, v9, v8
	v_lshl_add_u64 v[4:5], s[24:25], 0, v[2:3]
	v_lshl_add_u64 v[6:7], v[6:7], 1, s[14:15]
	v_cmp_gt_i64_e32 vcc, s[20:21], v[4:5]
	v_lshl_add_u64 v[8:9], v[4:5], 1, v[6:7]
	s_and_saveexec_b64 s[2:3], vcc
	s_cbranch_execz .LBB20_12
; %bb.11:
	v_mul_f16_e32 v10, s5, v15
	global_store_short v[8:9], v10, off
.LBB20_12:
	s_or_b64 exec, exec, s[2:3]
	v_lshl_add_u64 v[10:11], v[4:5], 0, 16
	v_cmp_gt_i64_e64 s[2:3], s[20:21], v[10:11]
	s_and_saveexec_b64 s[6:7], s[2:3]
	s_cbranch_execz .LBB20_14
; %bb.13:
	v_mul_f16_sdwa v10, s5, v15 dst_sel:DWORD dst_unused:UNUSED_PAD src0_sel:DWORD src1_sel:WORD_1
	global_store_short v[8:9], v10, off offset:32
.LBB20_14:
	s_or_b64 exec, exec, s[6:7]
	v_lshl_add_u64 v[8:9], v[0:1], 0, 16
	v_cmp_gt_i64_e64 s[6:7], s[22:23], v[8:9]
	s_and_b64 exec, exec, s[6:7]
	s_cbranch_execz .LBB20_19
; %bb.15:
	s_lshl_b64 s[6:7], s[16:17], 5
	v_lshl_add_u64 v[6:7], v[6:7], 0, s[6:7]
	v_lshl_add_u64 v[4:5], v[4:5], 1, v[6:7]
	s_and_saveexec_b64 s[6:7], vcc
	s_cbranch_execz .LBB20_17
; %bb.16:
	v_mul_f16_e32 v6, s5, v14
	global_store_short v[4:5], v6, off
.LBB20_17:
	s_or_b64 exec, exec, s[6:7]
	s_and_b64 exec, exec, s[2:3]
	s_cbranch_execz .LBB20_19
; %bb.18:
	v_mul_f16_sdwa v6, s5, v14 dst_sel:DWORD dst_unused:UNUSED_PAD src0_sel:DWORD src1_sel:WORD_1
	global_store_short v[4:5], v6, off offset:32
.LBB20_19:
	s_or_b64 exec, exec, s[18:19]
	s_cbranch_execz .LBB20_22
.LBB20_20:
	s_endpgm
.LBB20_21:
.LBB20_22:
	s_and_saveexec_b64 s[2:3], s[0:1]
	s_cbranch_execz .LBB20_20
; %bb.23:
	s_mul_i32 s0, s13, s4
	s_mul_hi_u32 s1, s12, s4
	s_add_i32 s1, s1, s0
	s_mul_i32 s0, s12, s4
	s_lshl_b64 s[0:1], s[0:1], 1
	v_lshl_add_u64 v[8:9], s[24:25], 0, v[2:3]
	v_mul_lo_u32 v4, v1, s10
	v_mul_lo_u32 v5, v0, s11
	v_mad_u64_u32 v[2:3], s[2:3], v0, s10, 0
	s_add_u32 s0, s8, s0
	v_add3_u32 v3, v3, v5, v4
	v_mul_lo_u32 v6, v1, s16
	v_mul_lo_u32 v7, v0, s17
	v_mad_u64_u32 v[4:5], s[2:3], v0, s16, 0
	s_addc_u32 s1, s9, s1
	v_add3_u32 v5, v5, v7, v6
	v_cmp_gt_i64_e32 vcc, s[20:21], v[8:9]
	v_lshl_add_u64 v[6:7], v[2:3], 1, s[0:1]
	v_lshl_add_u64 v[4:5], v[4:5], 1, s[14:15]
	v_lshlrev_b64 v[2:3], 1, v[8:9]
	s_and_saveexec_b64 s[0:1], vcc
	s_cbranch_execz .LBB20_25
; %bb.24:
	v_lshl_add_u64 v[10:11], v[6:7], 0, v[2:3]
	global_load_ushort v10, v[10:11], off
	s_waitcnt vmcnt(0)
	v_mul_f16_e32 v10, s28, v10
	v_fma_f16 v12, s5, v15, v10
	v_lshl_add_u64 v[10:11], v[4:5], 0, v[2:3]
	global_store_short v[10:11], v12, off
.LBB20_25:
	s_or_b64 exec, exec, s[0:1]
	v_lshl_add_u64 v[8:9], v[8:9], 0, 16
	v_cmp_gt_i64_e64 s[0:1], s[20:21], v[8:9]
	s_and_saveexec_b64 s[2:3], s[0:1]
	s_cbranch_execz .LBB20_27
; %bb.26:
	v_lshl_add_u64 v[8:9], v[6:7], 0, v[2:3]
	global_load_ushort v8, v[8:9], off offset:32
	v_lshrrev_b32_e32 v9, 16, v15
	s_waitcnt vmcnt(0)
	v_mul_f16_e32 v8, s28, v8
	v_fma_f16 v10, s5, v9, v8
	v_lshl_add_u64 v[8:9], v[4:5], 0, v[2:3]
	global_store_short v[8:9], v10, off offset:32
.LBB20_27:
	s_or_b64 exec, exec, s[2:3]
	v_lshl_add_u64 v[0:1], v[0:1], 0, 16
	v_cmp_gt_i64_e64 s[2:3], s[22:23], v[0:1]
	s_and_b64 exec, exec, s[2:3]
	s_cbranch_execz .LBB20_20
; %bb.28:
	s_lshl_b64 s[2:3], s[10:11], 5
	v_lshl_add_u64 v[0:1], v[6:7], 0, s[2:3]
	s_lshl_b64 s[2:3], s[16:17], 5
	v_lshl_add_u64 v[6:7], v[4:5], 0, s[2:3]
	v_lshl_add_u64 v[4:5], v[0:1], 0, v[2:3]
	;; [unrolled: 1-line block ×3, first 2 shown]
	s_and_saveexec_b64 s[2:3], vcc
	s_cbranch_execz .LBB20_30
; %bb.29:
	global_load_ushort v2, v[4:5], off
	s_waitcnt vmcnt(0)
	v_mul_f16_e32 v2, s28, v2
	v_fma_f16 v2, s5, v14, v2
	global_store_short v[0:1], v2, off
.LBB20_30:
	s_or_b64 exec, exec, s[2:3]
	s_and_b64 exec, exec, s[0:1]
	s_cbranch_execz .LBB20_20
; %bb.31:
	global_load_ushort v2, v[4:5], off offset:32
	v_lshrrev_b32_e32 v3, 16, v14
	s_waitcnt vmcnt(0)
	v_mul_f16_e32 v2, s28, v2
	v_fma_f16 v2, s5, v3, v2
	global_store_short v[0:1], v2, off offset:32
	s_endpgm
	.section	.rodata,"a",@progbits
	.p2align	6, 0x0
	.amdhsa_kernel _ZN12_GLOBAL__N_135rocblas_gemm_batched_general_kernelIDF16_Li16ELi16ELi32ELi32ELi8ELi32ELi8ELi8ELi32ELc78ELc78EKDF16_S1_DF16_EEvlllT_PT11_llS4_llS2_PT12_llPT13_lli
		.amdhsa_group_segment_fixed_size 1024
		.amdhsa_private_segment_fixed_size 0
		.amdhsa_kernarg_size 140
		.amdhsa_user_sgpr_count 2
		.amdhsa_user_sgpr_dispatch_ptr 0
		.amdhsa_user_sgpr_queue_ptr 0
		.amdhsa_user_sgpr_kernarg_segment_ptr 1
		.amdhsa_user_sgpr_dispatch_id 0
		.amdhsa_user_sgpr_kernarg_preload_length 0
		.amdhsa_user_sgpr_kernarg_preload_offset 0
		.amdhsa_user_sgpr_private_segment_size 0
		.amdhsa_uses_dynamic_stack 0
		.amdhsa_enable_private_segment 0
		.amdhsa_system_sgpr_workgroup_id_x 1
		.amdhsa_system_sgpr_workgroup_id_y 1
		.amdhsa_system_sgpr_workgroup_id_z 1
		.amdhsa_system_sgpr_workgroup_info 0
		.amdhsa_system_vgpr_workitem_id 1
		.amdhsa_next_free_vgpr 44
		.amdhsa_next_free_sgpr 32
		.amdhsa_accum_offset 44
		.amdhsa_reserve_vcc 1
		.amdhsa_float_round_mode_32 0
		.amdhsa_float_round_mode_16_64 0
		.amdhsa_float_denorm_mode_32 3
		.amdhsa_float_denorm_mode_16_64 3
		.amdhsa_dx10_clamp 1
		.amdhsa_ieee_mode 1
		.amdhsa_fp16_overflow 0
		.amdhsa_tg_split 0
		.amdhsa_exception_fp_ieee_invalid_op 0
		.amdhsa_exception_fp_denorm_src 0
		.amdhsa_exception_fp_ieee_div_zero 0
		.amdhsa_exception_fp_ieee_overflow 0
		.amdhsa_exception_fp_ieee_underflow 0
		.amdhsa_exception_fp_ieee_inexact 0
		.amdhsa_exception_int_div_zero 0
	.end_amdhsa_kernel
	.section	.text._ZN12_GLOBAL__N_135rocblas_gemm_batched_general_kernelIDF16_Li16ELi16ELi32ELi32ELi8ELi32ELi8ELi8ELi32ELc78ELc78EKDF16_S1_DF16_EEvlllT_PT11_llS4_llS2_PT12_llPT13_lli,"axG",@progbits,_ZN12_GLOBAL__N_135rocblas_gemm_batched_general_kernelIDF16_Li16ELi16ELi32ELi32ELi8ELi32ELi8ELi8ELi32ELc78ELc78EKDF16_S1_DF16_EEvlllT_PT11_llS4_llS2_PT12_llPT13_lli,comdat
.Lfunc_end20:
	.size	_ZN12_GLOBAL__N_135rocblas_gemm_batched_general_kernelIDF16_Li16ELi16ELi32ELi32ELi8ELi32ELi8ELi8ELi32ELc78ELc78EKDF16_S1_DF16_EEvlllT_PT11_llS4_llS2_PT12_llPT13_lli, .Lfunc_end20-_ZN12_GLOBAL__N_135rocblas_gemm_batched_general_kernelIDF16_Li16ELi16ELi32ELi32ELi8ELi32ELi8ELi8ELi32ELc78ELc78EKDF16_S1_DF16_EEvlllT_PT11_llS4_llS2_PT12_llPT13_lli
                                        ; -- End function
	.set _ZN12_GLOBAL__N_135rocblas_gemm_batched_general_kernelIDF16_Li16ELi16ELi32ELi32ELi8ELi32ELi8ELi8ELi32ELc78ELc78EKDF16_S1_DF16_EEvlllT_PT11_llS4_llS2_PT12_llPT13_lli.num_vgpr, 44
	.set _ZN12_GLOBAL__N_135rocblas_gemm_batched_general_kernelIDF16_Li16ELi16ELi32ELi32ELi8ELi32ELi8ELi8ELi32ELc78ELc78EKDF16_S1_DF16_EEvlllT_PT11_llS4_llS2_PT12_llPT13_lli.num_agpr, 0
	.set _ZN12_GLOBAL__N_135rocblas_gemm_batched_general_kernelIDF16_Li16ELi16ELi32ELi32ELi8ELi32ELi8ELi8ELi32ELc78ELc78EKDF16_S1_DF16_EEvlllT_PT11_llS4_llS2_PT12_llPT13_lli.numbered_sgpr, 32
	.set _ZN12_GLOBAL__N_135rocblas_gemm_batched_general_kernelIDF16_Li16ELi16ELi32ELi32ELi8ELi32ELi8ELi8ELi32ELc78ELc78EKDF16_S1_DF16_EEvlllT_PT11_llS4_llS2_PT12_llPT13_lli.num_named_barrier, 0
	.set _ZN12_GLOBAL__N_135rocblas_gemm_batched_general_kernelIDF16_Li16ELi16ELi32ELi32ELi8ELi32ELi8ELi8ELi32ELc78ELc78EKDF16_S1_DF16_EEvlllT_PT11_llS4_llS2_PT12_llPT13_lli.private_seg_size, 0
	.set _ZN12_GLOBAL__N_135rocblas_gemm_batched_general_kernelIDF16_Li16ELi16ELi32ELi32ELi8ELi32ELi8ELi8ELi32ELc78ELc78EKDF16_S1_DF16_EEvlllT_PT11_llS4_llS2_PT12_llPT13_lli.uses_vcc, 1
	.set _ZN12_GLOBAL__N_135rocblas_gemm_batched_general_kernelIDF16_Li16ELi16ELi32ELi32ELi8ELi32ELi8ELi8ELi32ELc78ELc78EKDF16_S1_DF16_EEvlllT_PT11_llS4_llS2_PT12_llPT13_lli.uses_flat_scratch, 0
	.set _ZN12_GLOBAL__N_135rocblas_gemm_batched_general_kernelIDF16_Li16ELi16ELi32ELi32ELi8ELi32ELi8ELi8ELi32ELc78ELc78EKDF16_S1_DF16_EEvlllT_PT11_llS4_llS2_PT12_llPT13_lli.has_dyn_sized_stack, 0
	.set _ZN12_GLOBAL__N_135rocblas_gemm_batched_general_kernelIDF16_Li16ELi16ELi32ELi32ELi8ELi32ELi8ELi8ELi32ELc78ELc78EKDF16_S1_DF16_EEvlllT_PT11_llS4_llS2_PT12_llPT13_lli.has_recursion, 0
	.set _ZN12_GLOBAL__N_135rocblas_gemm_batched_general_kernelIDF16_Li16ELi16ELi32ELi32ELi8ELi32ELi8ELi8ELi32ELc78ELc78EKDF16_S1_DF16_EEvlllT_PT11_llS4_llS2_PT12_llPT13_lli.has_indirect_call, 0
	.section	.AMDGPU.csdata,"",@progbits
; Kernel info:
; codeLenInByte = 1696
; TotalNumSgprs: 38
; NumVgprs: 44
; NumAgprs: 0
; TotalNumVgprs: 44
; ScratchSize: 0
; MemoryBound: 0
; FloatMode: 240
; IeeeMode: 1
; LDSByteSize: 1024 bytes/workgroup (compile time only)
; SGPRBlocks: 4
; VGPRBlocks: 5
; NumSGPRsForWavesPerEU: 38
; NumVGPRsForWavesPerEU: 44
; AccumOffset: 44
; Occupancy: 8
; WaveLimiterHint : 0
; COMPUTE_PGM_RSRC2:SCRATCH_EN: 0
; COMPUTE_PGM_RSRC2:USER_SGPR: 2
; COMPUTE_PGM_RSRC2:TRAP_HANDLER: 0
; COMPUTE_PGM_RSRC2:TGID_X_EN: 1
; COMPUTE_PGM_RSRC2:TGID_Y_EN: 1
; COMPUTE_PGM_RSRC2:TGID_Z_EN: 1
; COMPUTE_PGM_RSRC2:TIDIG_COMP_CNT: 1
; COMPUTE_PGM_RSRC3_GFX90A:ACCUM_OFFSET: 10
; COMPUTE_PGM_RSRC3_GFX90A:TG_SPLIT: 0
	.section	.text._ZN12_GLOBAL__N_135rocblas_gemm_batched_general_kernelIDF16_Li16ELi16ELi32ELi32ELi8ELi32ELi8ELi8ELi32ELc84ELc78EKDF16_S1_DF16_EEvlllT_PT11_llS4_llS2_PT12_llPT13_lli,"axG",@progbits,_ZN12_GLOBAL__N_135rocblas_gemm_batched_general_kernelIDF16_Li16ELi16ELi32ELi32ELi8ELi32ELi8ELi8ELi32ELc84ELc78EKDF16_S1_DF16_EEvlllT_PT11_llS4_llS2_PT12_llPT13_lli,comdat
	.globl	_ZN12_GLOBAL__N_135rocblas_gemm_batched_general_kernelIDF16_Li16ELi16ELi32ELi32ELi8ELi32ELi8ELi8ELi32ELc84ELc78EKDF16_S1_DF16_EEvlllT_PT11_llS4_llS2_PT12_llPT13_lli ; -- Begin function _ZN12_GLOBAL__N_135rocblas_gemm_batched_general_kernelIDF16_Li16ELi16ELi32ELi32ELi8ELi32ELi8ELi8ELi32ELc84ELc78EKDF16_S1_DF16_EEvlllT_PT11_llS4_llS2_PT12_llPT13_lli
	.p2align	8
	.type	_ZN12_GLOBAL__N_135rocblas_gemm_batched_general_kernelIDF16_Li16ELi16ELi32ELi32ELi8ELi32ELi8ELi8ELi32ELc84ELc78EKDF16_S1_DF16_EEvlllT_PT11_llS4_llS2_PT12_llPT13_lli,@function
_ZN12_GLOBAL__N_135rocblas_gemm_batched_general_kernelIDF16_Li16ELi16ELi32ELi32ELi8ELi32ELi8ELi8ELi32ELc84ELc78EKDF16_S1_DF16_EEvlllT_PT11_llS4_llS2_PT12_llPT13_lli: ; @_ZN12_GLOBAL__N_135rocblas_gemm_batched_general_kernelIDF16_Li16ELi16ELi32ELi32ELi8ELi32ELi8ELi8ELi32ELc84ELc78EKDF16_S1_DF16_EEvlllT_PT11_llS4_llS2_PT12_llPT13_lli
; %bb.0:
	s_load_dwordx4 s[16:19], s[0:1], 0x0
	s_load_dwordx2 s[20:21], s[0:1], 0x10
	s_mov_b32 s6, s3
	s_ashr_i32 s3, s2, 31
	v_mov_b32_e32 v1, 0
	s_lshl_b64 s[24:25], s[2:3], 5
	s_ashr_i32 s7, s6, 31
	s_waitcnt lgkmcnt(0)
	v_cmp_lt_i64_e64 s[2:3], s[20:21], 1
	v_and_b32_e32 v2, 0x3ff, v0
	v_bfe_u32 v0, v0, 10, 10
	v_mov_b32_e32 v3, v1
	s_lshl_b64 s[26:27], s[6:7], 5
	s_and_b64 vcc, exec, s[2:3]
	s_cbranch_vccnz .LBB21_7
; %bb.1:
	v_lshlrev_b32_e32 v19, 4, v0
	s_load_dwordx8 s[8:15], s[0:1], 0x20
	s_load_dwordx4 s[28:31], s[0:1], 0x40
	v_add_u32_e32 v12, v19, v2
	v_lshrrev_b32_e32 v4, 5, v12
	v_lshrrev_b32_e32 v8, 3, v12
	v_and_b32_e32 v12, 31, v12
	v_and_b32_e32 v6, 7, v2
	v_or_b32_e32 v14, s24, v12
	v_mov_b32_e32 v15, s25
	v_mov_b32_e32 v9, v1
	v_cmp_gt_i64_e64 s[2:3], s[16:17], v[14:15]
	v_lshlrev_b32_e32 v14, 1, v6
	v_lshl_add_u64 v[10:11], v[8:9], 0, s[26:27]
	v_lshlrev_b32_e32 v9, 1, v12
	v_lshl_or_b32 v8, v8, 4, v14
	v_mov_b32_e32 v13, v1
	v_lshl_or_b32 v16, v4, 6, v9
	v_cmp_gt_i64_e64 s[6:7], s[18:19], v[10:11]
	v_add_u32_e32 v17, 0x200, v8
	s_waitcnt lgkmcnt(0)
	v_mul_lo_u32 v15, s29, v10
	v_mul_lo_u32 v11, s28, v11
	v_mad_u64_u32 v[8:9], s[22:23], s28, v10, 0
	v_add3_u32 v9, v9, v11, v15
	v_lshl_add_u64 v[10:11], s[24:25], 0, v[12:13]
	s_mul_i32 s5, s31, s4
	s_mul_hi_u32 s22, s30, s4
	v_mul_lo_u32 v12, s11, v10
	v_mul_lo_u32 v13, s10, v11
	v_mad_u64_u32 v[10:11], s[10:11], s10, v10, 0
	s_add_i32 s23, s22, s5
	s_mul_i32 s5, s13, s4
	s_mul_hi_u32 s10, s12, s4
	s_mul_i32 s22, s30, s4
	s_add_i32 s11, s10, s5
	s_mul_i32 s10, s12, s4
	s_lshl_b64 s[22:23], s[22:23], 1
	v_add3_u32 v11, v11, v13, v12
	s_lshl_b64 s[10:11], s[10:11], 1
	v_lshl_add_u64 v[8:9], v[8:9], 1, s[22:23]
	v_mov_b32_e32 v15, v1
	v_lshl_add_u64 v[10:11], v[10:11], 1, s[10:11]
	v_lshlrev_b32_e32 v12, 1, v4
	v_mov_b32_e32 v13, v1
	v_lshl_add_u64 v[8:9], v[8:9], 0, v[14:15]
	v_lshl_add_u64 v[10:11], v[10:11], 0, v[12:13]
	v_mov_b32_e32 v5, v1
	v_mov_b32_e32 v7, v1
	v_lshlrev_b32_e32 v18, 1, v2
	v_add_u32_e32 v19, 0x200, v19
	v_lshl_add_u64 v[8:9], s[14:15], 0, v[8:9]
	v_lshl_add_u64 v[10:11], s[8:9], 0, v[10:11]
	s_mov_b64 s[8:9], 0
	s_mov_b32 s5, 0x5040100
	v_mov_b64_e32 v[12:13], s[20:21]
	v_mov_b32_e32 v14, v1
	s_branch .LBB21_3
.LBB21_2:                               ;   in Loop: Header=BB21_3 Depth=1
	s_or_b64 exec, exec, s[10:11]
	s_waitcnt vmcnt(0)
	ds_write_b16 v17, v20
	s_waitcnt lgkmcnt(0)
	s_barrier
	ds_read_u16 v28, v18
	ds_read_u16 v29, v18 offset:32
	ds_read_u16 v30, v18 offset:64
	;; [unrolled: 1-line block ×7, first 2 shown]
	ds_read_b128 v[20:23], v19
	ds_read_b128 v[24:27], v19 offset:256
	ds_read_u16 v36, v18 offset:256
	ds_read_u16 v37, v18 offset:288
	;; [unrolled: 1-line block ×8, first 2 shown]
	s_waitcnt lgkmcnt(14)
	v_perm_b32 v28, v29, v28, s5
	s_waitcnt lgkmcnt(8)
	v_pk_fma_f16 v14, v28, v24, v14 op_sel_hi:[1,0,1]
	v_pk_fma_f16 v15, v28, v20, v15 op_sel_hi:[1,0,1]
	v_perm_b32 v28, v31, v30, s5
	v_pk_fma_f16 v15, v28, v20, v15 op_sel:[0,1,0]
	v_pk_fma_f16 v14, v28, v24, v14 op_sel:[0,1,0]
	v_perm_b32 v20, v33, v32, s5
	v_pk_fma_f16 v14, v20, v25, v14 op_sel_hi:[1,0,1]
	v_pk_fma_f16 v15, v20, v21, v15 op_sel_hi:[1,0,1]
	v_perm_b32 v20, v35, v34, s5
	v_pk_fma_f16 v15, v20, v21, v15 op_sel:[0,1,0]
	v_pk_fma_f16 v14, v20, v25, v14 op_sel:[0,1,0]
	s_waitcnt lgkmcnt(6)
	v_perm_b32 v20, v37, v36, s5
	v_pk_fma_f16 v14, v20, v26, v14 op_sel_hi:[1,0,1]
	v_pk_fma_f16 v15, v20, v22, v15 op_sel_hi:[1,0,1]
	s_waitcnt lgkmcnt(4)
	v_perm_b32 v20, v39, v38, s5
	s_add_u32 s8, s8, 8
	v_pk_fma_f16 v15, v20, v22, v15 op_sel:[0,1,0]
	v_pk_fma_f16 v14, v20, v26, v14 op_sel:[0,1,0]
	s_waitcnt lgkmcnt(2)
	v_perm_b32 v20, v41, v40, s5
	s_addc_u32 s9, s9, 0
	v_pk_fma_f16 v14, v20, v27, v14 op_sel_hi:[1,0,1]
	v_pk_fma_f16 v15, v20, v23, v15 op_sel_hi:[1,0,1]
	s_waitcnt lgkmcnt(0)
	v_perm_b32 v20, v43, v42, s5
	v_cmp_lt_i64_e32 vcc, s[8:9], v[12:13]
	v_pk_fma_f16 v15, v20, v23, v15 op_sel:[0,1,0]
	v_pk_fma_f16 v14, v20, v27, v14 op_sel:[0,1,0]
	v_lshl_add_u64 v[8:9], v[8:9], 0, 16
	v_lshl_add_u64 v[10:11], v[10:11], 0, 16
	s_barrier
	s_cbranch_vccz .LBB21_8
.LBB21_3:                               ; =>This Inner Loop Header: Depth=1
	v_lshl_add_u64 v[20:21], v[4:5], 0, s[8:9]
	v_cmp_gt_i64_e32 vcc, s[20:21], v[20:21]
	s_and_b64 s[12:13], s[2:3], vcc
	v_mov_b32_e32 v20, 0
	v_mov_b32_e32 v21, 0
	s_and_saveexec_b64 s[10:11], s[12:13]
	s_cbranch_execz .LBB21_5
; %bb.4:                                ;   in Loop: Header=BB21_3 Depth=1
	global_load_ushort v21, v[10:11], off
.LBB21_5:                               ;   in Loop: Header=BB21_3 Depth=1
	s_or_b64 exec, exec, s[10:11]
	v_lshl_add_u64 v[22:23], v[6:7], 0, s[8:9]
	v_cmp_gt_i64_e32 vcc, s[20:21], v[22:23]
	s_and_b64 s[12:13], vcc, s[6:7]
	s_waitcnt vmcnt(0)
	ds_write_b16 v16, v21
	s_and_saveexec_b64 s[10:11], s[12:13]
	s_cbranch_execz .LBB21_2
; %bb.6:                                ;   in Loop: Header=BB21_3 Depth=1
	global_load_ushort v20, v[8:9], off
	s_branch .LBB21_2
.LBB21_7:
	v_mov_b32_e32 v14, v1
	v_mov_b32_e32 v15, v1
.LBB21_8:
	s_load_dwordx4 s[20:23], s[0:1], 0x78
	s_load_dword s5, s[0:1], 0x18
	s_load_dword s28, s[0:1], 0x50
	s_load_dwordx8 s[8:15], s[0:1], 0x58
	v_lshl_add_u64 v[0:1], s[26:27], 0, v[0:1]
	s_waitcnt lgkmcnt(0)
	s_mul_i32 s0, s23, s4
	s_mul_hi_u32 s1, s22, s4
	s_add_i32 s1, s1, s0
	s_mul_i32 s0, s22, s4
	s_lshl_b64 s[0:1], s[0:1], 1
	s_add_u32 s14, s14, s0
	v_cmp_neq_f16_e64 s[2:3], s28, 0
	s_addc_u32 s15, s15, s1
	v_cmp_gt_i64_e64 s[0:1], s[18:19], v[0:1]
	s_and_b64 vcc, exec, s[2:3]
	s_cbranch_vccnz .LBB21_21
; %bb.9:
	s_and_saveexec_b64 s[22:23], s[0:1]
	s_cbranch_execz .LBB21_19
; %bb.10:
	v_mul_lo_u32 v8, v1, s20
	v_mul_lo_u32 v9, v0, s21
	v_mad_u64_u32 v[6:7], s[2:3], v0, s20, 0
	v_add3_u32 v7, v7, v9, v8
	v_lshl_add_u64 v[4:5], s[24:25], 0, v[2:3]
	v_lshl_add_u64 v[6:7], v[6:7], 1, s[14:15]
	v_cmp_gt_i64_e32 vcc, s[16:17], v[4:5]
	v_lshl_add_u64 v[8:9], v[4:5], 1, v[6:7]
	s_and_saveexec_b64 s[2:3], vcc
	s_cbranch_execz .LBB21_12
; %bb.11:
	v_mul_f16_e32 v10, s5, v15
	global_store_short v[8:9], v10, off
.LBB21_12:
	s_or_b64 exec, exec, s[2:3]
	v_lshl_add_u64 v[10:11], v[4:5], 0, 16
	v_cmp_gt_i64_e64 s[2:3], s[16:17], v[10:11]
	s_and_saveexec_b64 s[6:7], s[2:3]
	s_cbranch_execz .LBB21_14
; %bb.13:
	v_mul_f16_sdwa v10, s5, v15 dst_sel:DWORD dst_unused:UNUSED_PAD src0_sel:DWORD src1_sel:WORD_1
	global_store_short v[8:9], v10, off offset:32
.LBB21_14:
	s_or_b64 exec, exec, s[6:7]
	v_lshl_add_u64 v[8:9], v[0:1], 0, 16
	v_cmp_gt_i64_e64 s[6:7], s[18:19], v[8:9]
	s_and_b64 exec, exec, s[6:7]
	s_cbranch_execz .LBB21_19
; %bb.15:
	s_lshl_b64 s[6:7], s[20:21], 5
	v_lshl_add_u64 v[6:7], v[6:7], 0, s[6:7]
	v_lshl_add_u64 v[4:5], v[4:5], 1, v[6:7]
	s_and_saveexec_b64 s[6:7], vcc
	s_cbranch_execz .LBB21_17
; %bb.16:
	v_mul_f16_e32 v6, s5, v14
	global_store_short v[4:5], v6, off
.LBB21_17:
	s_or_b64 exec, exec, s[6:7]
	s_and_b64 exec, exec, s[2:3]
	s_cbranch_execz .LBB21_19
; %bb.18:
	v_mul_f16_sdwa v6, s5, v14 dst_sel:DWORD dst_unused:UNUSED_PAD src0_sel:DWORD src1_sel:WORD_1
	global_store_short v[4:5], v6, off offset:32
.LBB21_19:
	s_or_b64 exec, exec, s[22:23]
	s_cbranch_execz .LBB21_22
.LBB21_20:
	s_endpgm
.LBB21_21:
.LBB21_22:
	s_and_saveexec_b64 s[2:3], s[0:1]
	s_cbranch_execz .LBB21_20
; %bb.23:
	s_mul_i32 s0, s13, s4
	s_mul_hi_u32 s1, s12, s4
	s_add_i32 s1, s1, s0
	s_mul_i32 s0, s12, s4
	s_lshl_b64 s[0:1], s[0:1], 1
	v_lshl_add_u64 v[8:9], s[24:25], 0, v[2:3]
	v_mul_lo_u32 v4, v1, s10
	v_mul_lo_u32 v5, v0, s11
	v_mad_u64_u32 v[2:3], s[2:3], v0, s10, 0
	s_add_u32 s0, s8, s0
	v_add3_u32 v3, v3, v5, v4
	v_mul_lo_u32 v6, v1, s20
	v_mul_lo_u32 v7, v0, s21
	v_mad_u64_u32 v[4:5], s[2:3], v0, s20, 0
	s_addc_u32 s1, s9, s1
	v_add3_u32 v5, v5, v7, v6
	v_cmp_gt_i64_e32 vcc, s[16:17], v[8:9]
	v_lshl_add_u64 v[6:7], v[2:3], 1, s[0:1]
	v_lshl_add_u64 v[4:5], v[4:5], 1, s[14:15]
	v_lshlrev_b64 v[2:3], 1, v[8:9]
	s_and_saveexec_b64 s[0:1], vcc
	s_cbranch_execz .LBB21_25
; %bb.24:
	v_lshl_add_u64 v[10:11], v[6:7], 0, v[2:3]
	global_load_ushort v10, v[10:11], off
	s_waitcnt vmcnt(0)
	v_mul_f16_e32 v10, s28, v10
	v_fma_f16 v12, s5, v15, v10
	v_lshl_add_u64 v[10:11], v[4:5], 0, v[2:3]
	global_store_short v[10:11], v12, off
.LBB21_25:
	s_or_b64 exec, exec, s[0:1]
	v_lshl_add_u64 v[8:9], v[8:9], 0, 16
	v_cmp_gt_i64_e64 s[0:1], s[16:17], v[8:9]
	s_and_saveexec_b64 s[2:3], s[0:1]
	s_cbranch_execz .LBB21_27
; %bb.26:
	v_lshl_add_u64 v[8:9], v[6:7], 0, v[2:3]
	global_load_ushort v8, v[8:9], off offset:32
	v_lshrrev_b32_e32 v9, 16, v15
	s_waitcnt vmcnt(0)
	v_mul_f16_e32 v8, s28, v8
	v_fma_f16 v10, s5, v9, v8
	v_lshl_add_u64 v[8:9], v[4:5], 0, v[2:3]
	global_store_short v[8:9], v10, off offset:32
.LBB21_27:
	s_or_b64 exec, exec, s[2:3]
	v_lshl_add_u64 v[0:1], v[0:1], 0, 16
	v_cmp_gt_i64_e64 s[2:3], s[18:19], v[0:1]
	s_and_b64 exec, exec, s[2:3]
	s_cbranch_execz .LBB21_20
; %bb.28:
	s_lshl_b64 s[2:3], s[10:11], 5
	v_lshl_add_u64 v[0:1], v[6:7], 0, s[2:3]
	s_lshl_b64 s[2:3], s[20:21], 5
	v_lshl_add_u64 v[6:7], v[4:5], 0, s[2:3]
	v_lshl_add_u64 v[4:5], v[0:1], 0, v[2:3]
	;; [unrolled: 1-line block ×3, first 2 shown]
	s_and_saveexec_b64 s[2:3], vcc
	s_cbranch_execz .LBB21_30
; %bb.29:
	global_load_ushort v2, v[4:5], off
	s_waitcnt vmcnt(0)
	v_mul_f16_e32 v2, s28, v2
	v_fma_f16 v2, s5, v14, v2
	global_store_short v[0:1], v2, off
.LBB21_30:
	s_or_b64 exec, exec, s[2:3]
	s_and_b64 exec, exec, s[0:1]
	s_cbranch_execz .LBB21_20
; %bb.31:
	global_load_ushort v2, v[4:5], off offset:32
	v_lshrrev_b32_e32 v3, 16, v14
	s_waitcnt vmcnt(0)
	v_mul_f16_e32 v2, s28, v2
	v_fma_f16 v2, s5, v3, v2
	global_store_short v[0:1], v2, off offset:32
	s_endpgm
	.section	.rodata,"a",@progbits
	.p2align	6, 0x0
	.amdhsa_kernel _ZN12_GLOBAL__N_135rocblas_gemm_batched_general_kernelIDF16_Li16ELi16ELi32ELi32ELi8ELi32ELi8ELi8ELi32ELc84ELc78EKDF16_S1_DF16_EEvlllT_PT11_llS4_llS2_PT12_llPT13_lli
		.amdhsa_group_segment_fixed_size 1024
		.amdhsa_private_segment_fixed_size 0
		.amdhsa_kernarg_size 140
		.amdhsa_user_sgpr_count 2
		.amdhsa_user_sgpr_dispatch_ptr 0
		.amdhsa_user_sgpr_queue_ptr 0
		.amdhsa_user_sgpr_kernarg_segment_ptr 1
		.amdhsa_user_sgpr_dispatch_id 0
		.amdhsa_user_sgpr_kernarg_preload_length 0
		.amdhsa_user_sgpr_kernarg_preload_offset 0
		.amdhsa_user_sgpr_private_segment_size 0
		.amdhsa_uses_dynamic_stack 0
		.amdhsa_enable_private_segment 0
		.amdhsa_system_sgpr_workgroup_id_x 1
		.amdhsa_system_sgpr_workgroup_id_y 1
		.amdhsa_system_sgpr_workgroup_id_z 1
		.amdhsa_system_sgpr_workgroup_info 0
		.amdhsa_system_vgpr_workitem_id 1
		.amdhsa_next_free_vgpr 44
		.amdhsa_next_free_sgpr 32
		.amdhsa_accum_offset 44
		.amdhsa_reserve_vcc 1
		.amdhsa_float_round_mode_32 0
		.amdhsa_float_round_mode_16_64 0
		.amdhsa_float_denorm_mode_32 3
		.amdhsa_float_denorm_mode_16_64 3
		.amdhsa_dx10_clamp 1
		.amdhsa_ieee_mode 1
		.amdhsa_fp16_overflow 0
		.amdhsa_tg_split 0
		.amdhsa_exception_fp_ieee_invalid_op 0
		.amdhsa_exception_fp_denorm_src 0
		.amdhsa_exception_fp_ieee_div_zero 0
		.amdhsa_exception_fp_ieee_overflow 0
		.amdhsa_exception_fp_ieee_underflow 0
		.amdhsa_exception_fp_ieee_inexact 0
		.amdhsa_exception_int_div_zero 0
	.end_amdhsa_kernel
	.section	.text._ZN12_GLOBAL__N_135rocblas_gemm_batched_general_kernelIDF16_Li16ELi16ELi32ELi32ELi8ELi32ELi8ELi8ELi32ELc84ELc78EKDF16_S1_DF16_EEvlllT_PT11_llS4_llS2_PT12_llPT13_lli,"axG",@progbits,_ZN12_GLOBAL__N_135rocblas_gemm_batched_general_kernelIDF16_Li16ELi16ELi32ELi32ELi8ELi32ELi8ELi8ELi32ELc84ELc78EKDF16_S1_DF16_EEvlllT_PT11_llS4_llS2_PT12_llPT13_lli,comdat
.Lfunc_end21:
	.size	_ZN12_GLOBAL__N_135rocblas_gemm_batched_general_kernelIDF16_Li16ELi16ELi32ELi32ELi8ELi32ELi8ELi8ELi32ELc84ELc78EKDF16_S1_DF16_EEvlllT_PT11_llS4_llS2_PT12_llPT13_lli, .Lfunc_end21-_ZN12_GLOBAL__N_135rocblas_gemm_batched_general_kernelIDF16_Li16ELi16ELi32ELi32ELi8ELi32ELi8ELi8ELi32ELc84ELc78EKDF16_S1_DF16_EEvlllT_PT11_llS4_llS2_PT12_llPT13_lli
                                        ; -- End function
	.set _ZN12_GLOBAL__N_135rocblas_gemm_batched_general_kernelIDF16_Li16ELi16ELi32ELi32ELi8ELi32ELi8ELi8ELi32ELc84ELc78EKDF16_S1_DF16_EEvlllT_PT11_llS4_llS2_PT12_llPT13_lli.num_vgpr, 44
	.set _ZN12_GLOBAL__N_135rocblas_gemm_batched_general_kernelIDF16_Li16ELi16ELi32ELi32ELi8ELi32ELi8ELi8ELi32ELc84ELc78EKDF16_S1_DF16_EEvlllT_PT11_llS4_llS2_PT12_llPT13_lli.num_agpr, 0
	.set _ZN12_GLOBAL__N_135rocblas_gemm_batched_general_kernelIDF16_Li16ELi16ELi32ELi32ELi8ELi32ELi8ELi8ELi32ELc84ELc78EKDF16_S1_DF16_EEvlllT_PT11_llS4_llS2_PT12_llPT13_lli.numbered_sgpr, 32
	.set _ZN12_GLOBAL__N_135rocblas_gemm_batched_general_kernelIDF16_Li16ELi16ELi32ELi32ELi8ELi32ELi8ELi8ELi32ELc84ELc78EKDF16_S1_DF16_EEvlllT_PT11_llS4_llS2_PT12_llPT13_lli.num_named_barrier, 0
	.set _ZN12_GLOBAL__N_135rocblas_gemm_batched_general_kernelIDF16_Li16ELi16ELi32ELi32ELi8ELi32ELi8ELi8ELi32ELc84ELc78EKDF16_S1_DF16_EEvlllT_PT11_llS4_llS2_PT12_llPT13_lli.private_seg_size, 0
	.set _ZN12_GLOBAL__N_135rocblas_gemm_batched_general_kernelIDF16_Li16ELi16ELi32ELi32ELi8ELi32ELi8ELi8ELi32ELc84ELc78EKDF16_S1_DF16_EEvlllT_PT11_llS4_llS2_PT12_llPT13_lli.uses_vcc, 1
	.set _ZN12_GLOBAL__N_135rocblas_gemm_batched_general_kernelIDF16_Li16ELi16ELi32ELi32ELi8ELi32ELi8ELi8ELi32ELc84ELc78EKDF16_S1_DF16_EEvlllT_PT11_llS4_llS2_PT12_llPT13_lli.uses_flat_scratch, 0
	.set _ZN12_GLOBAL__N_135rocblas_gemm_batched_general_kernelIDF16_Li16ELi16ELi32ELi32ELi8ELi32ELi8ELi8ELi32ELc84ELc78EKDF16_S1_DF16_EEvlllT_PT11_llS4_llS2_PT12_llPT13_lli.has_dyn_sized_stack, 0
	.set _ZN12_GLOBAL__N_135rocblas_gemm_batched_general_kernelIDF16_Li16ELi16ELi32ELi32ELi8ELi32ELi8ELi8ELi32ELc84ELc78EKDF16_S1_DF16_EEvlllT_PT11_llS4_llS2_PT12_llPT13_lli.has_recursion, 0
	.set _ZN12_GLOBAL__N_135rocblas_gemm_batched_general_kernelIDF16_Li16ELi16ELi32ELi32ELi8ELi32ELi8ELi8ELi32ELc84ELc78EKDF16_S1_DF16_EEvlllT_PT11_llS4_llS2_PT12_llPT13_lli.has_indirect_call, 0
	.section	.AMDGPU.csdata,"",@progbits
; Kernel info:
; codeLenInByte = 1700
; TotalNumSgprs: 38
; NumVgprs: 44
; NumAgprs: 0
; TotalNumVgprs: 44
; ScratchSize: 0
; MemoryBound: 0
; FloatMode: 240
; IeeeMode: 1
; LDSByteSize: 1024 bytes/workgroup (compile time only)
; SGPRBlocks: 4
; VGPRBlocks: 5
; NumSGPRsForWavesPerEU: 38
; NumVGPRsForWavesPerEU: 44
; AccumOffset: 44
; Occupancy: 8
; WaveLimiterHint : 0
; COMPUTE_PGM_RSRC2:SCRATCH_EN: 0
; COMPUTE_PGM_RSRC2:USER_SGPR: 2
; COMPUTE_PGM_RSRC2:TRAP_HANDLER: 0
; COMPUTE_PGM_RSRC2:TGID_X_EN: 1
; COMPUTE_PGM_RSRC2:TGID_Y_EN: 1
; COMPUTE_PGM_RSRC2:TGID_Z_EN: 1
; COMPUTE_PGM_RSRC2:TIDIG_COMP_CNT: 1
; COMPUTE_PGM_RSRC3_GFX90A:ACCUM_OFFSET: 10
; COMPUTE_PGM_RSRC3_GFX90A:TG_SPLIT: 0
	.section	.text._ZN12_GLOBAL__N_135rocblas_gemm_batched_general_kernelIDF16_Li16ELi16ELi32ELi32ELi8ELi32ELi8ELi8ELi32ELc78ELc84EKDF16_S1_DF16_EEvlllT_PT11_llS4_llS2_PT12_llPT13_lli,"axG",@progbits,_ZN12_GLOBAL__N_135rocblas_gemm_batched_general_kernelIDF16_Li16ELi16ELi32ELi32ELi8ELi32ELi8ELi8ELi32ELc78ELc84EKDF16_S1_DF16_EEvlllT_PT11_llS4_llS2_PT12_llPT13_lli,comdat
	.globl	_ZN12_GLOBAL__N_135rocblas_gemm_batched_general_kernelIDF16_Li16ELi16ELi32ELi32ELi8ELi32ELi8ELi8ELi32ELc78ELc84EKDF16_S1_DF16_EEvlllT_PT11_llS4_llS2_PT12_llPT13_lli ; -- Begin function _ZN12_GLOBAL__N_135rocblas_gemm_batched_general_kernelIDF16_Li16ELi16ELi32ELi32ELi8ELi32ELi8ELi8ELi32ELc78ELc84EKDF16_S1_DF16_EEvlllT_PT11_llS4_llS2_PT12_llPT13_lli
	.p2align	8
	.type	_ZN12_GLOBAL__N_135rocblas_gemm_batched_general_kernelIDF16_Li16ELi16ELi32ELi32ELi8ELi32ELi8ELi8ELi32ELc78ELc84EKDF16_S1_DF16_EEvlllT_PT11_llS4_llS2_PT12_llPT13_lli,@function
_ZN12_GLOBAL__N_135rocblas_gemm_batched_general_kernelIDF16_Li16ELi16ELi32ELi32ELi8ELi32ELi8ELi8ELi32ELc78ELc84EKDF16_S1_DF16_EEvlllT_PT11_llS4_llS2_PT12_llPT13_lli: ; @_ZN12_GLOBAL__N_135rocblas_gemm_batched_general_kernelIDF16_Li16ELi16ELi32ELi32ELi8ELi32ELi8ELi8ELi32ELc78ELc84EKDF16_S1_DF16_EEvlllT_PT11_llS4_llS2_PT12_llPT13_lli
; %bb.0:
	s_load_dwordx4 s[20:23], s[0:1], 0x0
	s_load_dwordx2 s[10:11], s[0:1], 0x10
	s_mov_b32 s34, s3
	v_mov_b32_e32 v1, 0
	s_ashr_i32 s3, s2, 31
	s_ashr_i32 s35, s34, 31
	s_waitcnt lgkmcnt(0)
	v_cmp_lt_i64_e64 s[6:7], s[10:11], 1
	v_and_b32_e32 v2, 0x3ff, v0
	v_bfe_u32 v0, v0, 10, 10
	v_mov_b32_e32 v3, v1
	s_lshl_b64 s[28:29], s[2:3], 5
	s_lshl_b64 s[30:31], s[34:35], 5
	s_and_b64 vcc, exec, s[6:7]
	s_cbranch_vccnz .LBB22_7
; %bb.1:
	s_load_dwordx8 s[12:19], s[0:1], 0x20
	s_load_dwordx4 s[24:27], s[0:1], 0x40
	v_lshlrev_b32_e32 v14, 4, v0
	v_add_u32_e32 v12, v14, v2
	v_lshrrev_b32_e32 v8, 3, v12
	v_mov_b32_e32 v9, v1
	v_and_b32_e32 v6, 7, v2
	v_lshl_add_u64 v[10:11], v[8:9], 0, s[30:31]
	s_waitcnt lgkmcnt(0)
	s_mul_i32 s5, s27, s4
	s_mul_hi_u32 s27, s26, s4
	v_and_b32_e32 v9, 31, v12
	v_cmp_gt_i64_e64 s[8:9], s[22:23], v[10:11]
	s_add_i32 s27, s27, s5
	s_mul_i32 s26, s26, s4
	v_mad_u64_u32 v[10:11], s[36:37], s24, v6, 0
	v_lshrrev_b32_e32 v4, 5, v12
	v_or_b32_e32 v12, s28, v9
	v_mov_b32_e32 v13, s29
	v_add_u32_e32 v19, 0x200, v14
	s_lshl_b64 s[26:27], s[26:27], 1
	v_mov_b32_e32 v14, v11
	s_lshl_b64 s[34:35], s[34:35], 6
	v_cmp_gt_i64_e64 s[6:7], s[20:21], v[12:13]
	v_lshlrev_b32_e32 v12, 1, v9
	v_lshlrev_b32_e32 v9, 1, v6
	v_mad_u64_u32 v[14:15], s[36:37], s25, v6, v[14:15]
	s_add_u32 s26, s34, s26
	v_lshl_or_b32 v9, v8, 4, v9
	v_mov_b32_e32 v11, v14
	s_addc_u32 s27, s35, s27
	v_add_u32_e32 v17, 0x200, v9
	v_lshl_add_u64 v[10:11], v[10:11], 1, s[26:27]
	v_lshlrev_b32_e32 v8, 1, v8
	v_mov_b32_e32 v9, v1
	v_lshl_add_u64 v[8:9], v[10:11], 0, v[8:9]
	s_mul_i32 s5, s17, s4
	s_mul_hi_u32 s17, s16, s4
	v_lshl_add_u64 v[8:9], s[18:19], 0, v[8:9]
	s_lshl_b64 s[18:19], s[24:25], 4
	v_mad_u64_u32 v[10:11], s[24:25], s14, v4, 0
	s_add_i32 s17, s17, s5
	s_mul_i32 s16, s16, s4
	v_mov_b32_e32 v14, v11
	s_lshl_b64 s[16:17], s[16:17], 1
	s_lshl_b64 s[2:3], s[2:3], 6
	v_mad_u64_u32 v[14:15], s[24:25], s15, v4, v[14:15]
	s_add_u32 s2, s2, s16
	v_mov_b32_e32 v11, v14
	s_addc_u32 s3, s3, s17
	v_lshl_add_u64 v[10:11], v[10:11], 1, s[2:3]
	v_mov_b32_e32 v13, v1
	v_lshl_add_u64 v[10:11], v[10:11], 0, v[12:13]
	v_mov_b32_e32 v5, v1
	v_mov_b32_e32 v7, v1
	v_lshl_or_b32 v16, v4, 6, v12
	v_lshlrev_b32_e32 v18, 1, v2
	v_lshl_add_u64 v[10:11], s[12:13], 0, v[10:11]
	s_lshl_b64 s[2:3], s[14:15], 4
	s_mov_b64 s[12:13], 0
	s_mov_b32 s5, 0x5040100
	v_mov_b64_e32 v[12:13], s[10:11]
	v_mov_b32_e32 v15, v1
	v_mov_b32_e32 v14, v1
	s_branch .LBB22_3
.LBB22_2:                               ;   in Loop: Header=BB22_3 Depth=1
	s_or_b64 exec, exec, s[14:15]
	s_waitcnt vmcnt(0)
	ds_write_b16 v17, v20
	s_waitcnt lgkmcnt(0)
	s_barrier
	ds_read_u16 v28, v18
	ds_read_u16 v29, v18 offset:32
	ds_read_u16 v30, v18 offset:64
	;; [unrolled: 1-line block ×7, first 2 shown]
	ds_read_b128 v[20:23], v19
	ds_read_b128 v[24:27], v19 offset:256
	ds_read_u16 v36, v18 offset:256
	ds_read_u16 v37, v18 offset:288
	;; [unrolled: 1-line block ×8, first 2 shown]
	s_waitcnt lgkmcnt(14)
	v_perm_b32 v28, v29, v28, s5
	s_waitcnt lgkmcnt(8)
	v_pk_fma_f16 v14, v28, v24, v14 op_sel_hi:[1,0,1]
	v_pk_fma_f16 v15, v28, v20, v15 op_sel_hi:[1,0,1]
	v_perm_b32 v28, v31, v30, s5
	v_pk_fma_f16 v15, v28, v20, v15 op_sel:[0,1,0]
	v_pk_fma_f16 v14, v28, v24, v14 op_sel:[0,1,0]
	v_perm_b32 v20, v33, v32, s5
	v_pk_fma_f16 v14, v20, v25, v14 op_sel_hi:[1,0,1]
	v_pk_fma_f16 v15, v20, v21, v15 op_sel_hi:[1,0,1]
	v_perm_b32 v20, v35, v34, s5
	v_pk_fma_f16 v15, v20, v21, v15 op_sel:[0,1,0]
	v_pk_fma_f16 v14, v20, v25, v14 op_sel:[0,1,0]
	s_waitcnt lgkmcnt(6)
	v_perm_b32 v20, v37, v36, s5
	v_pk_fma_f16 v14, v20, v26, v14 op_sel_hi:[1,0,1]
	v_pk_fma_f16 v15, v20, v22, v15 op_sel_hi:[1,0,1]
	s_waitcnt lgkmcnt(4)
	v_perm_b32 v20, v39, v38, s5
	s_add_u32 s12, s12, 8
	v_pk_fma_f16 v15, v20, v22, v15 op_sel:[0,1,0]
	v_pk_fma_f16 v14, v20, v26, v14 op_sel:[0,1,0]
	s_waitcnt lgkmcnt(2)
	v_perm_b32 v20, v41, v40, s5
	s_addc_u32 s13, s13, 0
	v_pk_fma_f16 v14, v20, v27, v14 op_sel_hi:[1,0,1]
	v_pk_fma_f16 v15, v20, v23, v15 op_sel_hi:[1,0,1]
	s_waitcnt lgkmcnt(0)
	v_perm_b32 v20, v43, v42, s5
	v_cmp_lt_i64_e32 vcc, s[12:13], v[12:13]
	v_pk_fma_f16 v15, v20, v23, v15 op_sel:[0,1,0]
	v_pk_fma_f16 v14, v20, v27, v14 op_sel:[0,1,0]
	v_lshl_add_u64 v[8:9], v[8:9], 0, s[18:19]
	v_lshl_add_u64 v[10:11], v[10:11], 0, s[2:3]
	s_barrier
	s_cbranch_vccz .LBB22_8
.LBB22_3:                               ; =>This Inner Loop Header: Depth=1
	v_lshl_add_u64 v[20:21], v[4:5], 0, s[12:13]
	v_cmp_gt_i64_e32 vcc, s[10:11], v[20:21]
	s_and_b64 s[16:17], s[6:7], vcc
	v_mov_b32_e32 v20, 0
	v_mov_b32_e32 v21, 0
	s_and_saveexec_b64 s[14:15], s[16:17]
	s_cbranch_execz .LBB22_5
; %bb.4:                                ;   in Loop: Header=BB22_3 Depth=1
	global_load_ushort v21, v[10:11], off
.LBB22_5:                               ;   in Loop: Header=BB22_3 Depth=1
	s_or_b64 exec, exec, s[14:15]
	v_lshl_add_u64 v[22:23], v[6:7], 0, s[12:13]
	v_cmp_gt_i64_e32 vcc, s[10:11], v[22:23]
	s_and_b64 s[16:17], vcc, s[8:9]
	s_waitcnt vmcnt(0)
	ds_write_b16 v16, v21
	s_and_saveexec_b64 s[14:15], s[16:17]
	s_cbranch_execz .LBB22_2
; %bb.6:                                ;   in Loop: Header=BB22_3 Depth=1
	global_load_ushort v20, v[8:9], off
	s_branch .LBB22_2
.LBB22_7:
	v_mov_b32_e32 v14, v1
	v_mov_b32_e32 v15, v1
.LBB22_8:
	s_load_dwordx4 s[16:19], s[0:1], 0x78
	s_load_dword s5, s[0:1], 0x18
	s_load_dword s24, s[0:1], 0x50
	s_load_dwordx8 s[8:15], s[0:1], 0x58
	v_lshl_add_u64 v[0:1], s[30:31], 0, v[0:1]
	s_waitcnt lgkmcnt(0)
	s_mul_i32 s0, s19, s4
	s_mul_hi_u32 s1, s18, s4
	s_add_i32 s1, s1, s0
	s_mul_i32 s0, s18, s4
	s_lshl_b64 s[0:1], s[0:1], 1
	s_add_u32 s14, s14, s0
	v_cmp_neq_f16_e64 s[2:3], s24, 0
	s_addc_u32 s15, s15, s1
	v_cmp_gt_i64_e64 s[0:1], s[22:23], v[0:1]
	s_and_b64 vcc, exec, s[2:3]
	s_cbranch_vccnz .LBB22_21
; %bb.9:
	s_and_saveexec_b64 s[18:19], s[0:1]
	s_cbranch_execz .LBB22_19
; %bb.10:
	v_mul_lo_u32 v8, v1, s16
	v_mul_lo_u32 v9, v0, s17
	v_mad_u64_u32 v[6:7], s[2:3], v0, s16, 0
	v_add3_u32 v7, v7, v9, v8
	v_lshl_add_u64 v[4:5], s[28:29], 0, v[2:3]
	v_lshl_add_u64 v[6:7], v[6:7], 1, s[14:15]
	v_cmp_gt_i64_e32 vcc, s[20:21], v[4:5]
	v_lshl_add_u64 v[8:9], v[4:5], 1, v[6:7]
	s_and_saveexec_b64 s[2:3], vcc
	s_cbranch_execz .LBB22_12
; %bb.11:
	v_mul_f16_e32 v10, s5, v15
	global_store_short v[8:9], v10, off
.LBB22_12:
	s_or_b64 exec, exec, s[2:3]
	v_lshl_add_u64 v[10:11], v[4:5], 0, 16
	v_cmp_gt_i64_e64 s[2:3], s[20:21], v[10:11]
	s_and_saveexec_b64 s[6:7], s[2:3]
	s_cbranch_execz .LBB22_14
; %bb.13:
	v_mul_f16_sdwa v10, s5, v15 dst_sel:DWORD dst_unused:UNUSED_PAD src0_sel:DWORD src1_sel:WORD_1
	global_store_short v[8:9], v10, off offset:32
.LBB22_14:
	s_or_b64 exec, exec, s[6:7]
	v_lshl_add_u64 v[8:9], v[0:1], 0, 16
	v_cmp_gt_i64_e64 s[6:7], s[22:23], v[8:9]
	s_and_b64 exec, exec, s[6:7]
	s_cbranch_execz .LBB22_19
; %bb.15:
	s_lshl_b64 s[6:7], s[16:17], 5
	v_lshl_add_u64 v[6:7], v[6:7], 0, s[6:7]
	v_lshl_add_u64 v[4:5], v[4:5], 1, v[6:7]
	s_and_saveexec_b64 s[6:7], vcc
	s_cbranch_execz .LBB22_17
; %bb.16:
	v_mul_f16_e32 v6, s5, v14
	global_store_short v[4:5], v6, off
.LBB22_17:
	s_or_b64 exec, exec, s[6:7]
	s_and_b64 exec, exec, s[2:3]
	s_cbranch_execz .LBB22_19
; %bb.18:
	v_mul_f16_sdwa v6, s5, v14 dst_sel:DWORD dst_unused:UNUSED_PAD src0_sel:DWORD src1_sel:WORD_1
	global_store_short v[4:5], v6, off offset:32
.LBB22_19:
	s_or_b64 exec, exec, s[18:19]
	s_cbranch_execz .LBB22_22
.LBB22_20:
	s_endpgm
.LBB22_21:
.LBB22_22:
	s_and_saveexec_b64 s[2:3], s[0:1]
	s_cbranch_execz .LBB22_20
; %bb.23:
	s_mul_i32 s0, s13, s4
	s_mul_hi_u32 s1, s12, s4
	s_add_i32 s1, s1, s0
	s_mul_i32 s0, s12, s4
	s_lshl_b64 s[0:1], s[0:1], 1
	v_lshl_add_u64 v[8:9], s[28:29], 0, v[2:3]
	v_mul_lo_u32 v4, v1, s10
	v_mul_lo_u32 v5, v0, s11
	v_mad_u64_u32 v[2:3], s[2:3], v0, s10, 0
	s_add_u32 s0, s8, s0
	v_add3_u32 v3, v3, v5, v4
	v_mul_lo_u32 v6, v1, s16
	v_mul_lo_u32 v7, v0, s17
	v_mad_u64_u32 v[4:5], s[2:3], v0, s16, 0
	s_addc_u32 s1, s9, s1
	v_add3_u32 v5, v5, v7, v6
	v_cmp_gt_i64_e32 vcc, s[20:21], v[8:9]
	v_lshl_add_u64 v[6:7], v[2:3], 1, s[0:1]
	v_lshl_add_u64 v[4:5], v[4:5], 1, s[14:15]
	v_lshlrev_b64 v[2:3], 1, v[8:9]
	s_and_saveexec_b64 s[0:1], vcc
	s_cbranch_execz .LBB22_25
; %bb.24:
	v_lshl_add_u64 v[10:11], v[6:7], 0, v[2:3]
	global_load_ushort v10, v[10:11], off
	s_waitcnt vmcnt(0)
	v_mul_f16_e32 v10, s24, v10
	v_fma_f16 v12, s5, v15, v10
	v_lshl_add_u64 v[10:11], v[4:5], 0, v[2:3]
	global_store_short v[10:11], v12, off
.LBB22_25:
	s_or_b64 exec, exec, s[0:1]
	v_lshl_add_u64 v[8:9], v[8:9], 0, 16
	v_cmp_gt_i64_e64 s[0:1], s[20:21], v[8:9]
	s_and_saveexec_b64 s[2:3], s[0:1]
	s_cbranch_execz .LBB22_27
; %bb.26:
	v_lshl_add_u64 v[8:9], v[6:7], 0, v[2:3]
	global_load_ushort v8, v[8:9], off offset:32
	v_lshrrev_b32_e32 v9, 16, v15
	s_waitcnt vmcnt(0)
	v_mul_f16_e32 v8, s24, v8
	v_fma_f16 v10, s5, v9, v8
	v_lshl_add_u64 v[8:9], v[4:5], 0, v[2:3]
	global_store_short v[8:9], v10, off offset:32
.LBB22_27:
	s_or_b64 exec, exec, s[2:3]
	v_lshl_add_u64 v[0:1], v[0:1], 0, 16
	v_cmp_gt_i64_e64 s[2:3], s[22:23], v[0:1]
	s_and_b64 exec, exec, s[2:3]
	s_cbranch_execz .LBB22_20
; %bb.28:
	s_lshl_b64 s[2:3], s[10:11], 5
	v_lshl_add_u64 v[0:1], v[6:7], 0, s[2:3]
	s_lshl_b64 s[2:3], s[16:17], 5
	v_lshl_add_u64 v[6:7], v[4:5], 0, s[2:3]
	v_lshl_add_u64 v[4:5], v[0:1], 0, v[2:3]
	;; [unrolled: 1-line block ×3, first 2 shown]
	s_and_saveexec_b64 s[2:3], vcc
	s_cbranch_execz .LBB22_30
; %bb.29:
	global_load_ushort v2, v[4:5], off
	s_waitcnt vmcnt(0)
	v_mul_f16_e32 v2, s24, v2
	v_fma_f16 v2, s5, v14, v2
	global_store_short v[0:1], v2, off
.LBB22_30:
	s_or_b64 exec, exec, s[2:3]
	s_and_b64 exec, exec, s[0:1]
	s_cbranch_execz .LBB22_20
; %bb.31:
	global_load_ushort v2, v[4:5], off offset:32
	v_lshrrev_b32_e32 v3, 16, v14
	s_waitcnt vmcnt(0)
	v_mul_f16_e32 v2, s24, v2
	v_fma_f16 v2, s5, v3, v2
	global_store_short v[0:1], v2, off offset:32
	s_endpgm
	.section	.rodata,"a",@progbits
	.p2align	6, 0x0
	.amdhsa_kernel _ZN12_GLOBAL__N_135rocblas_gemm_batched_general_kernelIDF16_Li16ELi16ELi32ELi32ELi8ELi32ELi8ELi8ELi32ELc78ELc84EKDF16_S1_DF16_EEvlllT_PT11_llS4_llS2_PT12_llPT13_lli
		.amdhsa_group_segment_fixed_size 1024
		.amdhsa_private_segment_fixed_size 0
		.amdhsa_kernarg_size 140
		.amdhsa_user_sgpr_count 2
		.amdhsa_user_sgpr_dispatch_ptr 0
		.amdhsa_user_sgpr_queue_ptr 0
		.amdhsa_user_sgpr_kernarg_segment_ptr 1
		.amdhsa_user_sgpr_dispatch_id 0
		.amdhsa_user_sgpr_kernarg_preload_length 0
		.amdhsa_user_sgpr_kernarg_preload_offset 0
		.amdhsa_user_sgpr_private_segment_size 0
		.amdhsa_uses_dynamic_stack 0
		.amdhsa_enable_private_segment 0
		.amdhsa_system_sgpr_workgroup_id_x 1
		.amdhsa_system_sgpr_workgroup_id_y 1
		.amdhsa_system_sgpr_workgroup_id_z 1
		.amdhsa_system_sgpr_workgroup_info 0
		.amdhsa_system_vgpr_workitem_id 1
		.amdhsa_next_free_vgpr 44
		.amdhsa_next_free_sgpr 38
		.amdhsa_accum_offset 44
		.amdhsa_reserve_vcc 1
		.amdhsa_float_round_mode_32 0
		.amdhsa_float_round_mode_16_64 0
		.amdhsa_float_denorm_mode_32 3
		.amdhsa_float_denorm_mode_16_64 3
		.amdhsa_dx10_clamp 1
		.amdhsa_ieee_mode 1
		.amdhsa_fp16_overflow 0
		.amdhsa_tg_split 0
		.amdhsa_exception_fp_ieee_invalid_op 0
		.amdhsa_exception_fp_denorm_src 0
		.amdhsa_exception_fp_ieee_div_zero 0
		.amdhsa_exception_fp_ieee_overflow 0
		.amdhsa_exception_fp_ieee_underflow 0
		.amdhsa_exception_fp_ieee_inexact 0
		.amdhsa_exception_int_div_zero 0
	.end_amdhsa_kernel
	.section	.text._ZN12_GLOBAL__N_135rocblas_gemm_batched_general_kernelIDF16_Li16ELi16ELi32ELi32ELi8ELi32ELi8ELi8ELi32ELc78ELc84EKDF16_S1_DF16_EEvlllT_PT11_llS4_llS2_PT12_llPT13_lli,"axG",@progbits,_ZN12_GLOBAL__N_135rocblas_gemm_batched_general_kernelIDF16_Li16ELi16ELi32ELi32ELi8ELi32ELi8ELi8ELi32ELc78ELc84EKDF16_S1_DF16_EEvlllT_PT11_llS4_llS2_PT12_llPT13_lli,comdat
.Lfunc_end22:
	.size	_ZN12_GLOBAL__N_135rocblas_gemm_batched_general_kernelIDF16_Li16ELi16ELi32ELi32ELi8ELi32ELi8ELi8ELi32ELc78ELc84EKDF16_S1_DF16_EEvlllT_PT11_llS4_llS2_PT12_llPT13_lli, .Lfunc_end22-_ZN12_GLOBAL__N_135rocblas_gemm_batched_general_kernelIDF16_Li16ELi16ELi32ELi32ELi8ELi32ELi8ELi8ELi32ELc78ELc84EKDF16_S1_DF16_EEvlllT_PT11_llS4_llS2_PT12_llPT13_lli
                                        ; -- End function
	.set _ZN12_GLOBAL__N_135rocblas_gemm_batched_general_kernelIDF16_Li16ELi16ELi32ELi32ELi8ELi32ELi8ELi8ELi32ELc78ELc84EKDF16_S1_DF16_EEvlllT_PT11_llS4_llS2_PT12_llPT13_lli.num_vgpr, 44
	.set _ZN12_GLOBAL__N_135rocblas_gemm_batched_general_kernelIDF16_Li16ELi16ELi32ELi32ELi8ELi32ELi8ELi8ELi32ELc78ELc84EKDF16_S1_DF16_EEvlllT_PT11_llS4_llS2_PT12_llPT13_lli.num_agpr, 0
	.set _ZN12_GLOBAL__N_135rocblas_gemm_batched_general_kernelIDF16_Li16ELi16ELi32ELi32ELi8ELi32ELi8ELi8ELi32ELc78ELc84EKDF16_S1_DF16_EEvlllT_PT11_llS4_llS2_PT12_llPT13_lli.numbered_sgpr, 38
	.set _ZN12_GLOBAL__N_135rocblas_gemm_batched_general_kernelIDF16_Li16ELi16ELi32ELi32ELi8ELi32ELi8ELi8ELi32ELc78ELc84EKDF16_S1_DF16_EEvlllT_PT11_llS4_llS2_PT12_llPT13_lli.num_named_barrier, 0
	.set _ZN12_GLOBAL__N_135rocblas_gemm_batched_general_kernelIDF16_Li16ELi16ELi32ELi32ELi8ELi32ELi8ELi8ELi32ELc78ELc84EKDF16_S1_DF16_EEvlllT_PT11_llS4_llS2_PT12_llPT13_lli.private_seg_size, 0
	.set _ZN12_GLOBAL__N_135rocblas_gemm_batched_general_kernelIDF16_Li16ELi16ELi32ELi32ELi8ELi32ELi8ELi8ELi32ELc78ELc84EKDF16_S1_DF16_EEvlllT_PT11_llS4_llS2_PT12_llPT13_lli.uses_vcc, 1
	.set _ZN12_GLOBAL__N_135rocblas_gemm_batched_general_kernelIDF16_Li16ELi16ELi32ELi32ELi8ELi32ELi8ELi8ELi32ELc78ELc84EKDF16_S1_DF16_EEvlllT_PT11_llS4_llS2_PT12_llPT13_lli.uses_flat_scratch, 0
	.set _ZN12_GLOBAL__N_135rocblas_gemm_batched_general_kernelIDF16_Li16ELi16ELi32ELi32ELi8ELi32ELi8ELi8ELi32ELc78ELc84EKDF16_S1_DF16_EEvlllT_PT11_llS4_llS2_PT12_llPT13_lli.has_dyn_sized_stack, 0
	.set _ZN12_GLOBAL__N_135rocblas_gemm_batched_general_kernelIDF16_Li16ELi16ELi32ELi32ELi8ELi32ELi8ELi8ELi32ELc78ELc84EKDF16_S1_DF16_EEvlllT_PT11_llS4_llS2_PT12_llPT13_lli.has_recursion, 0
	.set _ZN12_GLOBAL__N_135rocblas_gemm_batched_general_kernelIDF16_Li16ELi16ELi32ELi32ELi8ELi32ELi8ELi8ELi32ELc78ELc84EKDF16_S1_DF16_EEvlllT_PT11_llS4_llS2_PT12_llPT13_lli.has_indirect_call, 0
	.section	.AMDGPU.csdata,"",@progbits
; Kernel info:
; codeLenInByte = 1708
; TotalNumSgprs: 44
; NumVgprs: 44
; NumAgprs: 0
; TotalNumVgprs: 44
; ScratchSize: 0
; MemoryBound: 0
; FloatMode: 240
; IeeeMode: 1
; LDSByteSize: 1024 bytes/workgroup (compile time only)
; SGPRBlocks: 5
; VGPRBlocks: 5
; NumSGPRsForWavesPerEU: 44
; NumVGPRsForWavesPerEU: 44
; AccumOffset: 44
; Occupancy: 8
; WaveLimiterHint : 0
; COMPUTE_PGM_RSRC2:SCRATCH_EN: 0
; COMPUTE_PGM_RSRC2:USER_SGPR: 2
; COMPUTE_PGM_RSRC2:TRAP_HANDLER: 0
; COMPUTE_PGM_RSRC2:TGID_X_EN: 1
; COMPUTE_PGM_RSRC2:TGID_Y_EN: 1
; COMPUTE_PGM_RSRC2:TGID_Z_EN: 1
; COMPUTE_PGM_RSRC2:TIDIG_COMP_CNT: 1
; COMPUTE_PGM_RSRC3_GFX90A:ACCUM_OFFSET: 10
; COMPUTE_PGM_RSRC3_GFX90A:TG_SPLIT: 0
	.section	.text._ZN12_GLOBAL__N_135rocblas_gemm_batched_general_kernelIDF16_Li16ELi16ELi32ELi32ELi8ELi32ELi8ELi8ELi32ELc84ELc84EKDF16_S1_DF16_EEvlllT_PT11_llS4_llS2_PT12_llPT13_lli,"axG",@progbits,_ZN12_GLOBAL__N_135rocblas_gemm_batched_general_kernelIDF16_Li16ELi16ELi32ELi32ELi8ELi32ELi8ELi8ELi32ELc84ELc84EKDF16_S1_DF16_EEvlllT_PT11_llS4_llS2_PT12_llPT13_lli,comdat
	.globl	_ZN12_GLOBAL__N_135rocblas_gemm_batched_general_kernelIDF16_Li16ELi16ELi32ELi32ELi8ELi32ELi8ELi8ELi32ELc84ELc84EKDF16_S1_DF16_EEvlllT_PT11_llS4_llS2_PT12_llPT13_lli ; -- Begin function _ZN12_GLOBAL__N_135rocblas_gemm_batched_general_kernelIDF16_Li16ELi16ELi32ELi32ELi8ELi32ELi8ELi8ELi32ELc84ELc84EKDF16_S1_DF16_EEvlllT_PT11_llS4_llS2_PT12_llPT13_lli
	.p2align	8
	.type	_ZN12_GLOBAL__N_135rocblas_gemm_batched_general_kernelIDF16_Li16ELi16ELi32ELi32ELi8ELi32ELi8ELi8ELi32ELc84ELc84EKDF16_S1_DF16_EEvlllT_PT11_llS4_llS2_PT12_llPT13_lli,@function
_ZN12_GLOBAL__N_135rocblas_gemm_batched_general_kernelIDF16_Li16ELi16ELi32ELi32ELi8ELi32ELi8ELi8ELi32ELc84ELc84EKDF16_S1_DF16_EEvlllT_PT11_llS4_llS2_PT12_llPT13_lli: ; @_ZN12_GLOBAL__N_135rocblas_gemm_batched_general_kernelIDF16_Li16ELi16ELi32ELi32ELi8ELi32ELi8ELi8ELi32ELc84ELc84EKDF16_S1_DF16_EEvlllT_PT11_llS4_llS2_PT12_llPT13_lli
; %bb.0:
	s_load_dwordx4 s[16:19], s[0:1], 0x0
	s_load_dwordx2 s[28:29], s[0:1], 0x10
	s_mov_b32 s30, s3
	s_ashr_i32 s3, s2, 31
	v_mov_b32_e32 v1, 0
	s_lshl_b64 s[24:25], s[2:3], 5
	s_ashr_i32 s31, s30, 31
	s_waitcnt lgkmcnt(0)
	v_cmp_lt_i64_e64 s[2:3], s[28:29], 1
	v_and_b32_e32 v2, 0x3ff, v0
	v_bfe_u32 v0, v0, 10, 10
	v_mov_b32_e32 v3, v1
	s_lshl_b64 s[26:27], s[30:31], 5
	s_and_b64 vcc, exec, s[2:3]
	s_cbranch_vccnz .LBB23_7
; %bb.1:
	s_load_dwordx8 s[8:15], s[0:1], 0x20
	s_load_dwordx4 s[20:23], s[0:1], 0x40
	v_lshlrev_b32_e32 v19, 4, v0
	v_add_u32_e32 v12, v19, v2
	v_lshrrev_b32_e32 v8, 3, v12
	v_mov_b32_e32 v9, v1
	v_lshrrev_b32_e32 v4, 5, v12
	v_and_b32_e32 v6, 7, v2
	v_lshl_add_u64 v[10:11], v[8:9], 0, s[26:27]
	v_and_b32_e32 v12, 31, v12
	s_waitcnt lgkmcnt(0)
	s_mul_i32 s5, s23, s4
	s_mul_hi_u32 s23, s22, s4
	v_or_b32_e32 v14, s24, v12
	v_mov_b32_e32 v15, s25
	v_cmp_gt_i64_e64 s[6:7], s[18:19], v[10:11]
	s_add_i32 s23, s23, s5
	s_mul_i32 s22, s22, s4
	v_mad_u64_u32 v[10:11], s[34:35], s20, v6, 0
	v_cmp_gt_i64_e64 s[2:3], s[16:17], v[14:15]
	v_lshlrev_b32_e32 v9, 1, v12
	s_lshl_b64 s[22:23], s[22:23], 1
	v_mov_b32_e32 v14, v11
	s_lshl_b64 s[30:31], s[30:31], 6
	v_lshl_or_b32 v16, v4, 6, v9
	v_lshlrev_b32_e32 v9, 1, v6
	v_mad_u64_u32 v[14:15], s[34:35], s21, v6, v[14:15]
	s_add_u32 s22, s30, s22
	v_lshl_or_b32 v9, v8, 4, v9
	v_mov_b32_e32 v11, v14
	s_addc_u32 s23, s31, s23
	v_mov_b32_e32 v13, v1
	v_add_u32_e32 v17, 0x200, v9
	v_lshl_add_u64 v[10:11], v[10:11], 1, s[22:23]
	v_lshlrev_b32_e32 v8, 1, v8
	v_mov_b32_e32 v9, v1
	v_lshl_add_u64 v[8:9], v[10:11], 0, v[8:9]
	v_lshl_add_u64 v[10:11], s[24:25], 0, v[12:13]
	v_mul_lo_u32 v12, s11, v10
	v_mul_lo_u32 v13, s10, v11
	v_mad_u64_u32 v[10:11], s[10:11], s10, v10, 0
	s_mul_i32 s5, s13, s4
	s_mul_hi_u32 s10, s12, s4
	s_add_i32 s11, s10, s5
	s_mul_i32 s10, s12, s4
	v_add3_u32 v11, v11, v13, v12
	s_lshl_b64 s[10:11], s[10:11], 1
	v_lshl_add_u64 v[10:11], v[10:11], 1, s[10:11]
	v_lshlrev_b32_e32 v12, 1, v4
	v_mov_b32_e32 v13, v1
	v_lshl_add_u64 v[10:11], v[10:11], 0, v[12:13]
	v_mov_b32_e32 v5, v1
	v_mov_b32_e32 v7, v1
	v_lshlrev_b32_e32 v18, 1, v2
	v_add_u32_e32 v19, 0x200, v19
	v_lshl_add_u64 v[8:9], s[14:15], 0, v[8:9]
	s_lshl_b64 s[14:15], s[20:21], 4
	v_lshl_add_u64 v[10:11], s[8:9], 0, v[10:11]
	s_mov_b64 s[8:9], 0
	s_mov_b32 s5, 0x5040100
	v_mov_b64_e32 v[12:13], s[28:29]
	v_mov_b32_e32 v15, v1
	v_mov_b32_e32 v14, v1
	s_branch .LBB23_3
.LBB23_2:                               ;   in Loop: Header=BB23_3 Depth=1
	s_or_b64 exec, exec, s[10:11]
	s_waitcnt vmcnt(0)
	ds_write_b16 v17, v20
	s_waitcnt lgkmcnt(0)
	s_barrier
	ds_read_u16 v28, v18
	ds_read_u16 v29, v18 offset:32
	ds_read_u16 v30, v18 offset:64
	;; [unrolled: 1-line block ×7, first 2 shown]
	ds_read_b128 v[20:23], v19
	ds_read_b128 v[24:27], v19 offset:256
	ds_read_u16 v36, v18 offset:256
	ds_read_u16 v37, v18 offset:288
	;; [unrolled: 1-line block ×8, first 2 shown]
	s_waitcnt lgkmcnt(14)
	v_perm_b32 v28, v29, v28, s5
	s_waitcnt lgkmcnt(8)
	v_pk_fma_f16 v14, v28, v24, v14 op_sel_hi:[1,0,1]
	v_pk_fma_f16 v15, v28, v20, v15 op_sel_hi:[1,0,1]
	v_perm_b32 v28, v31, v30, s5
	v_pk_fma_f16 v15, v28, v20, v15 op_sel:[0,1,0]
	v_pk_fma_f16 v14, v28, v24, v14 op_sel:[0,1,0]
	v_perm_b32 v20, v33, v32, s5
	v_pk_fma_f16 v14, v20, v25, v14 op_sel_hi:[1,0,1]
	v_pk_fma_f16 v15, v20, v21, v15 op_sel_hi:[1,0,1]
	v_perm_b32 v20, v35, v34, s5
	v_pk_fma_f16 v15, v20, v21, v15 op_sel:[0,1,0]
	v_pk_fma_f16 v14, v20, v25, v14 op_sel:[0,1,0]
	s_waitcnt lgkmcnt(6)
	v_perm_b32 v20, v37, v36, s5
	v_pk_fma_f16 v14, v20, v26, v14 op_sel_hi:[1,0,1]
	v_pk_fma_f16 v15, v20, v22, v15 op_sel_hi:[1,0,1]
	s_waitcnt lgkmcnt(4)
	v_perm_b32 v20, v39, v38, s5
	s_add_u32 s8, s8, 8
	v_pk_fma_f16 v15, v20, v22, v15 op_sel:[0,1,0]
	v_pk_fma_f16 v14, v20, v26, v14 op_sel:[0,1,0]
	s_waitcnt lgkmcnt(2)
	v_perm_b32 v20, v41, v40, s5
	s_addc_u32 s9, s9, 0
	v_pk_fma_f16 v14, v20, v27, v14 op_sel_hi:[1,0,1]
	v_pk_fma_f16 v15, v20, v23, v15 op_sel_hi:[1,0,1]
	s_waitcnt lgkmcnt(0)
	v_perm_b32 v20, v43, v42, s5
	v_cmp_lt_i64_e32 vcc, s[8:9], v[12:13]
	v_pk_fma_f16 v15, v20, v23, v15 op_sel:[0,1,0]
	v_pk_fma_f16 v14, v20, v27, v14 op_sel:[0,1,0]
	v_lshl_add_u64 v[8:9], v[8:9], 0, s[14:15]
	v_lshl_add_u64 v[10:11], v[10:11], 0, 16
	s_barrier
	s_cbranch_vccz .LBB23_8
.LBB23_3:                               ; =>This Inner Loop Header: Depth=1
	v_lshl_add_u64 v[20:21], v[4:5], 0, s[8:9]
	v_cmp_gt_i64_e32 vcc, s[28:29], v[20:21]
	s_and_b64 s[12:13], s[2:3], vcc
	v_mov_b32_e32 v20, 0
	v_mov_b32_e32 v21, 0
	s_and_saveexec_b64 s[10:11], s[12:13]
	s_cbranch_execz .LBB23_5
; %bb.4:                                ;   in Loop: Header=BB23_3 Depth=1
	global_load_ushort v21, v[10:11], off
.LBB23_5:                               ;   in Loop: Header=BB23_3 Depth=1
	s_or_b64 exec, exec, s[10:11]
	v_lshl_add_u64 v[22:23], v[6:7], 0, s[8:9]
	v_cmp_gt_i64_e32 vcc, s[28:29], v[22:23]
	s_and_b64 s[12:13], vcc, s[6:7]
	s_waitcnt vmcnt(0)
	ds_write_b16 v16, v21
	s_and_saveexec_b64 s[10:11], s[12:13]
	s_cbranch_execz .LBB23_2
; %bb.6:                                ;   in Loop: Header=BB23_3 Depth=1
	global_load_ushort v20, v[8:9], off
	s_branch .LBB23_2
.LBB23_7:
	v_mov_b32_e32 v14, v1
	v_mov_b32_e32 v15, v1
.LBB23_8:
	s_load_dwordx4 s[20:23], s[0:1], 0x78
	s_load_dword s5, s[0:1], 0x18
	s_load_dword s28, s[0:1], 0x50
	s_load_dwordx8 s[8:15], s[0:1], 0x58
	v_lshl_add_u64 v[0:1], s[26:27], 0, v[0:1]
	s_waitcnt lgkmcnt(0)
	s_mul_i32 s0, s23, s4
	s_mul_hi_u32 s1, s22, s4
	s_add_i32 s1, s1, s0
	s_mul_i32 s0, s22, s4
	s_lshl_b64 s[0:1], s[0:1], 1
	s_add_u32 s14, s14, s0
	v_cmp_neq_f16_e64 s[2:3], s28, 0
	s_addc_u32 s15, s15, s1
	v_cmp_gt_i64_e64 s[0:1], s[18:19], v[0:1]
	s_and_b64 vcc, exec, s[2:3]
	s_cbranch_vccnz .LBB23_21
; %bb.9:
	s_and_saveexec_b64 s[22:23], s[0:1]
	s_cbranch_execz .LBB23_19
; %bb.10:
	v_mul_lo_u32 v8, v1, s20
	v_mul_lo_u32 v9, v0, s21
	v_mad_u64_u32 v[6:7], s[2:3], v0, s20, 0
	v_add3_u32 v7, v7, v9, v8
	v_lshl_add_u64 v[4:5], s[24:25], 0, v[2:3]
	v_lshl_add_u64 v[6:7], v[6:7], 1, s[14:15]
	v_cmp_gt_i64_e32 vcc, s[16:17], v[4:5]
	v_lshl_add_u64 v[8:9], v[4:5], 1, v[6:7]
	s_and_saveexec_b64 s[2:3], vcc
	s_cbranch_execz .LBB23_12
; %bb.11:
	v_mul_f16_e32 v10, s5, v15
	global_store_short v[8:9], v10, off
.LBB23_12:
	s_or_b64 exec, exec, s[2:3]
	v_lshl_add_u64 v[10:11], v[4:5], 0, 16
	v_cmp_gt_i64_e64 s[2:3], s[16:17], v[10:11]
	s_and_saveexec_b64 s[6:7], s[2:3]
	s_cbranch_execz .LBB23_14
; %bb.13:
	v_mul_f16_sdwa v10, s5, v15 dst_sel:DWORD dst_unused:UNUSED_PAD src0_sel:DWORD src1_sel:WORD_1
	global_store_short v[8:9], v10, off offset:32
.LBB23_14:
	s_or_b64 exec, exec, s[6:7]
	v_lshl_add_u64 v[8:9], v[0:1], 0, 16
	v_cmp_gt_i64_e64 s[6:7], s[18:19], v[8:9]
	s_and_b64 exec, exec, s[6:7]
	s_cbranch_execz .LBB23_19
; %bb.15:
	s_lshl_b64 s[6:7], s[20:21], 5
	v_lshl_add_u64 v[6:7], v[6:7], 0, s[6:7]
	v_lshl_add_u64 v[4:5], v[4:5], 1, v[6:7]
	s_and_saveexec_b64 s[6:7], vcc
	s_cbranch_execz .LBB23_17
; %bb.16:
	v_mul_f16_e32 v6, s5, v14
	global_store_short v[4:5], v6, off
.LBB23_17:
	s_or_b64 exec, exec, s[6:7]
	s_and_b64 exec, exec, s[2:3]
	s_cbranch_execz .LBB23_19
; %bb.18:
	v_mul_f16_sdwa v6, s5, v14 dst_sel:DWORD dst_unused:UNUSED_PAD src0_sel:DWORD src1_sel:WORD_1
	global_store_short v[4:5], v6, off offset:32
.LBB23_19:
	s_or_b64 exec, exec, s[22:23]
	s_cbranch_execz .LBB23_22
.LBB23_20:
	s_endpgm
.LBB23_21:
.LBB23_22:
	s_and_saveexec_b64 s[2:3], s[0:1]
	s_cbranch_execz .LBB23_20
; %bb.23:
	s_mul_i32 s0, s13, s4
	s_mul_hi_u32 s1, s12, s4
	s_add_i32 s1, s1, s0
	s_mul_i32 s0, s12, s4
	s_lshl_b64 s[0:1], s[0:1], 1
	v_lshl_add_u64 v[8:9], s[24:25], 0, v[2:3]
	v_mul_lo_u32 v4, v1, s10
	v_mul_lo_u32 v5, v0, s11
	v_mad_u64_u32 v[2:3], s[2:3], v0, s10, 0
	s_add_u32 s0, s8, s0
	v_add3_u32 v3, v3, v5, v4
	v_mul_lo_u32 v6, v1, s20
	v_mul_lo_u32 v7, v0, s21
	v_mad_u64_u32 v[4:5], s[2:3], v0, s20, 0
	s_addc_u32 s1, s9, s1
	v_add3_u32 v5, v5, v7, v6
	v_cmp_gt_i64_e32 vcc, s[16:17], v[8:9]
	v_lshl_add_u64 v[6:7], v[2:3], 1, s[0:1]
	v_lshl_add_u64 v[4:5], v[4:5], 1, s[14:15]
	v_lshlrev_b64 v[2:3], 1, v[8:9]
	s_and_saveexec_b64 s[0:1], vcc
	s_cbranch_execz .LBB23_25
; %bb.24:
	v_lshl_add_u64 v[10:11], v[6:7], 0, v[2:3]
	global_load_ushort v10, v[10:11], off
	s_waitcnt vmcnt(0)
	v_mul_f16_e32 v10, s28, v10
	v_fma_f16 v12, s5, v15, v10
	v_lshl_add_u64 v[10:11], v[4:5], 0, v[2:3]
	global_store_short v[10:11], v12, off
.LBB23_25:
	s_or_b64 exec, exec, s[0:1]
	v_lshl_add_u64 v[8:9], v[8:9], 0, 16
	v_cmp_gt_i64_e64 s[0:1], s[16:17], v[8:9]
	s_and_saveexec_b64 s[2:3], s[0:1]
	s_cbranch_execz .LBB23_27
; %bb.26:
	v_lshl_add_u64 v[8:9], v[6:7], 0, v[2:3]
	global_load_ushort v8, v[8:9], off offset:32
	v_lshrrev_b32_e32 v9, 16, v15
	s_waitcnt vmcnt(0)
	v_mul_f16_e32 v8, s28, v8
	v_fma_f16 v10, s5, v9, v8
	v_lshl_add_u64 v[8:9], v[4:5], 0, v[2:3]
	global_store_short v[8:9], v10, off offset:32
.LBB23_27:
	s_or_b64 exec, exec, s[2:3]
	v_lshl_add_u64 v[0:1], v[0:1], 0, 16
	v_cmp_gt_i64_e64 s[2:3], s[18:19], v[0:1]
	s_and_b64 exec, exec, s[2:3]
	s_cbranch_execz .LBB23_20
; %bb.28:
	s_lshl_b64 s[2:3], s[10:11], 5
	v_lshl_add_u64 v[0:1], v[6:7], 0, s[2:3]
	s_lshl_b64 s[2:3], s[20:21], 5
	v_lshl_add_u64 v[6:7], v[4:5], 0, s[2:3]
	v_lshl_add_u64 v[4:5], v[0:1], 0, v[2:3]
	;; [unrolled: 1-line block ×3, first 2 shown]
	s_and_saveexec_b64 s[2:3], vcc
	s_cbranch_execz .LBB23_30
; %bb.29:
	global_load_ushort v2, v[4:5], off
	s_waitcnt vmcnt(0)
	v_mul_f16_e32 v2, s28, v2
	v_fma_f16 v2, s5, v14, v2
	global_store_short v[0:1], v2, off
.LBB23_30:
	s_or_b64 exec, exec, s[2:3]
	s_and_b64 exec, exec, s[0:1]
	s_cbranch_execz .LBB23_20
; %bb.31:
	global_load_ushort v2, v[4:5], off offset:32
	v_lshrrev_b32_e32 v3, 16, v14
	s_waitcnt vmcnt(0)
	v_mul_f16_e32 v2, s28, v2
	v_fma_f16 v2, s5, v3, v2
	global_store_short v[0:1], v2, off offset:32
	s_endpgm
	.section	.rodata,"a",@progbits
	.p2align	6, 0x0
	.amdhsa_kernel _ZN12_GLOBAL__N_135rocblas_gemm_batched_general_kernelIDF16_Li16ELi16ELi32ELi32ELi8ELi32ELi8ELi8ELi32ELc84ELc84EKDF16_S1_DF16_EEvlllT_PT11_llS4_llS2_PT12_llPT13_lli
		.amdhsa_group_segment_fixed_size 1024
		.amdhsa_private_segment_fixed_size 0
		.amdhsa_kernarg_size 140
		.amdhsa_user_sgpr_count 2
		.amdhsa_user_sgpr_dispatch_ptr 0
		.amdhsa_user_sgpr_queue_ptr 0
		.amdhsa_user_sgpr_kernarg_segment_ptr 1
		.amdhsa_user_sgpr_dispatch_id 0
		.amdhsa_user_sgpr_kernarg_preload_length 0
		.amdhsa_user_sgpr_kernarg_preload_offset 0
		.amdhsa_user_sgpr_private_segment_size 0
		.amdhsa_uses_dynamic_stack 0
		.amdhsa_enable_private_segment 0
		.amdhsa_system_sgpr_workgroup_id_x 1
		.amdhsa_system_sgpr_workgroup_id_y 1
		.amdhsa_system_sgpr_workgroup_id_z 1
		.amdhsa_system_sgpr_workgroup_info 0
		.amdhsa_system_vgpr_workitem_id 1
		.amdhsa_next_free_vgpr 44
		.amdhsa_next_free_sgpr 36
		.amdhsa_accum_offset 44
		.amdhsa_reserve_vcc 1
		.amdhsa_float_round_mode_32 0
		.amdhsa_float_round_mode_16_64 0
		.amdhsa_float_denorm_mode_32 3
		.amdhsa_float_denorm_mode_16_64 3
		.amdhsa_dx10_clamp 1
		.amdhsa_ieee_mode 1
		.amdhsa_fp16_overflow 0
		.amdhsa_tg_split 0
		.amdhsa_exception_fp_ieee_invalid_op 0
		.amdhsa_exception_fp_denorm_src 0
		.amdhsa_exception_fp_ieee_div_zero 0
		.amdhsa_exception_fp_ieee_overflow 0
		.amdhsa_exception_fp_ieee_underflow 0
		.amdhsa_exception_fp_ieee_inexact 0
		.amdhsa_exception_int_div_zero 0
	.end_amdhsa_kernel
	.section	.text._ZN12_GLOBAL__N_135rocblas_gemm_batched_general_kernelIDF16_Li16ELi16ELi32ELi32ELi8ELi32ELi8ELi8ELi32ELc84ELc84EKDF16_S1_DF16_EEvlllT_PT11_llS4_llS2_PT12_llPT13_lli,"axG",@progbits,_ZN12_GLOBAL__N_135rocblas_gemm_batched_general_kernelIDF16_Li16ELi16ELi32ELi32ELi8ELi32ELi8ELi8ELi32ELc84ELc84EKDF16_S1_DF16_EEvlllT_PT11_llS4_llS2_PT12_llPT13_lli,comdat
.Lfunc_end23:
	.size	_ZN12_GLOBAL__N_135rocblas_gemm_batched_general_kernelIDF16_Li16ELi16ELi32ELi32ELi8ELi32ELi8ELi8ELi32ELc84ELc84EKDF16_S1_DF16_EEvlllT_PT11_llS4_llS2_PT12_llPT13_lli, .Lfunc_end23-_ZN12_GLOBAL__N_135rocblas_gemm_batched_general_kernelIDF16_Li16ELi16ELi32ELi32ELi8ELi32ELi8ELi8ELi32ELc84ELc84EKDF16_S1_DF16_EEvlllT_PT11_llS4_llS2_PT12_llPT13_lli
                                        ; -- End function
	.set _ZN12_GLOBAL__N_135rocblas_gemm_batched_general_kernelIDF16_Li16ELi16ELi32ELi32ELi8ELi32ELi8ELi8ELi32ELc84ELc84EKDF16_S1_DF16_EEvlllT_PT11_llS4_llS2_PT12_llPT13_lli.num_vgpr, 44
	.set _ZN12_GLOBAL__N_135rocblas_gemm_batched_general_kernelIDF16_Li16ELi16ELi32ELi32ELi8ELi32ELi8ELi8ELi32ELc84ELc84EKDF16_S1_DF16_EEvlllT_PT11_llS4_llS2_PT12_llPT13_lli.num_agpr, 0
	.set _ZN12_GLOBAL__N_135rocblas_gemm_batched_general_kernelIDF16_Li16ELi16ELi32ELi32ELi8ELi32ELi8ELi8ELi32ELc84ELc84EKDF16_S1_DF16_EEvlllT_PT11_llS4_llS2_PT12_llPT13_lli.numbered_sgpr, 36
	.set _ZN12_GLOBAL__N_135rocblas_gemm_batched_general_kernelIDF16_Li16ELi16ELi32ELi32ELi8ELi32ELi8ELi8ELi32ELc84ELc84EKDF16_S1_DF16_EEvlllT_PT11_llS4_llS2_PT12_llPT13_lli.num_named_barrier, 0
	.set _ZN12_GLOBAL__N_135rocblas_gemm_batched_general_kernelIDF16_Li16ELi16ELi32ELi32ELi8ELi32ELi8ELi8ELi32ELc84ELc84EKDF16_S1_DF16_EEvlllT_PT11_llS4_llS2_PT12_llPT13_lli.private_seg_size, 0
	.set _ZN12_GLOBAL__N_135rocblas_gemm_batched_general_kernelIDF16_Li16ELi16ELi32ELi32ELi8ELi32ELi8ELi8ELi32ELc84ELc84EKDF16_S1_DF16_EEvlllT_PT11_llS4_llS2_PT12_llPT13_lli.uses_vcc, 1
	.set _ZN12_GLOBAL__N_135rocblas_gemm_batched_general_kernelIDF16_Li16ELi16ELi32ELi32ELi8ELi32ELi8ELi8ELi32ELc84ELc84EKDF16_S1_DF16_EEvlllT_PT11_llS4_llS2_PT12_llPT13_lli.uses_flat_scratch, 0
	.set _ZN12_GLOBAL__N_135rocblas_gemm_batched_general_kernelIDF16_Li16ELi16ELi32ELi32ELi8ELi32ELi8ELi8ELi32ELc84ELc84EKDF16_S1_DF16_EEvlllT_PT11_llS4_llS2_PT12_llPT13_lli.has_dyn_sized_stack, 0
	.set _ZN12_GLOBAL__N_135rocblas_gemm_batched_general_kernelIDF16_Li16ELi16ELi32ELi32ELi8ELi32ELi8ELi8ELi32ELc84ELc84EKDF16_S1_DF16_EEvlllT_PT11_llS4_llS2_PT12_llPT13_lli.has_recursion, 0
	.set _ZN12_GLOBAL__N_135rocblas_gemm_batched_general_kernelIDF16_Li16ELi16ELi32ELi32ELi8ELi32ELi8ELi8ELi32ELc84ELc84EKDF16_S1_DF16_EEvlllT_PT11_llS4_llS2_PT12_llPT13_lli.has_indirect_call, 0
	.section	.AMDGPU.csdata,"",@progbits
; Kernel info:
; codeLenInByte = 1716
; TotalNumSgprs: 42
; NumVgprs: 44
; NumAgprs: 0
; TotalNumVgprs: 44
; ScratchSize: 0
; MemoryBound: 0
; FloatMode: 240
; IeeeMode: 1
; LDSByteSize: 1024 bytes/workgroup (compile time only)
; SGPRBlocks: 5
; VGPRBlocks: 5
; NumSGPRsForWavesPerEU: 42
; NumVGPRsForWavesPerEU: 44
; AccumOffset: 44
; Occupancy: 8
; WaveLimiterHint : 0
; COMPUTE_PGM_RSRC2:SCRATCH_EN: 0
; COMPUTE_PGM_RSRC2:USER_SGPR: 2
; COMPUTE_PGM_RSRC2:TRAP_HANDLER: 0
; COMPUTE_PGM_RSRC2:TGID_X_EN: 1
; COMPUTE_PGM_RSRC2:TGID_Y_EN: 1
; COMPUTE_PGM_RSRC2:TGID_Z_EN: 1
; COMPUTE_PGM_RSRC2:TIDIG_COMP_CNT: 1
; COMPUTE_PGM_RSRC3_GFX90A:ACCUM_OFFSET: 10
; COMPUTE_PGM_RSRC3_GFX90A:TG_SPLIT: 0
	.section	.text._ZN12_GLOBAL__N_135rocblas_gemm_batched_general_kernelIDF16_Li16ELi16ELi32ELi32ELi8ELi32ELi8ELi8ELi32ELc67ELc67EKDF16_S1_DF16_EEvlllT_PT11_llS4_llS2_PT12_llPT13_lli,"axG",@progbits,_ZN12_GLOBAL__N_135rocblas_gemm_batched_general_kernelIDF16_Li16ELi16ELi32ELi32ELi8ELi32ELi8ELi8ELi32ELc67ELc67EKDF16_S1_DF16_EEvlllT_PT11_llS4_llS2_PT12_llPT13_lli,comdat
	.globl	_ZN12_GLOBAL__N_135rocblas_gemm_batched_general_kernelIDF16_Li16ELi16ELi32ELi32ELi8ELi32ELi8ELi8ELi32ELc67ELc67EKDF16_S1_DF16_EEvlllT_PT11_llS4_llS2_PT12_llPT13_lli ; -- Begin function _ZN12_GLOBAL__N_135rocblas_gemm_batched_general_kernelIDF16_Li16ELi16ELi32ELi32ELi8ELi32ELi8ELi8ELi32ELc67ELc67EKDF16_S1_DF16_EEvlllT_PT11_llS4_llS2_PT12_llPT13_lli
	.p2align	8
	.type	_ZN12_GLOBAL__N_135rocblas_gemm_batched_general_kernelIDF16_Li16ELi16ELi32ELi32ELi8ELi32ELi8ELi8ELi32ELc67ELc67EKDF16_S1_DF16_EEvlllT_PT11_llS4_llS2_PT12_llPT13_lli,@function
_ZN12_GLOBAL__N_135rocblas_gemm_batched_general_kernelIDF16_Li16ELi16ELi32ELi32ELi8ELi32ELi8ELi8ELi32ELc67ELc67EKDF16_S1_DF16_EEvlllT_PT11_llS4_llS2_PT12_llPT13_lli: ; @_ZN12_GLOBAL__N_135rocblas_gemm_batched_general_kernelIDF16_Li16ELi16ELi32ELi32ELi8ELi32ELi8ELi8ELi32ELc67ELc67EKDF16_S1_DF16_EEvlllT_PT11_llS4_llS2_PT12_llPT13_lli
; %bb.0:
	s_load_dwordx4 s[16:19], s[0:1], 0x0
	s_load_dwordx2 s[28:29], s[0:1], 0x10
	s_mov_b32 s30, s3
	s_ashr_i32 s3, s2, 31
	v_mov_b32_e32 v1, 0
	s_lshl_b64 s[24:25], s[2:3], 5
	s_ashr_i32 s31, s30, 31
	s_waitcnt lgkmcnt(0)
	v_cmp_lt_i64_e64 s[2:3], s[28:29], 1
	v_and_b32_e32 v2, 0x3ff, v0
	v_bfe_u32 v0, v0, 10, 10
	v_mov_b32_e32 v3, v1
	s_lshl_b64 s[26:27], s[30:31], 5
	s_and_b64 vcc, exec, s[2:3]
	s_cbranch_vccnz .LBB24_7
; %bb.1:
	s_load_dwordx8 s[8:15], s[0:1], 0x20
	s_load_dwordx4 s[20:23], s[0:1], 0x40
	v_lshlrev_b32_e32 v19, 4, v0
	v_add_u32_e32 v12, v19, v2
	v_lshrrev_b32_e32 v8, 3, v12
	v_mov_b32_e32 v9, v1
	v_lshrrev_b32_e32 v4, 5, v12
	v_and_b32_e32 v6, 7, v2
	v_lshl_add_u64 v[10:11], v[8:9], 0, s[26:27]
	v_and_b32_e32 v12, 31, v12
	s_waitcnt lgkmcnt(0)
	s_mul_i32 s5, s23, s4
	s_mul_hi_u32 s23, s22, s4
	v_or_b32_e32 v14, s24, v12
	v_mov_b32_e32 v15, s25
	v_cmp_gt_i64_e64 s[6:7], s[18:19], v[10:11]
	s_add_i32 s23, s23, s5
	s_mul_i32 s22, s22, s4
	v_mad_u64_u32 v[10:11], s[34:35], s20, v6, 0
	v_cmp_gt_i64_e64 s[2:3], s[16:17], v[14:15]
	v_lshlrev_b32_e32 v9, 1, v12
	s_lshl_b64 s[22:23], s[22:23], 1
	v_mov_b32_e32 v14, v11
	s_lshl_b64 s[30:31], s[30:31], 6
	v_lshl_or_b32 v16, v4, 6, v9
	v_lshlrev_b32_e32 v9, 1, v6
	v_mad_u64_u32 v[14:15], s[34:35], s21, v6, v[14:15]
	s_add_u32 s22, s30, s22
	v_lshl_or_b32 v9, v8, 4, v9
	v_mov_b32_e32 v11, v14
	s_addc_u32 s23, s31, s23
	v_mov_b32_e32 v13, v1
	v_add_u32_e32 v17, 0x200, v9
	v_lshl_add_u64 v[10:11], v[10:11], 1, s[22:23]
	v_lshlrev_b32_e32 v8, 1, v8
	v_mov_b32_e32 v9, v1
	v_lshl_add_u64 v[8:9], v[10:11], 0, v[8:9]
	v_lshl_add_u64 v[10:11], s[24:25], 0, v[12:13]
	v_mul_lo_u32 v12, s11, v10
	v_mul_lo_u32 v13, s10, v11
	v_mad_u64_u32 v[10:11], s[10:11], s10, v10, 0
	s_mul_i32 s5, s13, s4
	s_mul_hi_u32 s10, s12, s4
	s_add_i32 s11, s10, s5
	s_mul_i32 s10, s12, s4
	v_add3_u32 v11, v11, v13, v12
	s_lshl_b64 s[10:11], s[10:11], 1
	v_lshl_add_u64 v[10:11], v[10:11], 1, s[10:11]
	v_lshlrev_b32_e32 v12, 1, v4
	v_mov_b32_e32 v13, v1
	v_lshl_add_u64 v[10:11], v[10:11], 0, v[12:13]
	v_mov_b32_e32 v5, v1
	v_mov_b32_e32 v7, v1
	v_lshlrev_b32_e32 v18, 1, v2
	v_add_u32_e32 v19, 0x200, v19
	v_lshl_add_u64 v[8:9], s[14:15], 0, v[8:9]
	s_lshl_b64 s[14:15], s[20:21], 4
	v_lshl_add_u64 v[10:11], s[8:9], 0, v[10:11]
	s_mov_b64 s[8:9], 0
	s_mov_b32 s5, 0x5040100
	v_mov_b64_e32 v[12:13], s[28:29]
	v_mov_b32_e32 v15, v1
	v_mov_b32_e32 v14, v1
	s_branch .LBB24_3
.LBB24_2:                               ;   in Loop: Header=BB24_3 Depth=1
	s_or_b64 exec, exec, s[10:11]
	s_waitcnt vmcnt(0)
	ds_write_b16 v17, v20
	s_waitcnt lgkmcnt(0)
	s_barrier
	ds_read_u16 v28, v18
	ds_read_u16 v29, v18 offset:32
	ds_read_u16 v30, v18 offset:64
	;; [unrolled: 1-line block ×7, first 2 shown]
	ds_read_b128 v[20:23], v19
	ds_read_b128 v[24:27], v19 offset:256
	ds_read_u16 v36, v18 offset:256
	ds_read_u16 v37, v18 offset:288
	;; [unrolled: 1-line block ×8, first 2 shown]
	s_waitcnt lgkmcnt(14)
	v_perm_b32 v28, v29, v28, s5
	s_waitcnt lgkmcnt(8)
	v_pk_fma_f16 v14, v28, v24, v14 op_sel_hi:[1,0,1]
	v_pk_fma_f16 v15, v28, v20, v15 op_sel_hi:[1,0,1]
	v_perm_b32 v28, v31, v30, s5
	v_pk_fma_f16 v15, v28, v20, v15 op_sel:[0,1,0]
	v_pk_fma_f16 v14, v28, v24, v14 op_sel:[0,1,0]
	v_perm_b32 v20, v33, v32, s5
	v_pk_fma_f16 v14, v20, v25, v14 op_sel_hi:[1,0,1]
	v_pk_fma_f16 v15, v20, v21, v15 op_sel_hi:[1,0,1]
	v_perm_b32 v20, v35, v34, s5
	v_pk_fma_f16 v15, v20, v21, v15 op_sel:[0,1,0]
	v_pk_fma_f16 v14, v20, v25, v14 op_sel:[0,1,0]
	s_waitcnt lgkmcnt(6)
	v_perm_b32 v20, v37, v36, s5
	v_pk_fma_f16 v14, v20, v26, v14 op_sel_hi:[1,0,1]
	v_pk_fma_f16 v15, v20, v22, v15 op_sel_hi:[1,0,1]
	s_waitcnt lgkmcnt(4)
	v_perm_b32 v20, v39, v38, s5
	s_add_u32 s8, s8, 8
	v_pk_fma_f16 v15, v20, v22, v15 op_sel:[0,1,0]
	v_pk_fma_f16 v14, v20, v26, v14 op_sel:[0,1,0]
	s_waitcnt lgkmcnt(2)
	v_perm_b32 v20, v41, v40, s5
	s_addc_u32 s9, s9, 0
	v_pk_fma_f16 v14, v20, v27, v14 op_sel_hi:[1,0,1]
	v_pk_fma_f16 v15, v20, v23, v15 op_sel_hi:[1,0,1]
	s_waitcnt lgkmcnt(0)
	v_perm_b32 v20, v43, v42, s5
	v_cmp_lt_i64_e32 vcc, s[8:9], v[12:13]
	v_pk_fma_f16 v15, v20, v23, v15 op_sel:[0,1,0]
	v_pk_fma_f16 v14, v20, v27, v14 op_sel:[0,1,0]
	v_lshl_add_u64 v[8:9], v[8:9], 0, s[14:15]
	v_lshl_add_u64 v[10:11], v[10:11], 0, 16
	s_barrier
	s_cbranch_vccz .LBB24_8
.LBB24_3:                               ; =>This Inner Loop Header: Depth=1
	v_lshl_add_u64 v[20:21], v[4:5], 0, s[8:9]
	v_cmp_gt_i64_e32 vcc, s[28:29], v[20:21]
	s_and_b64 s[12:13], s[2:3], vcc
	v_mov_b32_e32 v20, 0
	v_mov_b32_e32 v21, 0
	s_and_saveexec_b64 s[10:11], s[12:13]
	s_cbranch_execz .LBB24_5
; %bb.4:                                ;   in Loop: Header=BB24_3 Depth=1
	global_load_ushort v21, v[10:11], off
.LBB24_5:                               ;   in Loop: Header=BB24_3 Depth=1
	s_or_b64 exec, exec, s[10:11]
	v_lshl_add_u64 v[22:23], v[6:7], 0, s[8:9]
	v_cmp_gt_i64_e32 vcc, s[28:29], v[22:23]
	s_and_b64 s[12:13], vcc, s[6:7]
	s_waitcnt vmcnt(0)
	ds_write_b16 v16, v21
	s_and_saveexec_b64 s[10:11], s[12:13]
	s_cbranch_execz .LBB24_2
; %bb.6:                                ;   in Loop: Header=BB24_3 Depth=1
	global_load_ushort v20, v[8:9], off
	s_branch .LBB24_2
.LBB24_7:
	v_mov_b32_e32 v14, v1
	v_mov_b32_e32 v15, v1
.LBB24_8:
	s_load_dwordx4 s[20:23], s[0:1], 0x78
	s_load_dword s5, s[0:1], 0x18
	s_load_dword s28, s[0:1], 0x50
	s_load_dwordx8 s[8:15], s[0:1], 0x58
	v_lshl_add_u64 v[0:1], s[26:27], 0, v[0:1]
	s_waitcnt lgkmcnt(0)
	s_mul_i32 s0, s23, s4
	s_mul_hi_u32 s1, s22, s4
	s_add_i32 s1, s1, s0
	s_mul_i32 s0, s22, s4
	s_lshl_b64 s[0:1], s[0:1], 1
	s_add_u32 s14, s14, s0
	v_cmp_neq_f16_e64 s[2:3], s28, 0
	s_addc_u32 s15, s15, s1
	v_cmp_gt_i64_e64 s[0:1], s[18:19], v[0:1]
	s_and_b64 vcc, exec, s[2:3]
	s_cbranch_vccnz .LBB24_21
; %bb.9:
	s_and_saveexec_b64 s[22:23], s[0:1]
	s_cbranch_execz .LBB24_19
; %bb.10:
	v_mul_lo_u32 v8, v1, s20
	v_mul_lo_u32 v9, v0, s21
	v_mad_u64_u32 v[6:7], s[2:3], v0, s20, 0
	v_add3_u32 v7, v7, v9, v8
	v_lshl_add_u64 v[4:5], s[24:25], 0, v[2:3]
	v_lshl_add_u64 v[6:7], v[6:7], 1, s[14:15]
	v_cmp_gt_i64_e32 vcc, s[16:17], v[4:5]
	v_lshl_add_u64 v[8:9], v[4:5], 1, v[6:7]
	s_and_saveexec_b64 s[2:3], vcc
	s_cbranch_execz .LBB24_12
; %bb.11:
	v_mul_f16_e32 v10, s5, v15
	global_store_short v[8:9], v10, off
.LBB24_12:
	s_or_b64 exec, exec, s[2:3]
	v_lshl_add_u64 v[10:11], v[4:5], 0, 16
	v_cmp_gt_i64_e64 s[2:3], s[16:17], v[10:11]
	s_and_saveexec_b64 s[6:7], s[2:3]
	s_cbranch_execz .LBB24_14
; %bb.13:
	v_mul_f16_sdwa v10, s5, v15 dst_sel:DWORD dst_unused:UNUSED_PAD src0_sel:DWORD src1_sel:WORD_1
	global_store_short v[8:9], v10, off offset:32
.LBB24_14:
	s_or_b64 exec, exec, s[6:7]
	v_lshl_add_u64 v[8:9], v[0:1], 0, 16
	v_cmp_gt_i64_e64 s[6:7], s[18:19], v[8:9]
	s_and_b64 exec, exec, s[6:7]
	s_cbranch_execz .LBB24_19
; %bb.15:
	s_lshl_b64 s[6:7], s[20:21], 5
	v_lshl_add_u64 v[6:7], v[6:7], 0, s[6:7]
	v_lshl_add_u64 v[4:5], v[4:5], 1, v[6:7]
	s_and_saveexec_b64 s[6:7], vcc
	s_cbranch_execz .LBB24_17
; %bb.16:
	v_mul_f16_e32 v6, s5, v14
	global_store_short v[4:5], v6, off
.LBB24_17:
	s_or_b64 exec, exec, s[6:7]
	s_and_b64 exec, exec, s[2:3]
	s_cbranch_execz .LBB24_19
; %bb.18:
	v_mul_f16_sdwa v6, s5, v14 dst_sel:DWORD dst_unused:UNUSED_PAD src0_sel:DWORD src1_sel:WORD_1
	global_store_short v[4:5], v6, off offset:32
.LBB24_19:
	s_or_b64 exec, exec, s[22:23]
	s_cbranch_execz .LBB24_22
.LBB24_20:
	s_endpgm
.LBB24_21:
.LBB24_22:
	s_and_saveexec_b64 s[2:3], s[0:1]
	s_cbranch_execz .LBB24_20
; %bb.23:
	s_mul_i32 s0, s13, s4
	s_mul_hi_u32 s1, s12, s4
	s_add_i32 s1, s1, s0
	s_mul_i32 s0, s12, s4
	s_lshl_b64 s[0:1], s[0:1], 1
	v_lshl_add_u64 v[8:9], s[24:25], 0, v[2:3]
	v_mul_lo_u32 v4, v1, s10
	v_mul_lo_u32 v5, v0, s11
	v_mad_u64_u32 v[2:3], s[2:3], v0, s10, 0
	s_add_u32 s0, s8, s0
	v_add3_u32 v3, v3, v5, v4
	v_mul_lo_u32 v6, v1, s20
	v_mul_lo_u32 v7, v0, s21
	v_mad_u64_u32 v[4:5], s[2:3], v0, s20, 0
	s_addc_u32 s1, s9, s1
	v_add3_u32 v5, v5, v7, v6
	v_cmp_gt_i64_e32 vcc, s[16:17], v[8:9]
	v_lshl_add_u64 v[6:7], v[2:3], 1, s[0:1]
	v_lshl_add_u64 v[4:5], v[4:5], 1, s[14:15]
	v_lshlrev_b64 v[2:3], 1, v[8:9]
	s_and_saveexec_b64 s[0:1], vcc
	s_cbranch_execz .LBB24_25
; %bb.24:
	v_lshl_add_u64 v[10:11], v[6:7], 0, v[2:3]
	global_load_ushort v10, v[10:11], off
	s_waitcnt vmcnt(0)
	v_mul_f16_e32 v10, s28, v10
	v_fma_f16 v12, s5, v15, v10
	v_lshl_add_u64 v[10:11], v[4:5], 0, v[2:3]
	global_store_short v[10:11], v12, off
.LBB24_25:
	s_or_b64 exec, exec, s[0:1]
	v_lshl_add_u64 v[8:9], v[8:9], 0, 16
	v_cmp_gt_i64_e64 s[0:1], s[16:17], v[8:9]
	s_and_saveexec_b64 s[2:3], s[0:1]
	s_cbranch_execz .LBB24_27
; %bb.26:
	v_lshl_add_u64 v[8:9], v[6:7], 0, v[2:3]
	global_load_ushort v8, v[8:9], off offset:32
	v_lshrrev_b32_e32 v9, 16, v15
	s_waitcnt vmcnt(0)
	v_mul_f16_e32 v8, s28, v8
	v_fma_f16 v10, s5, v9, v8
	v_lshl_add_u64 v[8:9], v[4:5], 0, v[2:3]
	global_store_short v[8:9], v10, off offset:32
.LBB24_27:
	s_or_b64 exec, exec, s[2:3]
	v_lshl_add_u64 v[0:1], v[0:1], 0, 16
	v_cmp_gt_i64_e64 s[2:3], s[18:19], v[0:1]
	s_and_b64 exec, exec, s[2:3]
	s_cbranch_execz .LBB24_20
; %bb.28:
	s_lshl_b64 s[2:3], s[10:11], 5
	v_lshl_add_u64 v[0:1], v[6:7], 0, s[2:3]
	s_lshl_b64 s[2:3], s[20:21], 5
	v_lshl_add_u64 v[6:7], v[4:5], 0, s[2:3]
	v_lshl_add_u64 v[4:5], v[0:1], 0, v[2:3]
	;; [unrolled: 1-line block ×3, first 2 shown]
	s_and_saveexec_b64 s[2:3], vcc
	s_cbranch_execz .LBB24_30
; %bb.29:
	global_load_ushort v2, v[4:5], off
	s_waitcnt vmcnt(0)
	v_mul_f16_e32 v2, s28, v2
	v_fma_f16 v2, s5, v14, v2
	global_store_short v[0:1], v2, off
.LBB24_30:
	s_or_b64 exec, exec, s[2:3]
	s_and_b64 exec, exec, s[0:1]
	s_cbranch_execz .LBB24_20
; %bb.31:
	global_load_ushort v2, v[4:5], off offset:32
	v_lshrrev_b32_e32 v3, 16, v14
	s_waitcnt vmcnt(0)
	v_mul_f16_e32 v2, s28, v2
	v_fma_f16 v2, s5, v3, v2
	global_store_short v[0:1], v2, off offset:32
	s_endpgm
	.section	.rodata,"a",@progbits
	.p2align	6, 0x0
	.amdhsa_kernel _ZN12_GLOBAL__N_135rocblas_gemm_batched_general_kernelIDF16_Li16ELi16ELi32ELi32ELi8ELi32ELi8ELi8ELi32ELc67ELc67EKDF16_S1_DF16_EEvlllT_PT11_llS4_llS2_PT12_llPT13_lli
		.amdhsa_group_segment_fixed_size 1024
		.amdhsa_private_segment_fixed_size 0
		.amdhsa_kernarg_size 140
		.amdhsa_user_sgpr_count 2
		.amdhsa_user_sgpr_dispatch_ptr 0
		.amdhsa_user_sgpr_queue_ptr 0
		.amdhsa_user_sgpr_kernarg_segment_ptr 1
		.amdhsa_user_sgpr_dispatch_id 0
		.amdhsa_user_sgpr_kernarg_preload_length 0
		.amdhsa_user_sgpr_kernarg_preload_offset 0
		.amdhsa_user_sgpr_private_segment_size 0
		.amdhsa_uses_dynamic_stack 0
		.amdhsa_enable_private_segment 0
		.amdhsa_system_sgpr_workgroup_id_x 1
		.amdhsa_system_sgpr_workgroup_id_y 1
		.amdhsa_system_sgpr_workgroup_id_z 1
		.amdhsa_system_sgpr_workgroup_info 0
		.amdhsa_system_vgpr_workitem_id 1
		.amdhsa_next_free_vgpr 44
		.amdhsa_next_free_sgpr 36
		.amdhsa_accum_offset 44
		.amdhsa_reserve_vcc 1
		.amdhsa_float_round_mode_32 0
		.amdhsa_float_round_mode_16_64 0
		.amdhsa_float_denorm_mode_32 3
		.amdhsa_float_denorm_mode_16_64 3
		.amdhsa_dx10_clamp 1
		.amdhsa_ieee_mode 1
		.amdhsa_fp16_overflow 0
		.amdhsa_tg_split 0
		.amdhsa_exception_fp_ieee_invalid_op 0
		.amdhsa_exception_fp_denorm_src 0
		.amdhsa_exception_fp_ieee_div_zero 0
		.amdhsa_exception_fp_ieee_overflow 0
		.amdhsa_exception_fp_ieee_underflow 0
		.amdhsa_exception_fp_ieee_inexact 0
		.amdhsa_exception_int_div_zero 0
	.end_amdhsa_kernel
	.section	.text._ZN12_GLOBAL__N_135rocblas_gemm_batched_general_kernelIDF16_Li16ELi16ELi32ELi32ELi8ELi32ELi8ELi8ELi32ELc67ELc67EKDF16_S1_DF16_EEvlllT_PT11_llS4_llS2_PT12_llPT13_lli,"axG",@progbits,_ZN12_GLOBAL__N_135rocblas_gemm_batched_general_kernelIDF16_Li16ELi16ELi32ELi32ELi8ELi32ELi8ELi8ELi32ELc67ELc67EKDF16_S1_DF16_EEvlllT_PT11_llS4_llS2_PT12_llPT13_lli,comdat
.Lfunc_end24:
	.size	_ZN12_GLOBAL__N_135rocblas_gemm_batched_general_kernelIDF16_Li16ELi16ELi32ELi32ELi8ELi32ELi8ELi8ELi32ELc67ELc67EKDF16_S1_DF16_EEvlllT_PT11_llS4_llS2_PT12_llPT13_lli, .Lfunc_end24-_ZN12_GLOBAL__N_135rocblas_gemm_batched_general_kernelIDF16_Li16ELi16ELi32ELi32ELi8ELi32ELi8ELi8ELi32ELc67ELc67EKDF16_S1_DF16_EEvlllT_PT11_llS4_llS2_PT12_llPT13_lli
                                        ; -- End function
	.set _ZN12_GLOBAL__N_135rocblas_gemm_batched_general_kernelIDF16_Li16ELi16ELi32ELi32ELi8ELi32ELi8ELi8ELi32ELc67ELc67EKDF16_S1_DF16_EEvlllT_PT11_llS4_llS2_PT12_llPT13_lli.num_vgpr, 44
	.set _ZN12_GLOBAL__N_135rocblas_gemm_batched_general_kernelIDF16_Li16ELi16ELi32ELi32ELi8ELi32ELi8ELi8ELi32ELc67ELc67EKDF16_S1_DF16_EEvlllT_PT11_llS4_llS2_PT12_llPT13_lli.num_agpr, 0
	.set _ZN12_GLOBAL__N_135rocblas_gemm_batched_general_kernelIDF16_Li16ELi16ELi32ELi32ELi8ELi32ELi8ELi8ELi32ELc67ELc67EKDF16_S1_DF16_EEvlllT_PT11_llS4_llS2_PT12_llPT13_lli.numbered_sgpr, 36
	.set _ZN12_GLOBAL__N_135rocblas_gemm_batched_general_kernelIDF16_Li16ELi16ELi32ELi32ELi8ELi32ELi8ELi8ELi32ELc67ELc67EKDF16_S1_DF16_EEvlllT_PT11_llS4_llS2_PT12_llPT13_lli.num_named_barrier, 0
	.set _ZN12_GLOBAL__N_135rocblas_gemm_batched_general_kernelIDF16_Li16ELi16ELi32ELi32ELi8ELi32ELi8ELi8ELi32ELc67ELc67EKDF16_S1_DF16_EEvlllT_PT11_llS4_llS2_PT12_llPT13_lli.private_seg_size, 0
	.set _ZN12_GLOBAL__N_135rocblas_gemm_batched_general_kernelIDF16_Li16ELi16ELi32ELi32ELi8ELi32ELi8ELi8ELi32ELc67ELc67EKDF16_S1_DF16_EEvlllT_PT11_llS4_llS2_PT12_llPT13_lli.uses_vcc, 1
	.set _ZN12_GLOBAL__N_135rocblas_gemm_batched_general_kernelIDF16_Li16ELi16ELi32ELi32ELi8ELi32ELi8ELi8ELi32ELc67ELc67EKDF16_S1_DF16_EEvlllT_PT11_llS4_llS2_PT12_llPT13_lli.uses_flat_scratch, 0
	.set _ZN12_GLOBAL__N_135rocblas_gemm_batched_general_kernelIDF16_Li16ELi16ELi32ELi32ELi8ELi32ELi8ELi8ELi32ELc67ELc67EKDF16_S1_DF16_EEvlllT_PT11_llS4_llS2_PT12_llPT13_lli.has_dyn_sized_stack, 0
	.set _ZN12_GLOBAL__N_135rocblas_gemm_batched_general_kernelIDF16_Li16ELi16ELi32ELi32ELi8ELi32ELi8ELi8ELi32ELc67ELc67EKDF16_S1_DF16_EEvlllT_PT11_llS4_llS2_PT12_llPT13_lli.has_recursion, 0
	.set _ZN12_GLOBAL__N_135rocblas_gemm_batched_general_kernelIDF16_Li16ELi16ELi32ELi32ELi8ELi32ELi8ELi8ELi32ELc67ELc67EKDF16_S1_DF16_EEvlllT_PT11_llS4_llS2_PT12_llPT13_lli.has_indirect_call, 0
	.section	.AMDGPU.csdata,"",@progbits
; Kernel info:
; codeLenInByte = 1716
; TotalNumSgprs: 42
; NumVgprs: 44
; NumAgprs: 0
; TotalNumVgprs: 44
; ScratchSize: 0
; MemoryBound: 0
; FloatMode: 240
; IeeeMode: 1
; LDSByteSize: 1024 bytes/workgroup (compile time only)
; SGPRBlocks: 5
; VGPRBlocks: 5
; NumSGPRsForWavesPerEU: 42
; NumVGPRsForWavesPerEU: 44
; AccumOffset: 44
; Occupancy: 8
; WaveLimiterHint : 0
; COMPUTE_PGM_RSRC2:SCRATCH_EN: 0
; COMPUTE_PGM_RSRC2:USER_SGPR: 2
; COMPUTE_PGM_RSRC2:TRAP_HANDLER: 0
; COMPUTE_PGM_RSRC2:TGID_X_EN: 1
; COMPUTE_PGM_RSRC2:TGID_Y_EN: 1
; COMPUTE_PGM_RSRC2:TGID_Z_EN: 1
; COMPUTE_PGM_RSRC2:TIDIG_COMP_CNT: 1
; COMPUTE_PGM_RSRC3_GFX90A:ACCUM_OFFSET: 10
; COMPUTE_PGM_RSRC3_GFX90A:TG_SPLIT: 0
	.section	.text._ZN12_GLOBAL__N_135rocblas_gemm_batched_general_kernelIDF16_Li16ELi16ELi32ELi32ELi8ELi32ELi8ELi8ELi32ELc67ELc78EKDF16_S1_DF16_EEvlllT_PT11_llS4_llS2_PT12_llPT13_lli,"axG",@progbits,_ZN12_GLOBAL__N_135rocblas_gemm_batched_general_kernelIDF16_Li16ELi16ELi32ELi32ELi8ELi32ELi8ELi8ELi32ELc67ELc78EKDF16_S1_DF16_EEvlllT_PT11_llS4_llS2_PT12_llPT13_lli,comdat
	.globl	_ZN12_GLOBAL__N_135rocblas_gemm_batched_general_kernelIDF16_Li16ELi16ELi32ELi32ELi8ELi32ELi8ELi8ELi32ELc67ELc78EKDF16_S1_DF16_EEvlllT_PT11_llS4_llS2_PT12_llPT13_lli ; -- Begin function _ZN12_GLOBAL__N_135rocblas_gemm_batched_general_kernelIDF16_Li16ELi16ELi32ELi32ELi8ELi32ELi8ELi8ELi32ELc67ELc78EKDF16_S1_DF16_EEvlllT_PT11_llS4_llS2_PT12_llPT13_lli
	.p2align	8
	.type	_ZN12_GLOBAL__N_135rocblas_gemm_batched_general_kernelIDF16_Li16ELi16ELi32ELi32ELi8ELi32ELi8ELi8ELi32ELc67ELc78EKDF16_S1_DF16_EEvlllT_PT11_llS4_llS2_PT12_llPT13_lli,@function
_ZN12_GLOBAL__N_135rocblas_gemm_batched_general_kernelIDF16_Li16ELi16ELi32ELi32ELi8ELi32ELi8ELi8ELi32ELc67ELc78EKDF16_S1_DF16_EEvlllT_PT11_llS4_llS2_PT12_llPT13_lli: ; @_ZN12_GLOBAL__N_135rocblas_gemm_batched_general_kernelIDF16_Li16ELi16ELi32ELi32ELi8ELi32ELi8ELi8ELi32ELc67ELc78EKDF16_S1_DF16_EEvlllT_PT11_llS4_llS2_PT12_llPT13_lli
; %bb.0:
	s_load_dwordx4 s[16:19], s[0:1], 0x0
	s_load_dwordx2 s[20:21], s[0:1], 0x10
	s_mov_b32 s6, s3
	s_ashr_i32 s3, s2, 31
	v_mov_b32_e32 v1, 0
	s_lshl_b64 s[24:25], s[2:3], 5
	s_ashr_i32 s7, s6, 31
	s_waitcnt lgkmcnt(0)
	v_cmp_lt_i64_e64 s[2:3], s[20:21], 1
	v_and_b32_e32 v2, 0x3ff, v0
	v_bfe_u32 v0, v0, 10, 10
	v_mov_b32_e32 v3, v1
	s_lshl_b64 s[26:27], s[6:7], 5
	s_and_b64 vcc, exec, s[2:3]
	s_cbranch_vccnz .LBB25_7
; %bb.1:
	v_lshlrev_b32_e32 v19, 4, v0
	s_load_dwordx8 s[8:15], s[0:1], 0x20
	s_load_dwordx4 s[28:31], s[0:1], 0x40
	v_add_u32_e32 v12, v19, v2
	v_lshrrev_b32_e32 v4, 5, v12
	v_lshrrev_b32_e32 v8, 3, v12
	v_and_b32_e32 v12, 31, v12
	v_and_b32_e32 v6, 7, v2
	v_or_b32_e32 v14, s24, v12
	v_mov_b32_e32 v15, s25
	v_mov_b32_e32 v9, v1
	v_cmp_gt_i64_e64 s[2:3], s[16:17], v[14:15]
	v_lshlrev_b32_e32 v14, 1, v6
	v_lshl_add_u64 v[10:11], v[8:9], 0, s[26:27]
	v_lshlrev_b32_e32 v9, 1, v12
	v_lshl_or_b32 v8, v8, 4, v14
	v_mov_b32_e32 v13, v1
	v_lshl_or_b32 v16, v4, 6, v9
	v_cmp_gt_i64_e64 s[6:7], s[18:19], v[10:11]
	v_add_u32_e32 v17, 0x200, v8
	s_waitcnt lgkmcnt(0)
	v_mul_lo_u32 v15, s29, v10
	v_mul_lo_u32 v11, s28, v11
	v_mad_u64_u32 v[8:9], s[22:23], s28, v10, 0
	v_add3_u32 v9, v9, v11, v15
	v_lshl_add_u64 v[10:11], s[24:25], 0, v[12:13]
	s_mul_i32 s5, s31, s4
	s_mul_hi_u32 s22, s30, s4
	v_mul_lo_u32 v12, s11, v10
	v_mul_lo_u32 v13, s10, v11
	v_mad_u64_u32 v[10:11], s[10:11], s10, v10, 0
	s_add_i32 s23, s22, s5
	s_mul_i32 s5, s13, s4
	s_mul_hi_u32 s10, s12, s4
	s_mul_i32 s22, s30, s4
	s_add_i32 s11, s10, s5
	s_mul_i32 s10, s12, s4
	s_lshl_b64 s[22:23], s[22:23], 1
	v_add3_u32 v11, v11, v13, v12
	s_lshl_b64 s[10:11], s[10:11], 1
	v_lshl_add_u64 v[8:9], v[8:9], 1, s[22:23]
	v_mov_b32_e32 v15, v1
	v_lshl_add_u64 v[10:11], v[10:11], 1, s[10:11]
	v_lshlrev_b32_e32 v12, 1, v4
	v_mov_b32_e32 v13, v1
	v_lshl_add_u64 v[8:9], v[8:9], 0, v[14:15]
	v_lshl_add_u64 v[10:11], v[10:11], 0, v[12:13]
	v_mov_b32_e32 v5, v1
	v_mov_b32_e32 v7, v1
	v_lshlrev_b32_e32 v18, 1, v2
	v_add_u32_e32 v19, 0x200, v19
	v_lshl_add_u64 v[8:9], s[14:15], 0, v[8:9]
	v_lshl_add_u64 v[10:11], s[8:9], 0, v[10:11]
	s_mov_b64 s[8:9], 0
	s_mov_b32 s5, 0x5040100
	v_mov_b64_e32 v[12:13], s[20:21]
	v_mov_b32_e32 v14, v1
	s_branch .LBB25_3
.LBB25_2:                               ;   in Loop: Header=BB25_3 Depth=1
	s_or_b64 exec, exec, s[10:11]
	s_waitcnt vmcnt(0)
	ds_write_b16 v17, v20
	s_waitcnt lgkmcnt(0)
	s_barrier
	ds_read_u16 v28, v18
	ds_read_u16 v29, v18 offset:32
	ds_read_u16 v30, v18 offset:64
	;; [unrolled: 1-line block ×7, first 2 shown]
	ds_read_b128 v[20:23], v19
	ds_read_b128 v[24:27], v19 offset:256
	ds_read_u16 v36, v18 offset:256
	ds_read_u16 v37, v18 offset:288
	ds_read_u16 v38, v18 offset:320
	ds_read_u16 v39, v18 offset:352
	ds_read_u16 v40, v18 offset:384
	ds_read_u16 v41, v18 offset:416
	ds_read_u16 v42, v18 offset:448
	ds_read_u16 v43, v18 offset:480
	s_waitcnt lgkmcnt(14)
	v_perm_b32 v28, v29, v28, s5
	s_waitcnt lgkmcnt(8)
	v_pk_fma_f16 v14, v28, v24, v14 op_sel_hi:[1,0,1]
	v_pk_fma_f16 v15, v28, v20, v15 op_sel_hi:[1,0,1]
	v_perm_b32 v28, v31, v30, s5
	v_pk_fma_f16 v15, v28, v20, v15 op_sel:[0,1,0]
	v_pk_fma_f16 v14, v28, v24, v14 op_sel:[0,1,0]
	v_perm_b32 v20, v33, v32, s5
	v_pk_fma_f16 v14, v20, v25, v14 op_sel_hi:[1,0,1]
	v_pk_fma_f16 v15, v20, v21, v15 op_sel_hi:[1,0,1]
	v_perm_b32 v20, v35, v34, s5
	v_pk_fma_f16 v15, v20, v21, v15 op_sel:[0,1,0]
	v_pk_fma_f16 v14, v20, v25, v14 op_sel:[0,1,0]
	s_waitcnt lgkmcnt(6)
	v_perm_b32 v20, v37, v36, s5
	v_pk_fma_f16 v14, v20, v26, v14 op_sel_hi:[1,0,1]
	v_pk_fma_f16 v15, v20, v22, v15 op_sel_hi:[1,0,1]
	s_waitcnt lgkmcnt(4)
	v_perm_b32 v20, v39, v38, s5
	s_add_u32 s8, s8, 8
	v_pk_fma_f16 v15, v20, v22, v15 op_sel:[0,1,0]
	v_pk_fma_f16 v14, v20, v26, v14 op_sel:[0,1,0]
	s_waitcnt lgkmcnt(2)
	v_perm_b32 v20, v41, v40, s5
	s_addc_u32 s9, s9, 0
	v_pk_fma_f16 v14, v20, v27, v14 op_sel_hi:[1,0,1]
	v_pk_fma_f16 v15, v20, v23, v15 op_sel_hi:[1,0,1]
	s_waitcnt lgkmcnt(0)
	v_perm_b32 v20, v43, v42, s5
	v_cmp_lt_i64_e32 vcc, s[8:9], v[12:13]
	v_pk_fma_f16 v15, v20, v23, v15 op_sel:[0,1,0]
	v_pk_fma_f16 v14, v20, v27, v14 op_sel:[0,1,0]
	v_lshl_add_u64 v[8:9], v[8:9], 0, 16
	v_lshl_add_u64 v[10:11], v[10:11], 0, 16
	s_barrier
	s_cbranch_vccz .LBB25_8
.LBB25_3:                               ; =>This Inner Loop Header: Depth=1
	v_lshl_add_u64 v[20:21], v[4:5], 0, s[8:9]
	v_cmp_gt_i64_e32 vcc, s[20:21], v[20:21]
	s_and_b64 s[12:13], s[2:3], vcc
	v_mov_b32_e32 v20, 0
	v_mov_b32_e32 v21, 0
	s_and_saveexec_b64 s[10:11], s[12:13]
	s_cbranch_execz .LBB25_5
; %bb.4:                                ;   in Loop: Header=BB25_3 Depth=1
	global_load_ushort v21, v[10:11], off
.LBB25_5:                               ;   in Loop: Header=BB25_3 Depth=1
	s_or_b64 exec, exec, s[10:11]
	v_lshl_add_u64 v[22:23], v[6:7], 0, s[8:9]
	v_cmp_gt_i64_e32 vcc, s[20:21], v[22:23]
	s_and_b64 s[12:13], vcc, s[6:7]
	s_waitcnt vmcnt(0)
	ds_write_b16 v16, v21
	s_and_saveexec_b64 s[10:11], s[12:13]
	s_cbranch_execz .LBB25_2
; %bb.6:                                ;   in Loop: Header=BB25_3 Depth=1
	global_load_ushort v20, v[8:9], off
	s_branch .LBB25_2
.LBB25_7:
	v_mov_b32_e32 v14, v1
	v_mov_b32_e32 v15, v1
.LBB25_8:
	s_load_dwordx4 s[20:23], s[0:1], 0x78
	s_load_dword s5, s[0:1], 0x18
	s_load_dword s28, s[0:1], 0x50
	s_load_dwordx8 s[8:15], s[0:1], 0x58
	v_lshl_add_u64 v[0:1], s[26:27], 0, v[0:1]
	s_waitcnt lgkmcnt(0)
	s_mul_i32 s0, s23, s4
	s_mul_hi_u32 s1, s22, s4
	s_add_i32 s1, s1, s0
	s_mul_i32 s0, s22, s4
	s_lshl_b64 s[0:1], s[0:1], 1
	s_add_u32 s14, s14, s0
	v_cmp_neq_f16_e64 s[2:3], s28, 0
	s_addc_u32 s15, s15, s1
	v_cmp_gt_i64_e64 s[0:1], s[18:19], v[0:1]
	s_and_b64 vcc, exec, s[2:3]
	s_cbranch_vccnz .LBB25_21
; %bb.9:
	s_and_saveexec_b64 s[22:23], s[0:1]
	s_cbranch_execz .LBB25_19
; %bb.10:
	v_mul_lo_u32 v8, v1, s20
	v_mul_lo_u32 v9, v0, s21
	v_mad_u64_u32 v[6:7], s[2:3], v0, s20, 0
	v_add3_u32 v7, v7, v9, v8
	v_lshl_add_u64 v[4:5], s[24:25], 0, v[2:3]
	v_lshl_add_u64 v[6:7], v[6:7], 1, s[14:15]
	v_cmp_gt_i64_e32 vcc, s[16:17], v[4:5]
	v_lshl_add_u64 v[8:9], v[4:5], 1, v[6:7]
	s_and_saveexec_b64 s[2:3], vcc
	s_cbranch_execz .LBB25_12
; %bb.11:
	v_mul_f16_e32 v10, s5, v15
	global_store_short v[8:9], v10, off
.LBB25_12:
	s_or_b64 exec, exec, s[2:3]
	v_lshl_add_u64 v[10:11], v[4:5], 0, 16
	v_cmp_gt_i64_e64 s[2:3], s[16:17], v[10:11]
	s_and_saveexec_b64 s[6:7], s[2:3]
	s_cbranch_execz .LBB25_14
; %bb.13:
	v_mul_f16_sdwa v10, s5, v15 dst_sel:DWORD dst_unused:UNUSED_PAD src0_sel:DWORD src1_sel:WORD_1
	global_store_short v[8:9], v10, off offset:32
.LBB25_14:
	s_or_b64 exec, exec, s[6:7]
	v_lshl_add_u64 v[8:9], v[0:1], 0, 16
	v_cmp_gt_i64_e64 s[6:7], s[18:19], v[8:9]
	s_and_b64 exec, exec, s[6:7]
	s_cbranch_execz .LBB25_19
; %bb.15:
	s_lshl_b64 s[6:7], s[20:21], 5
	v_lshl_add_u64 v[6:7], v[6:7], 0, s[6:7]
	v_lshl_add_u64 v[4:5], v[4:5], 1, v[6:7]
	s_and_saveexec_b64 s[6:7], vcc
	s_cbranch_execz .LBB25_17
; %bb.16:
	v_mul_f16_e32 v6, s5, v14
	global_store_short v[4:5], v6, off
.LBB25_17:
	s_or_b64 exec, exec, s[6:7]
	s_and_b64 exec, exec, s[2:3]
	s_cbranch_execz .LBB25_19
; %bb.18:
	v_mul_f16_sdwa v6, s5, v14 dst_sel:DWORD dst_unused:UNUSED_PAD src0_sel:DWORD src1_sel:WORD_1
	global_store_short v[4:5], v6, off offset:32
.LBB25_19:
	s_or_b64 exec, exec, s[22:23]
	s_cbranch_execz .LBB25_22
.LBB25_20:
	s_endpgm
.LBB25_21:
.LBB25_22:
	s_and_saveexec_b64 s[2:3], s[0:1]
	s_cbranch_execz .LBB25_20
; %bb.23:
	s_mul_i32 s0, s13, s4
	s_mul_hi_u32 s1, s12, s4
	s_add_i32 s1, s1, s0
	s_mul_i32 s0, s12, s4
	s_lshl_b64 s[0:1], s[0:1], 1
	v_lshl_add_u64 v[8:9], s[24:25], 0, v[2:3]
	v_mul_lo_u32 v4, v1, s10
	v_mul_lo_u32 v5, v0, s11
	v_mad_u64_u32 v[2:3], s[2:3], v0, s10, 0
	s_add_u32 s0, s8, s0
	v_add3_u32 v3, v3, v5, v4
	v_mul_lo_u32 v6, v1, s20
	v_mul_lo_u32 v7, v0, s21
	v_mad_u64_u32 v[4:5], s[2:3], v0, s20, 0
	s_addc_u32 s1, s9, s1
	v_add3_u32 v5, v5, v7, v6
	v_cmp_gt_i64_e32 vcc, s[16:17], v[8:9]
	v_lshl_add_u64 v[6:7], v[2:3], 1, s[0:1]
	v_lshl_add_u64 v[4:5], v[4:5], 1, s[14:15]
	v_lshlrev_b64 v[2:3], 1, v[8:9]
	s_and_saveexec_b64 s[0:1], vcc
	s_cbranch_execz .LBB25_25
; %bb.24:
	v_lshl_add_u64 v[10:11], v[6:7], 0, v[2:3]
	global_load_ushort v10, v[10:11], off
	s_waitcnt vmcnt(0)
	v_mul_f16_e32 v10, s28, v10
	v_fma_f16 v12, s5, v15, v10
	v_lshl_add_u64 v[10:11], v[4:5], 0, v[2:3]
	global_store_short v[10:11], v12, off
.LBB25_25:
	s_or_b64 exec, exec, s[0:1]
	v_lshl_add_u64 v[8:9], v[8:9], 0, 16
	v_cmp_gt_i64_e64 s[0:1], s[16:17], v[8:9]
	s_and_saveexec_b64 s[2:3], s[0:1]
	s_cbranch_execz .LBB25_27
; %bb.26:
	v_lshl_add_u64 v[8:9], v[6:7], 0, v[2:3]
	global_load_ushort v8, v[8:9], off offset:32
	v_lshrrev_b32_e32 v9, 16, v15
	s_waitcnt vmcnt(0)
	v_mul_f16_e32 v8, s28, v8
	v_fma_f16 v10, s5, v9, v8
	v_lshl_add_u64 v[8:9], v[4:5], 0, v[2:3]
	global_store_short v[8:9], v10, off offset:32
.LBB25_27:
	s_or_b64 exec, exec, s[2:3]
	v_lshl_add_u64 v[0:1], v[0:1], 0, 16
	v_cmp_gt_i64_e64 s[2:3], s[18:19], v[0:1]
	s_and_b64 exec, exec, s[2:3]
	s_cbranch_execz .LBB25_20
; %bb.28:
	s_lshl_b64 s[2:3], s[10:11], 5
	v_lshl_add_u64 v[0:1], v[6:7], 0, s[2:3]
	s_lshl_b64 s[2:3], s[20:21], 5
	v_lshl_add_u64 v[6:7], v[4:5], 0, s[2:3]
	v_lshl_add_u64 v[4:5], v[0:1], 0, v[2:3]
	v_lshl_add_u64 v[0:1], v[6:7], 0, v[2:3]
	s_and_saveexec_b64 s[2:3], vcc
	s_cbranch_execz .LBB25_30
; %bb.29:
	global_load_ushort v2, v[4:5], off
	s_waitcnt vmcnt(0)
	v_mul_f16_e32 v2, s28, v2
	v_fma_f16 v2, s5, v14, v2
	global_store_short v[0:1], v2, off
.LBB25_30:
	s_or_b64 exec, exec, s[2:3]
	s_and_b64 exec, exec, s[0:1]
	s_cbranch_execz .LBB25_20
; %bb.31:
	global_load_ushort v2, v[4:5], off offset:32
	v_lshrrev_b32_e32 v3, 16, v14
	s_waitcnt vmcnt(0)
	v_mul_f16_e32 v2, s28, v2
	v_fma_f16 v2, s5, v3, v2
	global_store_short v[0:1], v2, off offset:32
	s_endpgm
	.section	.rodata,"a",@progbits
	.p2align	6, 0x0
	.amdhsa_kernel _ZN12_GLOBAL__N_135rocblas_gemm_batched_general_kernelIDF16_Li16ELi16ELi32ELi32ELi8ELi32ELi8ELi8ELi32ELc67ELc78EKDF16_S1_DF16_EEvlllT_PT11_llS4_llS2_PT12_llPT13_lli
		.amdhsa_group_segment_fixed_size 1024
		.amdhsa_private_segment_fixed_size 0
		.amdhsa_kernarg_size 140
		.amdhsa_user_sgpr_count 2
		.amdhsa_user_sgpr_dispatch_ptr 0
		.amdhsa_user_sgpr_queue_ptr 0
		.amdhsa_user_sgpr_kernarg_segment_ptr 1
		.amdhsa_user_sgpr_dispatch_id 0
		.amdhsa_user_sgpr_kernarg_preload_length 0
		.amdhsa_user_sgpr_kernarg_preload_offset 0
		.amdhsa_user_sgpr_private_segment_size 0
		.amdhsa_uses_dynamic_stack 0
		.amdhsa_enable_private_segment 0
		.amdhsa_system_sgpr_workgroup_id_x 1
		.amdhsa_system_sgpr_workgroup_id_y 1
		.amdhsa_system_sgpr_workgroup_id_z 1
		.amdhsa_system_sgpr_workgroup_info 0
		.amdhsa_system_vgpr_workitem_id 1
		.amdhsa_next_free_vgpr 44
		.amdhsa_next_free_sgpr 32
		.amdhsa_accum_offset 44
		.amdhsa_reserve_vcc 1
		.amdhsa_float_round_mode_32 0
		.amdhsa_float_round_mode_16_64 0
		.amdhsa_float_denorm_mode_32 3
		.amdhsa_float_denorm_mode_16_64 3
		.amdhsa_dx10_clamp 1
		.amdhsa_ieee_mode 1
		.amdhsa_fp16_overflow 0
		.amdhsa_tg_split 0
		.amdhsa_exception_fp_ieee_invalid_op 0
		.amdhsa_exception_fp_denorm_src 0
		.amdhsa_exception_fp_ieee_div_zero 0
		.amdhsa_exception_fp_ieee_overflow 0
		.amdhsa_exception_fp_ieee_underflow 0
		.amdhsa_exception_fp_ieee_inexact 0
		.amdhsa_exception_int_div_zero 0
	.end_amdhsa_kernel
	.section	.text._ZN12_GLOBAL__N_135rocblas_gemm_batched_general_kernelIDF16_Li16ELi16ELi32ELi32ELi8ELi32ELi8ELi8ELi32ELc67ELc78EKDF16_S1_DF16_EEvlllT_PT11_llS4_llS2_PT12_llPT13_lli,"axG",@progbits,_ZN12_GLOBAL__N_135rocblas_gemm_batched_general_kernelIDF16_Li16ELi16ELi32ELi32ELi8ELi32ELi8ELi8ELi32ELc67ELc78EKDF16_S1_DF16_EEvlllT_PT11_llS4_llS2_PT12_llPT13_lli,comdat
.Lfunc_end25:
	.size	_ZN12_GLOBAL__N_135rocblas_gemm_batched_general_kernelIDF16_Li16ELi16ELi32ELi32ELi8ELi32ELi8ELi8ELi32ELc67ELc78EKDF16_S1_DF16_EEvlllT_PT11_llS4_llS2_PT12_llPT13_lli, .Lfunc_end25-_ZN12_GLOBAL__N_135rocblas_gemm_batched_general_kernelIDF16_Li16ELi16ELi32ELi32ELi8ELi32ELi8ELi8ELi32ELc67ELc78EKDF16_S1_DF16_EEvlllT_PT11_llS4_llS2_PT12_llPT13_lli
                                        ; -- End function
	.set _ZN12_GLOBAL__N_135rocblas_gemm_batched_general_kernelIDF16_Li16ELi16ELi32ELi32ELi8ELi32ELi8ELi8ELi32ELc67ELc78EKDF16_S1_DF16_EEvlllT_PT11_llS4_llS2_PT12_llPT13_lli.num_vgpr, 44
	.set _ZN12_GLOBAL__N_135rocblas_gemm_batched_general_kernelIDF16_Li16ELi16ELi32ELi32ELi8ELi32ELi8ELi8ELi32ELc67ELc78EKDF16_S1_DF16_EEvlllT_PT11_llS4_llS2_PT12_llPT13_lli.num_agpr, 0
	.set _ZN12_GLOBAL__N_135rocblas_gemm_batched_general_kernelIDF16_Li16ELi16ELi32ELi32ELi8ELi32ELi8ELi8ELi32ELc67ELc78EKDF16_S1_DF16_EEvlllT_PT11_llS4_llS2_PT12_llPT13_lli.numbered_sgpr, 32
	.set _ZN12_GLOBAL__N_135rocblas_gemm_batched_general_kernelIDF16_Li16ELi16ELi32ELi32ELi8ELi32ELi8ELi8ELi32ELc67ELc78EKDF16_S1_DF16_EEvlllT_PT11_llS4_llS2_PT12_llPT13_lli.num_named_barrier, 0
	.set _ZN12_GLOBAL__N_135rocblas_gemm_batched_general_kernelIDF16_Li16ELi16ELi32ELi32ELi8ELi32ELi8ELi8ELi32ELc67ELc78EKDF16_S1_DF16_EEvlllT_PT11_llS4_llS2_PT12_llPT13_lli.private_seg_size, 0
	.set _ZN12_GLOBAL__N_135rocblas_gemm_batched_general_kernelIDF16_Li16ELi16ELi32ELi32ELi8ELi32ELi8ELi8ELi32ELc67ELc78EKDF16_S1_DF16_EEvlllT_PT11_llS4_llS2_PT12_llPT13_lli.uses_vcc, 1
	.set _ZN12_GLOBAL__N_135rocblas_gemm_batched_general_kernelIDF16_Li16ELi16ELi32ELi32ELi8ELi32ELi8ELi8ELi32ELc67ELc78EKDF16_S1_DF16_EEvlllT_PT11_llS4_llS2_PT12_llPT13_lli.uses_flat_scratch, 0
	.set _ZN12_GLOBAL__N_135rocblas_gemm_batched_general_kernelIDF16_Li16ELi16ELi32ELi32ELi8ELi32ELi8ELi8ELi32ELc67ELc78EKDF16_S1_DF16_EEvlllT_PT11_llS4_llS2_PT12_llPT13_lli.has_dyn_sized_stack, 0
	.set _ZN12_GLOBAL__N_135rocblas_gemm_batched_general_kernelIDF16_Li16ELi16ELi32ELi32ELi8ELi32ELi8ELi8ELi32ELc67ELc78EKDF16_S1_DF16_EEvlllT_PT11_llS4_llS2_PT12_llPT13_lli.has_recursion, 0
	.set _ZN12_GLOBAL__N_135rocblas_gemm_batched_general_kernelIDF16_Li16ELi16ELi32ELi32ELi8ELi32ELi8ELi8ELi32ELc67ELc78EKDF16_S1_DF16_EEvlllT_PT11_llS4_llS2_PT12_llPT13_lli.has_indirect_call, 0
	.section	.AMDGPU.csdata,"",@progbits
; Kernel info:
; codeLenInByte = 1700
; TotalNumSgprs: 38
; NumVgprs: 44
; NumAgprs: 0
; TotalNumVgprs: 44
; ScratchSize: 0
; MemoryBound: 0
; FloatMode: 240
; IeeeMode: 1
; LDSByteSize: 1024 bytes/workgroup (compile time only)
; SGPRBlocks: 4
; VGPRBlocks: 5
; NumSGPRsForWavesPerEU: 38
; NumVGPRsForWavesPerEU: 44
; AccumOffset: 44
; Occupancy: 8
; WaveLimiterHint : 0
; COMPUTE_PGM_RSRC2:SCRATCH_EN: 0
; COMPUTE_PGM_RSRC2:USER_SGPR: 2
; COMPUTE_PGM_RSRC2:TRAP_HANDLER: 0
; COMPUTE_PGM_RSRC2:TGID_X_EN: 1
; COMPUTE_PGM_RSRC2:TGID_Y_EN: 1
; COMPUTE_PGM_RSRC2:TGID_Z_EN: 1
; COMPUTE_PGM_RSRC2:TIDIG_COMP_CNT: 1
; COMPUTE_PGM_RSRC3_GFX90A:ACCUM_OFFSET: 10
; COMPUTE_PGM_RSRC3_GFX90A:TG_SPLIT: 0
	.section	.text._ZN12_GLOBAL__N_135rocblas_gemm_batched_general_kernelIDF16_Li16ELi16ELi32ELi32ELi8ELi32ELi8ELi8ELi32ELc67ELc84EKDF16_S1_DF16_EEvlllT_PT11_llS4_llS2_PT12_llPT13_lli,"axG",@progbits,_ZN12_GLOBAL__N_135rocblas_gemm_batched_general_kernelIDF16_Li16ELi16ELi32ELi32ELi8ELi32ELi8ELi8ELi32ELc67ELc84EKDF16_S1_DF16_EEvlllT_PT11_llS4_llS2_PT12_llPT13_lli,comdat
	.globl	_ZN12_GLOBAL__N_135rocblas_gemm_batched_general_kernelIDF16_Li16ELi16ELi32ELi32ELi8ELi32ELi8ELi8ELi32ELc67ELc84EKDF16_S1_DF16_EEvlllT_PT11_llS4_llS2_PT12_llPT13_lli ; -- Begin function _ZN12_GLOBAL__N_135rocblas_gemm_batched_general_kernelIDF16_Li16ELi16ELi32ELi32ELi8ELi32ELi8ELi8ELi32ELc67ELc84EKDF16_S1_DF16_EEvlllT_PT11_llS4_llS2_PT12_llPT13_lli
	.p2align	8
	.type	_ZN12_GLOBAL__N_135rocblas_gemm_batched_general_kernelIDF16_Li16ELi16ELi32ELi32ELi8ELi32ELi8ELi8ELi32ELc67ELc84EKDF16_S1_DF16_EEvlllT_PT11_llS4_llS2_PT12_llPT13_lli,@function
_ZN12_GLOBAL__N_135rocblas_gemm_batched_general_kernelIDF16_Li16ELi16ELi32ELi32ELi8ELi32ELi8ELi8ELi32ELc67ELc84EKDF16_S1_DF16_EEvlllT_PT11_llS4_llS2_PT12_llPT13_lli: ; @_ZN12_GLOBAL__N_135rocblas_gemm_batched_general_kernelIDF16_Li16ELi16ELi32ELi32ELi8ELi32ELi8ELi8ELi32ELc67ELc84EKDF16_S1_DF16_EEvlllT_PT11_llS4_llS2_PT12_llPT13_lli
; %bb.0:
	s_load_dwordx4 s[16:19], s[0:1], 0x0
	s_load_dwordx2 s[28:29], s[0:1], 0x10
	s_mov_b32 s30, s3
	s_ashr_i32 s3, s2, 31
	v_mov_b32_e32 v1, 0
	s_lshl_b64 s[24:25], s[2:3], 5
	s_ashr_i32 s31, s30, 31
	s_waitcnt lgkmcnt(0)
	v_cmp_lt_i64_e64 s[2:3], s[28:29], 1
	v_and_b32_e32 v2, 0x3ff, v0
	v_bfe_u32 v0, v0, 10, 10
	v_mov_b32_e32 v3, v1
	s_lshl_b64 s[26:27], s[30:31], 5
	s_and_b64 vcc, exec, s[2:3]
	s_cbranch_vccnz .LBB26_7
; %bb.1:
	s_load_dwordx8 s[8:15], s[0:1], 0x20
	s_load_dwordx4 s[20:23], s[0:1], 0x40
	v_lshlrev_b32_e32 v19, 4, v0
	v_add_u32_e32 v12, v19, v2
	v_lshrrev_b32_e32 v8, 3, v12
	v_mov_b32_e32 v9, v1
	v_lshrrev_b32_e32 v4, 5, v12
	v_and_b32_e32 v6, 7, v2
	v_lshl_add_u64 v[10:11], v[8:9], 0, s[26:27]
	v_and_b32_e32 v12, 31, v12
	s_waitcnt lgkmcnt(0)
	s_mul_i32 s5, s23, s4
	s_mul_hi_u32 s23, s22, s4
	v_or_b32_e32 v14, s24, v12
	v_mov_b32_e32 v15, s25
	v_cmp_gt_i64_e64 s[6:7], s[18:19], v[10:11]
	s_add_i32 s23, s23, s5
	s_mul_i32 s22, s22, s4
	v_mad_u64_u32 v[10:11], s[34:35], s20, v6, 0
	v_cmp_gt_i64_e64 s[2:3], s[16:17], v[14:15]
	v_lshlrev_b32_e32 v9, 1, v12
	s_lshl_b64 s[22:23], s[22:23], 1
	v_mov_b32_e32 v14, v11
	s_lshl_b64 s[30:31], s[30:31], 6
	v_lshl_or_b32 v16, v4, 6, v9
	v_lshlrev_b32_e32 v9, 1, v6
	v_mad_u64_u32 v[14:15], s[34:35], s21, v6, v[14:15]
	s_add_u32 s22, s30, s22
	v_lshl_or_b32 v9, v8, 4, v9
	v_mov_b32_e32 v11, v14
	s_addc_u32 s23, s31, s23
	v_mov_b32_e32 v13, v1
	v_add_u32_e32 v17, 0x200, v9
	v_lshl_add_u64 v[10:11], v[10:11], 1, s[22:23]
	v_lshlrev_b32_e32 v8, 1, v8
	v_mov_b32_e32 v9, v1
	v_lshl_add_u64 v[8:9], v[10:11], 0, v[8:9]
	v_lshl_add_u64 v[10:11], s[24:25], 0, v[12:13]
	v_mul_lo_u32 v12, s11, v10
	v_mul_lo_u32 v13, s10, v11
	v_mad_u64_u32 v[10:11], s[10:11], s10, v10, 0
	s_mul_i32 s5, s13, s4
	s_mul_hi_u32 s10, s12, s4
	s_add_i32 s11, s10, s5
	s_mul_i32 s10, s12, s4
	v_add3_u32 v11, v11, v13, v12
	s_lshl_b64 s[10:11], s[10:11], 1
	v_lshl_add_u64 v[10:11], v[10:11], 1, s[10:11]
	v_lshlrev_b32_e32 v12, 1, v4
	v_mov_b32_e32 v13, v1
	v_lshl_add_u64 v[10:11], v[10:11], 0, v[12:13]
	v_mov_b32_e32 v5, v1
	v_mov_b32_e32 v7, v1
	v_lshlrev_b32_e32 v18, 1, v2
	v_add_u32_e32 v19, 0x200, v19
	v_lshl_add_u64 v[8:9], s[14:15], 0, v[8:9]
	s_lshl_b64 s[14:15], s[20:21], 4
	v_lshl_add_u64 v[10:11], s[8:9], 0, v[10:11]
	s_mov_b64 s[8:9], 0
	s_mov_b32 s5, 0x5040100
	v_mov_b64_e32 v[12:13], s[28:29]
	v_mov_b32_e32 v15, v1
	v_mov_b32_e32 v14, v1
	s_branch .LBB26_3
.LBB26_2:                               ;   in Loop: Header=BB26_3 Depth=1
	s_or_b64 exec, exec, s[10:11]
	s_waitcnt vmcnt(0)
	ds_write_b16 v17, v20
	s_waitcnt lgkmcnt(0)
	s_barrier
	ds_read_u16 v28, v18
	ds_read_u16 v29, v18 offset:32
	ds_read_u16 v30, v18 offset:64
	ds_read_u16 v31, v18 offset:96
	ds_read_u16 v32, v18 offset:128
	ds_read_u16 v33, v18 offset:160
	ds_read_u16 v34, v18 offset:192
	ds_read_u16 v35, v18 offset:224
	ds_read_b128 v[20:23], v19
	ds_read_b128 v[24:27], v19 offset:256
	ds_read_u16 v36, v18 offset:256
	ds_read_u16 v37, v18 offset:288
	;; [unrolled: 1-line block ×8, first 2 shown]
	s_waitcnt lgkmcnt(14)
	v_perm_b32 v28, v29, v28, s5
	s_waitcnt lgkmcnt(8)
	v_pk_fma_f16 v14, v28, v24, v14 op_sel_hi:[1,0,1]
	v_pk_fma_f16 v15, v28, v20, v15 op_sel_hi:[1,0,1]
	v_perm_b32 v28, v31, v30, s5
	v_pk_fma_f16 v15, v28, v20, v15 op_sel:[0,1,0]
	v_pk_fma_f16 v14, v28, v24, v14 op_sel:[0,1,0]
	v_perm_b32 v20, v33, v32, s5
	v_pk_fma_f16 v14, v20, v25, v14 op_sel_hi:[1,0,1]
	v_pk_fma_f16 v15, v20, v21, v15 op_sel_hi:[1,0,1]
	v_perm_b32 v20, v35, v34, s5
	v_pk_fma_f16 v15, v20, v21, v15 op_sel:[0,1,0]
	v_pk_fma_f16 v14, v20, v25, v14 op_sel:[0,1,0]
	s_waitcnt lgkmcnt(6)
	v_perm_b32 v20, v37, v36, s5
	v_pk_fma_f16 v14, v20, v26, v14 op_sel_hi:[1,0,1]
	v_pk_fma_f16 v15, v20, v22, v15 op_sel_hi:[1,0,1]
	s_waitcnt lgkmcnt(4)
	v_perm_b32 v20, v39, v38, s5
	s_add_u32 s8, s8, 8
	v_pk_fma_f16 v15, v20, v22, v15 op_sel:[0,1,0]
	v_pk_fma_f16 v14, v20, v26, v14 op_sel:[0,1,0]
	s_waitcnt lgkmcnt(2)
	v_perm_b32 v20, v41, v40, s5
	s_addc_u32 s9, s9, 0
	v_pk_fma_f16 v14, v20, v27, v14 op_sel_hi:[1,0,1]
	v_pk_fma_f16 v15, v20, v23, v15 op_sel_hi:[1,0,1]
	s_waitcnt lgkmcnt(0)
	v_perm_b32 v20, v43, v42, s5
	v_cmp_lt_i64_e32 vcc, s[8:9], v[12:13]
	v_pk_fma_f16 v15, v20, v23, v15 op_sel:[0,1,0]
	v_pk_fma_f16 v14, v20, v27, v14 op_sel:[0,1,0]
	v_lshl_add_u64 v[8:9], v[8:9], 0, s[14:15]
	v_lshl_add_u64 v[10:11], v[10:11], 0, 16
	s_barrier
	s_cbranch_vccz .LBB26_8
.LBB26_3:                               ; =>This Inner Loop Header: Depth=1
	v_lshl_add_u64 v[20:21], v[4:5], 0, s[8:9]
	v_cmp_gt_i64_e32 vcc, s[28:29], v[20:21]
	s_and_b64 s[12:13], s[2:3], vcc
	v_mov_b32_e32 v20, 0
	v_mov_b32_e32 v21, 0
	s_and_saveexec_b64 s[10:11], s[12:13]
	s_cbranch_execz .LBB26_5
; %bb.4:                                ;   in Loop: Header=BB26_3 Depth=1
	global_load_ushort v21, v[10:11], off
.LBB26_5:                               ;   in Loop: Header=BB26_3 Depth=1
	s_or_b64 exec, exec, s[10:11]
	v_lshl_add_u64 v[22:23], v[6:7], 0, s[8:9]
	v_cmp_gt_i64_e32 vcc, s[28:29], v[22:23]
	s_and_b64 s[12:13], vcc, s[6:7]
	s_waitcnt vmcnt(0)
	ds_write_b16 v16, v21
	s_and_saveexec_b64 s[10:11], s[12:13]
	s_cbranch_execz .LBB26_2
; %bb.6:                                ;   in Loop: Header=BB26_3 Depth=1
	global_load_ushort v20, v[8:9], off
	s_branch .LBB26_2
.LBB26_7:
	v_mov_b32_e32 v14, v1
	v_mov_b32_e32 v15, v1
.LBB26_8:
	s_load_dwordx4 s[20:23], s[0:1], 0x78
	s_load_dword s5, s[0:1], 0x18
	s_load_dword s28, s[0:1], 0x50
	s_load_dwordx8 s[8:15], s[0:1], 0x58
	v_lshl_add_u64 v[0:1], s[26:27], 0, v[0:1]
	s_waitcnt lgkmcnt(0)
	s_mul_i32 s0, s23, s4
	s_mul_hi_u32 s1, s22, s4
	s_add_i32 s1, s1, s0
	s_mul_i32 s0, s22, s4
	s_lshl_b64 s[0:1], s[0:1], 1
	s_add_u32 s14, s14, s0
	v_cmp_neq_f16_e64 s[2:3], s28, 0
	s_addc_u32 s15, s15, s1
	v_cmp_gt_i64_e64 s[0:1], s[18:19], v[0:1]
	s_and_b64 vcc, exec, s[2:3]
	s_cbranch_vccnz .LBB26_21
; %bb.9:
	s_and_saveexec_b64 s[22:23], s[0:1]
	s_cbranch_execz .LBB26_19
; %bb.10:
	v_mul_lo_u32 v8, v1, s20
	v_mul_lo_u32 v9, v0, s21
	v_mad_u64_u32 v[6:7], s[2:3], v0, s20, 0
	v_add3_u32 v7, v7, v9, v8
	v_lshl_add_u64 v[4:5], s[24:25], 0, v[2:3]
	v_lshl_add_u64 v[6:7], v[6:7], 1, s[14:15]
	v_cmp_gt_i64_e32 vcc, s[16:17], v[4:5]
	v_lshl_add_u64 v[8:9], v[4:5], 1, v[6:7]
	s_and_saveexec_b64 s[2:3], vcc
	s_cbranch_execz .LBB26_12
; %bb.11:
	v_mul_f16_e32 v10, s5, v15
	global_store_short v[8:9], v10, off
.LBB26_12:
	s_or_b64 exec, exec, s[2:3]
	v_lshl_add_u64 v[10:11], v[4:5], 0, 16
	v_cmp_gt_i64_e64 s[2:3], s[16:17], v[10:11]
	s_and_saveexec_b64 s[6:7], s[2:3]
	s_cbranch_execz .LBB26_14
; %bb.13:
	v_mul_f16_sdwa v10, s5, v15 dst_sel:DWORD dst_unused:UNUSED_PAD src0_sel:DWORD src1_sel:WORD_1
	global_store_short v[8:9], v10, off offset:32
.LBB26_14:
	s_or_b64 exec, exec, s[6:7]
	v_lshl_add_u64 v[8:9], v[0:1], 0, 16
	v_cmp_gt_i64_e64 s[6:7], s[18:19], v[8:9]
	s_and_b64 exec, exec, s[6:7]
	s_cbranch_execz .LBB26_19
; %bb.15:
	s_lshl_b64 s[6:7], s[20:21], 5
	v_lshl_add_u64 v[6:7], v[6:7], 0, s[6:7]
	v_lshl_add_u64 v[4:5], v[4:5], 1, v[6:7]
	s_and_saveexec_b64 s[6:7], vcc
	s_cbranch_execz .LBB26_17
; %bb.16:
	v_mul_f16_e32 v6, s5, v14
	global_store_short v[4:5], v6, off
.LBB26_17:
	s_or_b64 exec, exec, s[6:7]
	s_and_b64 exec, exec, s[2:3]
	s_cbranch_execz .LBB26_19
; %bb.18:
	v_mul_f16_sdwa v6, s5, v14 dst_sel:DWORD dst_unused:UNUSED_PAD src0_sel:DWORD src1_sel:WORD_1
	global_store_short v[4:5], v6, off offset:32
.LBB26_19:
	s_or_b64 exec, exec, s[22:23]
	s_cbranch_execz .LBB26_22
.LBB26_20:
	s_endpgm
.LBB26_21:
.LBB26_22:
	s_and_saveexec_b64 s[2:3], s[0:1]
	s_cbranch_execz .LBB26_20
; %bb.23:
	s_mul_i32 s0, s13, s4
	s_mul_hi_u32 s1, s12, s4
	s_add_i32 s1, s1, s0
	s_mul_i32 s0, s12, s4
	s_lshl_b64 s[0:1], s[0:1], 1
	v_lshl_add_u64 v[8:9], s[24:25], 0, v[2:3]
	v_mul_lo_u32 v4, v1, s10
	v_mul_lo_u32 v5, v0, s11
	v_mad_u64_u32 v[2:3], s[2:3], v0, s10, 0
	s_add_u32 s0, s8, s0
	v_add3_u32 v3, v3, v5, v4
	v_mul_lo_u32 v6, v1, s20
	v_mul_lo_u32 v7, v0, s21
	v_mad_u64_u32 v[4:5], s[2:3], v0, s20, 0
	s_addc_u32 s1, s9, s1
	v_add3_u32 v5, v5, v7, v6
	v_cmp_gt_i64_e32 vcc, s[16:17], v[8:9]
	v_lshl_add_u64 v[6:7], v[2:3], 1, s[0:1]
	v_lshl_add_u64 v[4:5], v[4:5], 1, s[14:15]
	v_lshlrev_b64 v[2:3], 1, v[8:9]
	s_and_saveexec_b64 s[0:1], vcc
	s_cbranch_execz .LBB26_25
; %bb.24:
	v_lshl_add_u64 v[10:11], v[6:7], 0, v[2:3]
	global_load_ushort v10, v[10:11], off
	s_waitcnt vmcnt(0)
	v_mul_f16_e32 v10, s28, v10
	v_fma_f16 v12, s5, v15, v10
	v_lshl_add_u64 v[10:11], v[4:5], 0, v[2:3]
	global_store_short v[10:11], v12, off
.LBB26_25:
	s_or_b64 exec, exec, s[0:1]
	v_lshl_add_u64 v[8:9], v[8:9], 0, 16
	v_cmp_gt_i64_e64 s[0:1], s[16:17], v[8:9]
	s_and_saveexec_b64 s[2:3], s[0:1]
	s_cbranch_execz .LBB26_27
; %bb.26:
	v_lshl_add_u64 v[8:9], v[6:7], 0, v[2:3]
	global_load_ushort v8, v[8:9], off offset:32
	v_lshrrev_b32_e32 v9, 16, v15
	s_waitcnt vmcnt(0)
	v_mul_f16_e32 v8, s28, v8
	v_fma_f16 v10, s5, v9, v8
	v_lshl_add_u64 v[8:9], v[4:5], 0, v[2:3]
	global_store_short v[8:9], v10, off offset:32
.LBB26_27:
	s_or_b64 exec, exec, s[2:3]
	v_lshl_add_u64 v[0:1], v[0:1], 0, 16
	v_cmp_gt_i64_e64 s[2:3], s[18:19], v[0:1]
	s_and_b64 exec, exec, s[2:3]
	s_cbranch_execz .LBB26_20
; %bb.28:
	s_lshl_b64 s[2:3], s[10:11], 5
	v_lshl_add_u64 v[0:1], v[6:7], 0, s[2:3]
	s_lshl_b64 s[2:3], s[20:21], 5
	v_lshl_add_u64 v[6:7], v[4:5], 0, s[2:3]
	v_lshl_add_u64 v[4:5], v[0:1], 0, v[2:3]
	;; [unrolled: 1-line block ×3, first 2 shown]
	s_and_saveexec_b64 s[2:3], vcc
	s_cbranch_execz .LBB26_30
; %bb.29:
	global_load_ushort v2, v[4:5], off
	s_waitcnt vmcnt(0)
	v_mul_f16_e32 v2, s28, v2
	v_fma_f16 v2, s5, v14, v2
	global_store_short v[0:1], v2, off
.LBB26_30:
	s_or_b64 exec, exec, s[2:3]
	s_and_b64 exec, exec, s[0:1]
	s_cbranch_execz .LBB26_20
; %bb.31:
	global_load_ushort v2, v[4:5], off offset:32
	v_lshrrev_b32_e32 v3, 16, v14
	s_waitcnt vmcnt(0)
	v_mul_f16_e32 v2, s28, v2
	v_fma_f16 v2, s5, v3, v2
	global_store_short v[0:1], v2, off offset:32
	s_endpgm
	.section	.rodata,"a",@progbits
	.p2align	6, 0x0
	.amdhsa_kernel _ZN12_GLOBAL__N_135rocblas_gemm_batched_general_kernelIDF16_Li16ELi16ELi32ELi32ELi8ELi32ELi8ELi8ELi32ELc67ELc84EKDF16_S1_DF16_EEvlllT_PT11_llS4_llS2_PT12_llPT13_lli
		.amdhsa_group_segment_fixed_size 1024
		.amdhsa_private_segment_fixed_size 0
		.amdhsa_kernarg_size 140
		.amdhsa_user_sgpr_count 2
		.amdhsa_user_sgpr_dispatch_ptr 0
		.amdhsa_user_sgpr_queue_ptr 0
		.amdhsa_user_sgpr_kernarg_segment_ptr 1
		.amdhsa_user_sgpr_dispatch_id 0
		.amdhsa_user_sgpr_kernarg_preload_length 0
		.amdhsa_user_sgpr_kernarg_preload_offset 0
		.amdhsa_user_sgpr_private_segment_size 0
		.amdhsa_uses_dynamic_stack 0
		.amdhsa_enable_private_segment 0
		.amdhsa_system_sgpr_workgroup_id_x 1
		.amdhsa_system_sgpr_workgroup_id_y 1
		.amdhsa_system_sgpr_workgroup_id_z 1
		.amdhsa_system_sgpr_workgroup_info 0
		.amdhsa_system_vgpr_workitem_id 1
		.amdhsa_next_free_vgpr 44
		.amdhsa_next_free_sgpr 36
		.amdhsa_accum_offset 44
		.amdhsa_reserve_vcc 1
		.amdhsa_float_round_mode_32 0
		.amdhsa_float_round_mode_16_64 0
		.amdhsa_float_denorm_mode_32 3
		.amdhsa_float_denorm_mode_16_64 3
		.amdhsa_dx10_clamp 1
		.amdhsa_ieee_mode 1
		.amdhsa_fp16_overflow 0
		.amdhsa_tg_split 0
		.amdhsa_exception_fp_ieee_invalid_op 0
		.amdhsa_exception_fp_denorm_src 0
		.amdhsa_exception_fp_ieee_div_zero 0
		.amdhsa_exception_fp_ieee_overflow 0
		.amdhsa_exception_fp_ieee_underflow 0
		.amdhsa_exception_fp_ieee_inexact 0
		.amdhsa_exception_int_div_zero 0
	.end_amdhsa_kernel
	.section	.text._ZN12_GLOBAL__N_135rocblas_gemm_batched_general_kernelIDF16_Li16ELi16ELi32ELi32ELi8ELi32ELi8ELi8ELi32ELc67ELc84EKDF16_S1_DF16_EEvlllT_PT11_llS4_llS2_PT12_llPT13_lli,"axG",@progbits,_ZN12_GLOBAL__N_135rocblas_gemm_batched_general_kernelIDF16_Li16ELi16ELi32ELi32ELi8ELi32ELi8ELi8ELi32ELc67ELc84EKDF16_S1_DF16_EEvlllT_PT11_llS4_llS2_PT12_llPT13_lli,comdat
.Lfunc_end26:
	.size	_ZN12_GLOBAL__N_135rocblas_gemm_batched_general_kernelIDF16_Li16ELi16ELi32ELi32ELi8ELi32ELi8ELi8ELi32ELc67ELc84EKDF16_S1_DF16_EEvlllT_PT11_llS4_llS2_PT12_llPT13_lli, .Lfunc_end26-_ZN12_GLOBAL__N_135rocblas_gemm_batched_general_kernelIDF16_Li16ELi16ELi32ELi32ELi8ELi32ELi8ELi8ELi32ELc67ELc84EKDF16_S1_DF16_EEvlllT_PT11_llS4_llS2_PT12_llPT13_lli
                                        ; -- End function
	.set _ZN12_GLOBAL__N_135rocblas_gemm_batched_general_kernelIDF16_Li16ELi16ELi32ELi32ELi8ELi32ELi8ELi8ELi32ELc67ELc84EKDF16_S1_DF16_EEvlllT_PT11_llS4_llS2_PT12_llPT13_lli.num_vgpr, 44
	.set _ZN12_GLOBAL__N_135rocblas_gemm_batched_general_kernelIDF16_Li16ELi16ELi32ELi32ELi8ELi32ELi8ELi8ELi32ELc67ELc84EKDF16_S1_DF16_EEvlllT_PT11_llS4_llS2_PT12_llPT13_lli.num_agpr, 0
	.set _ZN12_GLOBAL__N_135rocblas_gemm_batched_general_kernelIDF16_Li16ELi16ELi32ELi32ELi8ELi32ELi8ELi8ELi32ELc67ELc84EKDF16_S1_DF16_EEvlllT_PT11_llS4_llS2_PT12_llPT13_lli.numbered_sgpr, 36
	.set _ZN12_GLOBAL__N_135rocblas_gemm_batched_general_kernelIDF16_Li16ELi16ELi32ELi32ELi8ELi32ELi8ELi8ELi32ELc67ELc84EKDF16_S1_DF16_EEvlllT_PT11_llS4_llS2_PT12_llPT13_lli.num_named_barrier, 0
	.set _ZN12_GLOBAL__N_135rocblas_gemm_batched_general_kernelIDF16_Li16ELi16ELi32ELi32ELi8ELi32ELi8ELi8ELi32ELc67ELc84EKDF16_S1_DF16_EEvlllT_PT11_llS4_llS2_PT12_llPT13_lli.private_seg_size, 0
	.set _ZN12_GLOBAL__N_135rocblas_gemm_batched_general_kernelIDF16_Li16ELi16ELi32ELi32ELi8ELi32ELi8ELi8ELi32ELc67ELc84EKDF16_S1_DF16_EEvlllT_PT11_llS4_llS2_PT12_llPT13_lli.uses_vcc, 1
	.set _ZN12_GLOBAL__N_135rocblas_gemm_batched_general_kernelIDF16_Li16ELi16ELi32ELi32ELi8ELi32ELi8ELi8ELi32ELc67ELc84EKDF16_S1_DF16_EEvlllT_PT11_llS4_llS2_PT12_llPT13_lli.uses_flat_scratch, 0
	.set _ZN12_GLOBAL__N_135rocblas_gemm_batched_general_kernelIDF16_Li16ELi16ELi32ELi32ELi8ELi32ELi8ELi8ELi32ELc67ELc84EKDF16_S1_DF16_EEvlllT_PT11_llS4_llS2_PT12_llPT13_lli.has_dyn_sized_stack, 0
	.set _ZN12_GLOBAL__N_135rocblas_gemm_batched_general_kernelIDF16_Li16ELi16ELi32ELi32ELi8ELi32ELi8ELi8ELi32ELc67ELc84EKDF16_S1_DF16_EEvlllT_PT11_llS4_llS2_PT12_llPT13_lli.has_recursion, 0
	.set _ZN12_GLOBAL__N_135rocblas_gemm_batched_general_kernelIDF16_Li16ELi16ELi32ELi32ELi8ELi32ELi8ELi8ELi32ELc67ELc84EKDF16_S1_DF16_EEvlllT_PT11_llS4_llS2_PT12_llPT13_lli.has_indirect_call, 0
	.section	.AMDGPU.csdata,"",@progbits
; Kernel info:
; codeLenInByte = 1716
; TotalNumSgprs: 42
; NumVgprs: 44
; NumAgprs: 0
; TotalNumVgprs: 44
; ScratchSize: 0
; MemoryBound: 0
; FloatMode: 240
; IeeeMode: 1
; LDSByteSize: 1024 bytes/workgroup (compile time only)
; SGPRBlocks: 5
; VGPRBlocks: 5
; NumSGPRsForWavesPerEU: 42
; NumVGPRsForWavesPerEU: 44
; AccumOffset: 44
; Occupancy: 8
; WaveLimiterHint : 0
; COMPUTE_PGM_RSRC2:SCRATCH_EN: 0
; COMPUTE_PGM_RSRC2:USER_SGPR: 2
; COMPUTE_PGM_RSRC2:TRAP_HANDLER: 0
; COMPUTE_PGM_RSRC2:TGID_X_EN: 1
; COMPUTE_PGM_RSRC2:TGID_Y_EN: 1
; COMPUTE_PGM_RSRC2:TGID_Z_EN: 1
; COMPUTE_PGM_RSRC2:TIDIG_COMP_CNT: 1
; COMPUTE_PGM_RSRC3_GFX90A:ACCUM_OFFSET: 10
; COMPUTE_PGM_RSRC3_GFX90A:TG_SPLIT: 0
	.section	.text._ZN12_GLOBAL__N_135rocblas_gemm_batched_general_kernelIDF16_Li16ELi16ELi32ELi32ELi8ELi32ELi8ELi8ELi32ELc78ELc67EKDF16_S1_DF16_EEvlllT_PT11_llS4_llS2_PT12_llPT13_lli,"axG",@progbits,_ZN12_GLOBAL__N_135rocblas_gemm_batched_general_kernelIDF16_Li16ELi16ELi32ELi32ELi8ELi32ELi8ELi8ELi32ELc78ELc67EKDF16_S1_DF16_EEvlllT_PT11_llS4_llS2_PT12_llPT13_lli,comdat
	.globl	_ZN12_GLOBAL__N_135rocblas_gemm_batched_general_kernelIDF16_Li16ELi16ELi32ELi32ELi8ELi32ELi8ELi8ELi32ELc78ELc67EKDF16_S1_DF16_EEvlllT_PT11_llS4_llS2_PT12_llPT13_lli ; -- Begin function _ZN12_GLOBAL__N_135rocblas_gemm_batched_general_kernelIDF16_Li16ELi16ELi32ELi32ELi8ELi32ELi8ELi8ELi32ELc78ELc67EKDF16_S1_DF16_EEvlllT_PT11_llS4_llS2_PT12_llPT13_lli
	.p2align	8
	.type	_ZN12_GLOBAL__N_135rocblas_gemm_batched_general_kernelIDF16_Li16ELi16ELi32ELi32ELi8ELi32ELi8ELi8ELi32ELc78ELc67EKDF16_S1_DF16_EEvlllT_PT11_llS4_llS2_PT12_llPT13_lli,@function
_ZN12_GLOBAL__N_135rocblas_gemm_batched_general_kernelIDF16_Li16ELi16ELi32ELi32ELi8ELi32ELi8ELi8ELi32ELc78ELc67EKDF16_S1_DF16_EEvlllT_PT11_llS4_llS2_PT12_llPT13_lli: ; @_ZN12_GLOBAL__N_135rocblas_gemm_batched_general_kernelIDF16_Li16ELi16ELi32ELi32ELi8ELi32ELi8ELi8ELi32ELc78ELc67EKDF16_S1_DF16_EEvlllT_PT11_llS4_llS2_PT12_llPT13_lli
; %bb.0:
	s_load_dwordx4 s[20:23], s[0:1], 0x0
	s_load_dwordx2 s[10:11], s[0:1], 0x10
	s_mov_b32 s34, s3
	v_mov_b32_e32 v1, 0
	s_ashr_i32 s3, s2, 31
	s_ashr_i32 s35, s34, 31
	s_waitcnt lgkmcnt(0)
	v_cmp_lt_i64_e64 s[6:7], s[10:11], 1
	v_and_b32_e32 v2, 0x3ff, v0
	v_bfe_u32 v0, v0, 10, 10
	v_mov_b32_e32 v3, v1
	s_lshl_b64 s[28:29], s[2:3], 5
	s_lshl_b64 s[30:31], s[34:35], 5
	s_and_b64 vcc, exec, s[6:7]
	s_cbranch_vccnz .LBB27_7
; %bb.1:
	s_load_dwordx8 s[12:19], s[0:1], 0x20
	s_load_dwordx4 s[24:27], s[0:1], 0x40
	v_lshlrev_b32_e32 v14, 4, v0
	v_add_u32_e32 v12, v14, v2
	v_lshrrev_b32_e32 v8, 3, v12
	v_mov_b32_e32 v9, v1
	v_and_b32_e32 v6, 7, v2
	v_lshl_add_u64 v[10:11], v[8:9], 0, s[30:31]
	s_waitcnt lgkmcnt(0)
	s_mul_i32 s5, s27, s4
	s_mul_hi_u32 s27, s26, s4
	v_and_b32_e32 v9, 31, v12
	v_cmp_gt_i64_e64 s[8:9], s[22:23], v[10:11]
	s_add_i32 s27, s27, s5
	s_mul_i32 s26, s26, s4
	v_mad_u64_u32 v[10:11], s[36:37], s24, v6, 0
	v_lshrrev_b32_e32 v4, 5, v12
	v_or_b32_e32 v12, s28, v9
	v_mov_b32_e32 v13, s29
	v_add_u32_e32 v19, 0x200, v14
	s_lshl_b64 s[26:27], s[26:27], 1
	v_mov_b32_e32 v14, v11
	s_lshl_b64 s[34:35], s[34:35], 6
	v_cmp_gt_i64_e64 s[6:7], s[20:21], v[12:13]
	v_lshlrev_b32_e32 v12, 1, v9
	v_lshlrev_b32_e32 v9, 1, v6
	v_mad_u64_u32 v[14:15], s[36:37], s25, v6, v[14:15]
	s_add_u32 s26, s34, s26
	v_lshl_or_b32 v9, v8, 4, v9
	v_mov_b32_e32 v11, v14
	s_addc_u32 s27, s35, s27
	v_add_u32_e32 v17, 0x200, v9
	v_lshl_add_u64 v[10:11], v[10:11], 1, s[26:27]
	v_lshlrev_b32_e32 v8, 1, v8
	v_mov_b32_e32 v9, v1
	v_lshl_add_u64 v[8:9], v[10:11], 0, v[8:9]
	s_mul_i32 s5, s17, s4
	s_mul_hi_u32 s17, s16, s4
	v_lshl_add_u64 v[8:9], s[18:19], 0, v[8:9]
	s_lshl_b64 s[18:19], s[24:25], 4
	v_mad_u64_u32 v[10:11], s[24:25], s14, v4, 0
	s_add_i32 s17, s17, s5
	s_mul_i32 s16, s16, s4
	v_mov_b32_e32 v14, v11
	s_lshl_b64 s[16:17], s[16:17], 1
	s_lshl_b64 s[2:3], s[2:3], 6
	v_mad_u64_u32 v[14:15], s[24:25], s15, v4, v[14:15]
	s_add_u32 s2, s2, s16
	v_mov_b32_e32 v11, v14
	s_addc_u32 s3, s3, s17
	v_lshl_add_u64 v[10:11], v[10:11], 1, s[2:3]
	v_mov_b32_e32 v13, v1
	v_lshl_add_u64 v[10:11], v[10:11], 0, v[12:13]
	v_mov_b32_e32 v5, v1
	v_mov_b32_e32 v7, v1
	v_lshl_or_b32 v16, v4, 6, v12
	v_lshlrev_b32_e32 v18, 1, v2
	v_lshl_add_u64 v[10:11], s[12:13], 0, v[10:11]
	s_lshl_b64 s[2:3], s[14:15], 4
	s_mov_b64 s[12:13], 0
	s_mov_b32 s5, 0x5040100
	v_mov_b64_e32 v[12:13], s[10:11]
	v_mov_b32_e32 v15, v1
	v_mov_b32_e32 v14, v1
	s_branch .LBB27_3
.LBB27_2:                               ;   in Loop: Header=BB27_3 Depth=1
	s_or_b64 exec, exec, s[14:15]
	s_waitcnt vmcnt(0)
	ds_write_b16 v17, v20
	s_waitcnt lgkmcnt(0)
	s_barrier
	ds_read_u16 v28, v18
	ds_read_u16 v29, v18 offset:32
	ds_read_u16 v30, v18 offset:64
	;; [unrolled: 1-line block ×7, first 2 shown]
	ds_read_b128 v[20:23], v19
	ds_read_b128 v[24:27], v19 offset:256
	ds_read_u16 v36, v18 offset:256
	ds_read_u16 v37, v18 offset:288
	;; [unrolled: 1-line block ×8, first 2 shown]
	s_waitcnt lgkmcnt(14)
	v_perm_b32 v28, v29, v28, s5
	s_waitcnt lgkmcnt(8)
	v_pk_fma_f16 v14, v28, v24, v14 op_sel_hi:[1,0,1]
	v_pk_fma_f16 v15, v28, v20, v15 op_sel_hi:[1,0,1]
	v_perm_b32 v28, v31, v30, s5
	v_pk_fma_f16 v15, v28, v20, v15 op_sel:[0,1,0]
	v_pk_fma_f16 v14, v28, v24, v14 op_sel:[0,1,0]
	v_perm_b32 v20, v33, v32, s5
	v_pk_fma_f16 v14, v20, v25, v14 op_sel_hi:[1,0,1]
	v_pk_fma_f16 v15, v20, v21, v15 op_sel_hi:[1,0,1]
	v_perm_b32 v20, v35, v34, s5
	v_pk_fma_f16 v15, v20, v21, v15 op_sel:[0,1,0]
	v_pk_fma_f16 v14, v20, v25, v14 op_sel:[0,1,0]
	s_waitcnt lgkmcnt(6)
	v_perm_b32 v20, v37, v36, s5
	v_pk_fma_f16 v14, v20, v26, v14 op_sel_hi:[1,0,1]
	v_pk_fma_f16 v15, v20, v22, v15 op_sel_hi:[1,0,1]
	s_waitcnt lgkmcnt(4)
	v_perm_b32 v20, v39, v38, s5
	s_add_u32 s12, s12, 8
	v_pk_fma_f16 v15, v20, v22, v15 op_sel:[0,1,0]
	v_pk_fma_f16 v14, v20, v26, v14 op_sel:[0,1,0]
	s_waitcnt lgkmcnt(2)
	v_perm_b32 v20, v41, v40, s5
	s_addc_u32 s13, s13, 0
	v_pk_fma_f16 v14, v20, v27, v14 op_sel_hi:[1,0,1]
	v_pk_fma_f16 v15, v20, v23, v15 op_sel_hi:[1,0,1]
	s_waitcnt lgkmcnt(0)
	v_perm_b32 v20, v43, v42, s5
	v_cmp_lt_i64_e32 vcc, s[12:13], v[12:13]
	v_pk_fma_f16 v15, v20, v23, v15 op_sel:[0,1,0]
	v_pk_fma_f16 v14, v20, v27, v14 op_sel:[0,1,0]
	v_lshl_add_u64 v[8:9], v[8:9], 0, s[18:19]
	v_lshl_add_u64 v[10:11], v[10:11], 0, s[2:3]
	s_barrier
	s_cbranch_vccz .LBB27_8
.LBB27_3:                               ; =>This Inner Loop Header: Depth=1
	v_lshl_add_u64 v[20:21], v[4:5], 0, s[12:13]
	v_cmp_gt_i64_e32 vcc, s[10:11], v[20:21]
	s_and_b64 s[16:17], s[6:7], vcc
	v_mov_b32_e32 v20, 0
	v_mov_b32_e32 v21, 0
	s_and_saveexec_b64 s[14:15], s[16:17]
	s_cbranch_execz .LBB27_5
; %bb.4:                                ;   in Loop: Header=BB27_3 Depth=1
	global_load_ushort v21, v[10:11], off
.LBB27_5:                               ;   in Loop: Header=BB27_3 Depth=1
	s_or_b64 exec, exec, s[14:15]
	v_lshl_add_u64 v[22:23], v[6:7], 0, s[12:13]
	v_cmp_gt_i64_e32 vcc, s[10:11], v[22:23]
	s_and_b64 s[16:17], vcc, s[8:9]
	s_waitcnt vmcnt(0)
	ds_write_b16 v16, v21
	s_and_saveexec_b64 s[14:15], s[16:17]
	s_cbranch_execz .LBB27_2
; %bb.6:                                ;   in Loop: Header=BB27_3 Depth=1
	global_load_ushort v20, v[8:9], off
	s_branch .LBB27_2
.LBB27_7:
	v_mov_b32_e32 v14, v1
	v_mov_b32_e32 v15, v1
.LBB27_8:
	s_load_dwordx4 s[16:19], s[0:1], 0x78
	s_load_dword s5, s[0:1], 0x18
	s_load_dword s24, s[0:1], 0x50
	s_load_dwordx8 s[8:15], s[0:1], 0x58
	v_lshl_add_u64 v[0:1], s[30:31], 0, v[0:1]
	s_waitcnt lgkmcnt(0)
	s_mul_i32 s0, s19, s4
	s_mul_hi_u32 s1, s18, s4
	s_add_i32 s1, s1, s0
	s_mul_i32 s0, s18, s4
	s_lshl_b64 s[0:1], s[0:1], 1
	s_add_u32 s14, s14, s0
	v_cmp_neq_f16_e64 s[2:3], s24, 0
	s_addc_u32 s15, s15, s1
	v_cmp_gt_i64_e64 s[0:1], s[22:23], v[0:1]
	s_and_b64 vcc, exec, s[2:3]
	s_cbranch_vccnz .LBB27_21
; %bb.9:
	s_and_saveexec_b64 s[18:19], s[0:1]
	s_cbranch_execz .LBB27_19
; %bb.10:
	v_mul_lo_u32 v8, v1, s16
	v_mul_lo_u32 v9, v0, s17
	v_mad_u64_u32 v[6:7], s[2:3], v0, s16, 0
	v_add3_u32 v7, v7, v9, v8
	v_lshl_add_u64 v[4:5], s[28:29], 0, v[2:3]
	v_lshl_add_u64 v[6:7], v[6:7], 1, s[14:15]
	v_cmp_gt_i64_e32 vcc, s[20:21], v[4:5]
	v_lshl_add_u64 v[8:9], v[4:5], 1, v[6:7]
	s_and_saveexec_b64 s[2:3], vcc
	s_cbranch_execz .LBB27_12
; %bb.11:
	v_mul_f16_e32 v10, s5, v15
	global_store_short v[8:9], v10, off
.LBB27_12:
	s_or_b64 exec, exec, s[2:3]
	v_lshl_add_u64 v[10:11], v[4:5], 0, 16
	v_cmp_gt_i64_e64 s[2:3], s[20:21], v[10:11]
	s_and_saveexec_b64 s[6:7], s[2:3]
	s_cbranch_execz .LBB27_14
; %bb.13:
	v_mul_f16_sdwa v10, s5, v15 dst_sel:DWORD dst_unused:UNUSED_PAD src0_sel:DWORD src1_sel:WORD_1
	global_store_short v[8:9], v10, off offset:32
.LBB27_14:
	s_or_b64 exec, exec, s[6:7]
	v_lshl_add_u64 v[8:9], v[0:1], 0, 16
	v_cmp_gt_i64_e64 s[6:7], s[22:23], v[8:9]
	s_and_b64 exec, exec, s[6:7]
	s_cbranch_execz .LBB27_19
; %bb.15:
	s_lshl_b64 s[6:7], s[16:17], 5
	v_lshl_add_u64 v[6:7], v[6:7], 0, s[6:7]
	v_lshl_add_u64 v[4:5], v[4:5], 1, v[6:7]
	s_and_saveexec_b64 s[6:7], vcc
	s_cbranch_execz .LBB27_17
; %bb.16:
	v_mul_f16_e32 v6, s5, v14
	global_store_short v[4:5], v6, off
.LBB27_17:
	s_or_b64 exec, exec, s[6:7]
	s_and_b64 exec, exec, s[2:3]
	s_cbranch_execz .LBB27_19
; %bb.18:
	v_mul_f16_sdwa v6, s5, v14 dst_sel:DWORD dst_unused:UNUSED_PAD src0_sel:DWORD src1_sel:WORD_1
	global_store_short v[4:5], v6, off offset:32
.LBB27_19:
	s_or_b64 exec, exec, s[18:19]
	s_cbranch_execz .LBB27_22
.LBB27_20:
	s_endpgm
.LBB27_21:
.LBB27_22:
	s_and_saveexec_b64 s[2:3], s[0:1]
	s_cbranch_execz .LBB27_20
; %bb.23:
	s_mul_i32 s0, s13, s4
	s_mul_hi_u32 s1, s12, s4
	s_add_i32 s1, s1, s0
	s_mul_i32 s0, s12, s4
	s_lshl_b64 s[0:1], s[0:1], 1
	v_lshl_add_u64 v[8:9], s[28:29], 0, v[2:3]
	v_mul_lo_u32 v4, v1, s10
	v_mul_lo_u32 v5, v0, s11
	v_mad_u64_u32 v[2:3], s[2:3], v0, s10, 0
	s_add_u32 s0, s8, s0
	v_add3_u32 v3, v3, v5, v4
	v_mul_lo_u32 v6, v1, s16
	v_mul_lo_u32 v7, v0, s17
	v_mad_u64_u32 v[4:5], s[2:3], v0, s16, 0
	s_addc_u32 s1, s9, s1
	v_add3_u32 v5, v5, v7, v6
	v_cmp_gt_i64_e32 vcc, s[20:21], v[8:9]
	v_lshl_add_u64 v[6:7], v[2:3], 1, s[0:1]
	v_lshl_add_u64 v[4:5], v[4:5], 1, s[14:15]
	v_lshlrev_b64 v[2:3], 1, v[8:9]
	s_and_saveexec_b64 s[0:1], vcc
	s_cbranch_execz .LBB27_25
; %bb.24:
	v_lshl_add_u64 v[10:11], v[6:7], 0, v[2:3]
	global_load_ushort v10, v[10:11], off
	s_waitcnt vmcnt(0)
	v_mul_f16_e32 v10, s24, v10
	v_fma_f16 v12, s5, v15, v10
	v_lshl_add_u64 v[10:11], v[4:5], 0, v[2:3]
	global_store_short v[10:11], v12, off
.LBB27_25:
	s_or_b64 exec, exec, s[0:1]
	v_lshl_add_u64 v[8:9], v[8:9], 0, 16
	v_cmp_gt_i64_e64 s[0:1], s[20:21], v[8:9]
	s_and_saveexec_b64 s[2:3], s[0:1]
	s_cbranch_execz .LBB27_27
; %bb.26:
	v_lshl_add_u64 v[8:9], v[6:7], 0, v[2:3]
	global_load_ushort v8, v[8:9], off offset:32
	v_lshrrev_b32_e32 v9, 16, v15
	s_waitcnt vmcnt(0)
	v_mul_f16_e32 v8, s24, v8
	v_fma_f16 v10, s5, v9, v8
	v_lshl_add_u64 v[8:9], v[4:5], 0, v[2:3]
	global_store_short v[8:9], v10, off offset:32
.LBB27_27:
	s_or_b64 exec, exec, s[2:3]
	v_lshl_add_u64 v[0:1], v[0:1], 0, 16
	v_cmp_gt_i64_e64 s[2:3], s[22:23], v[0:1]
	s_and_b64 exec, exec, s[2:3]
	s_cbranch_execz .LBB27_20
; %bb.28:
	s_lshl_b64 s[2:3], s[10:11], 5
	v_lshl_add_u64 v[0:1], v[6:7], 0, s[2:3]
	s_lshl_b64 s[2:3], s[16:17], 5
	v_lshl_add_u64 v[6:7], v[4:5], 0, s[2:3]
	v_lshl_add_u64 v[4:5], v[0:1], 0, v[2:3]
	;; [unrolled: 1-line block ×3, first 2 shown]
	s_and_saveexec_b64 s[2:3], vcc
	s_cbranch_execz .LBB27_30
; %bb.29:
	global_load_ushort v2, v[4:5], off
	s_waitcnt vmcnt(0)
	v_mul_f16_e32 v2, s24, v2
	v_fma_f16 v2, s5, v14, v2
	global_store_short v[0:1], v2, off
.LBB27_30:
	s_or_b64 exec, exec, s[2:3]
	s_and_b64 exec, exec, s[0:1]
	s_cbranch_execz .LBB27_20
; %bb.31:
	global_load_ushort v2, v[4:5], off offset:32
	v_lshrrev_b32_e32 v3, 16, v14
	s_waitcnt vmcnt(0)
	v_mul_f16_e32 v2, s24, v2
	v_fma_f16 v2, s5, v3, v2
	global_store_short v[0:1], v2, off offset:32
	s_endpgm
	.section	.rodata,"a",@progbits
	.p2align	6, 0x0
	.amdhsa_kernel _ZN12_GLOBAL__N_135rocblas_gemm_batched_general_kernelIDF16_Li16ELi16ELi32ELi32ELi8ELi32ELi8ELi8ELi32ELc78ELc67EKDF16_S1_DF16_EEvlllT_PT11_llS4_llS2_PT12_llPT13_lli
		.amdhsa_group_segment_fixed_size 1024
		.amdhsa_private_segment_fixed_size 0
		.amdhsa_kernarg_size 140
		.amdhsa_user_sgpr_count 2
		.amdhsa_user_sgpr_dispatch_ptr 0
		.amdhsa_user_sgpr_queue_ptr 0
		.amdhsa_user_sgpr_kernarg_segment_ptr 1
		.amdhsa_user_sgpr_dispatch_id 0
		.amdhsa_user_sgpr_kernarg_preload_length 0
		.amdhsa_user_sgpr_kernarg_preload_offset 0
		.amdhsa_user_sgpr_private_segment_size 0
		.amdhsa_uses_dynamic_stack 0
		.amdhsa_enable_private_segment 0
		.amdhsa_system_sgpr_workgroup_id_x 1
		.amdhsa_system_sgpr_workgroup_id_y 1
		.amdhsa_system_sgpr_workgroup_id_z 1
		.amdhsa_system_sgpr_workgroup_info 0
		.amdhsa_system_vgpr_workitem_id 1
		.amdhsa_next_free_vgpr 44
		.amdhsa_next_free_sgpr 38
		.amdhsa_accum_offset 44
		.amdhsa_reserve_vcc 1
		.amdhsa_float_round_mode_32 0
		.amdhsa_float_round_mode_16_64 0
		.amdhsa_float_denorm_mode_32 3
		.amdhsa_float_denorm_mode_16_64 3
		.amdhsa_dx10_clamp 1
		.amdhsa_ieee_mode 1
		.amdhsa_fp16_overflow 0
		.amdhsa_tg_split 0
		.amdhsa_exception_fp_ieee_invalid_op 0
		.amdhsa_exception_fp_denorm_src 0
		.amdhsa_exception_fp_ieee_div_zero 0
		.amdhsa_exception_fp_ieee_overflow 0
		.amdhsa_exception_fp_ieee_underflow 0
		.amdhsa_exception_fp_ieee_inexact 0
		.amdhsa_exception_int_div_zero 0
	.end_amdhsa_kernel
	.section	.text._ZN12_GLOBAL__N_135rocblas_gemm_batched_general_kernelIDF16_Li16ELi16ELi32ELi32ELi8ELi32ELi8ELi8ELi32ELc78ELc67EKDF16_S1_DF16_EEvlllT_PT11_llS4_llS2_PT12_llPT13_lli,"axG",@progbits,_ZN12_GLOBAL__N_135rocblas_gemm_batched_general_kernelIDF16_Li16ELi16ELi32ELi32ELi8ELi32ELi8ELi8ELi32ELc78ELc67EKDF16_S1_DF16_EEvlllT_PT11_llS4_llS2_PT12_llPT13_lli,comdat
.Lfunc_end27:
	.size	_ZN12_GLOBAL__N_135rocblas_gemm_batched_general_kernelIDF16_Li16ELi16ELi32ELi32ELi8ELi32ELi8ELi8ELi32ELc78ELc67EKDF16_S1_DF16_EEvlllT_PT11_llS4_llS2_PT12_llPT13_lli, .Lfunc_end27-_ZN12_GLOBAL__N_135rocblas_gemm_batched_general_kernelIDF16_Li16ELi16ELi32ELi32ELi8ELi32ELi8ELi8ELi32ELc78ELc67EKDF16_S1_DF16_EEvlllT_PT11_llS4_llS2_PT12_llPT13_lli
                                        ; -- End function
	.set _ZN12_GLOBAL__N_135rocblas_gemm_batched_general_kernelIDF16_Li16ELi16ELi32ELi32ELi8ELi32ELi8ELi8ELi32ELc78ELc67EKDF16_S1_DF16_EEvlllT_PT11_llS4_llS2_PT12_llPT13_lli.num_vgpr, 44
	.set _ZN12_GLOBAL__N_135rocblas_gemm_batched_general_kernelIDF16_Li16ELi16ELi32ELi32ELi8ELi32ELi8ELi8ELi32ELc78ELc67EKDF16_S1_DF16_EEvlllT_PT11_llS4_llS2_PT12_llPT13_lli.num_agpr, 0
	.set _ZN12_GLOBAL__N_135rocblas_gemm_batched_general_kernelIDF16_Li16ELi16ELi32ELi32ELi8ELi32ELi8ELi8ELi32ELc78ELc67EKDF16_S1_DF16_EEvlllT_PT11_llS4_llS2_PT12_llPT13_lli.numbered_sgpr, 38
	.set _ZN12_GLOBAL__N_135rocblas_gemm_batched_general_kernelIDF16_Li16ELi16ELi32ELi32ELi8ELi32ELi8ELi8ELi32ELc78ELc67EKDF16_S1_DF16_EEvlllT_PT11_llS4_llS2_PT12_llPT13_lli.num_named_barrier, 0
	.set _ZN12_GLOBAL__N_135rocblas_gemm_batched_general_kernelIDF16_Li16ELi16ELi32ELi32ELi8ELi32ELi8ELi8ELi32ELc78ELc67EKDF16_S1_DF16_EEvlllT_PT11_llS4_llS2_PT12_llPT13_lli.private_seg_size, 0
	.set _ZN12_GLOBAL__N_135rocblas_gemm_batched_general_kernelIDF16_Li16ELi16ELi32ELi32ELi8ELi32ELi8ELi8ELi32ELc78ELc67EKDF16_S1_DF16_EEvlllT_PT11_llS4_llS2_PT12_llPT13_lli.uses_vcc, 1
	.set _ZN12_GLOBAL__N_135rocblas_gemm_batched_general_kernelIDF16_Li16ELi16ELi32ELi32ELi8ELi32ELi8ELi8ELi32ELc78ELc67EKDF16_S1_DF16_EEvlllT_PT11_llS4_llS2_PT12_llPT13_lli.uses_flat_scratch, 0
	.set _ZN12_GLOBAL__N_135rocblas_gemm_batched_general_kernelIDF16_Li16ELi16ELi32ELi32ELi8ELi32ELi8ELi8ELi32ELc78ELc67EKDF16_S1_DF16_EEvlllT_PT11_llS4_llS2_PT12_llPT13_lli.has_dyn_sized_stack, 0
	.set _ZN12_GLOBAL__N_135rocblas_gemm_batched_general_kernelIDF16_Li16ELi16ELi32ELi32ELi8ELi32ELi8ELi8ELi32ELc78ELc67EKDF16_S1_DF16_EEvlllT_PT11_llS4_llS2_PT12_llPT13_lli.has_recursion, 0
	.set _ZN12_GLOBAL__N_135rocblas_gemm_batched_general_kernelIDF16_Li16ELi16ELi32ELi32ELi8ELi32ELi8ELi8ELi32ELc78ELc67EKDF16_S1_DF16_EEvlllT_PT11_llS4_llS2_PT12_llPT13_lli.has_indirect_call, 0
	.section	.AMDGPU.csdata,"",@progbits
; Kernel info:
; codeLenInByte = 1708
; TotalNumSgprs: 44
; NumVgprs: 44
; NumAgprs: 0
; TotalNumVgprs: 44
; ScratchSize: 0
; MemoryBound: 0
; FloatMode: 240
; IeeeMode: 1
; LDSByteSize: 1024 bytes/workgroup (compile time only)
; SGPRBlocks: 5
; VGPRBlocks: 5
; NumSGPRsForWavesPerEU: 44
; NumVGPRsForWavesPerEU: 44
; AccumOffset: 44
; Occupancy: 8
; WaveLimiterHint : 0
; COMPUTE_PGM_RSRC2:SCRATCH_EN: 0
; COMPUTE_PGM_RSRC2:USER_SGPR: 2
; COMPUTE_PGM_RSRC2:TRAP_HANDLER: 0
; COMPUTE_PGM_RSRC2:TGID_X_EN: 1
; COMPUTE_PGM_RSRC2:TGID_Y_EN: 1
; COMPUTE_PGM_RSRC2:TGID_Z_EN: 1
; COMPUTE_PGM_RSRC2:TIDIG_COMP_CNT: 1
; COMPUTE_PGM_RSRC3_GFX90A:ACCUM_OFFSET: 10
; COMPUTE_PGM_RSRC3_GFX90A:TG_SPLIT: 0
	.section	.text._ZN12_GLOBAL__N_135rocblas_gemm_batched_general_kernelIDF16_Li16ELi16ELi32ELi32ELi8ELi32ELi8ELi8ELi32ELc84ELc67EKDF16_S1_DF16_EEvlllT_PT11_llS4_llS2_PT12_llPT13_lli,"axG",@progbits,_ZN12_GLOBAL__N_135rocblas_gemm_batched_general_kernelIDF16_Li16ELi16ELi32ELi32ELi8ELi32ELi8ELi8ELi32ELc84ELc67EKDF16_S1_DF16_EEvlllT_PT11_llS4_llS2_PT12_llPT13_lli,comdat
	.globl	_ZN12_GLOBAL__N_135rocblas_gemm_batched_general_kernelIDF16_Li16ELi16ELi32ELi32ELi8ELi32ELi8ELi8ELi32ELc84ELc67EKDF16_S1_DF16_EEvlllT_PT11_llS4_llS2_PT12_llPT13_lli ; -- Begin function _ZN12_GLOBAL__N_135rocblas_gemm_batched_general_kernelIDF16_Li16ELi16ELi32ELi32ELi8ELi32ELi8ELi8ELi32ELc84ELc67EKDF16_S1_DF16_EEvlllT_PT11_llS4_llS2_PT12_llPT13_lli
	.p2align	8
	.type	_ZN12_GLOBAL__N_135rocblas_gemm_batched_general_kernelIDF16_Li16ELi16ELi32ELi32ELi8ELi32ELi8ELi8ELi32ELc84ELc67EKDF16_S1_DF16_EEvlllT_PT11_llS4_llS2_PT12_llPT13_lli,@function
_ZN12_GLOBAL__N_135rocblas_gemm_batched_general_kernelIDF16_Li16ELi16ELi32ELi32ELi8ELi32ELi8ELi8ELi32ELc84ELc67EKDF16_S1_DF16_EEvlllT_PT11_llS4_llS2_PT12_llPT13_lli: ; @_ZN12_GLOBAL__N_135rocblas_gemm_batched_general_kernelIDF16_Li16ELi16ELi32ELi32ELi8ELi32ELi8ELi8ELi32ELc84ELc67EKDF16_S1_DF16_EEvlllT_PT11_llS4_llS2_PT12_llPT13_lli
; %bb.0:
	s_load_dwordx4 s[16:19], s[0:1], 0x0
	s_load_dwordx2 s[28:29], s[0:1], 0x10
	s_mov_b32 s30, s3
	s_ashr_i32 s3, s2, 31
	v_mov_b32_e32 v1, 0
	s_lshl_b64 s[24:25], s[2:3], 5
	s_ashr_i32 s31, s30, 31
	s_waitcnt lgkmcnt(0)
	v_cmp_lt_i64_e64 s[2:3], s[28:29], 1
	v_and_b32_e32 v2, 0x3ff, v0
	v_bfe_u32 v0, v0, 10, 10
	v_mov_b32_e32 v3, v1
	s_lshl_b64 s[26:27], s[30:31], 5
	s_and_b64 vcc, exec, s[2:3]
	s_cbranch_vccnz .LBB28_7
; %bb.1:
	s_load_dwordx8 s[8:15], s[0:1], 0x20
	s_load_dwordx4 s[20:23], s[0:1], 0x40
	v_lshlrev_b32_e32 v19, 4, v0
	v_add_u32_e32 v12, v19, v2
	v_lshrrev_b32_e32 v8, 3, v12
	v_mov_b32_e32 v9, v1
	v_lshrrev_b32_e32 v4, 5, v12
	v_and_b32_e32 v6, 7, v2
	v_lshl_add_u64 v[10:11], v[8:9], 0, s[26:27]
	v_and_b32_e32 v12, 31, v12
	s_waitcnt lgkmcnt(0)
	s_mul_i32 s5, s23, s4
	s_mul_hi_u32 s23, s22, s4
	v_or_b32_e32 v14, s24, v12
	v_mov_b32_e32 v15, s25
	v_cmp_gt_i64_e64 s[6:7], s[18:19], v[10:11]
	s_add_i32 s23, s23, s5
	s_mul_i32 s22, s22, s4
	v_mad_u64_u32 v[10:11], s[34:35], s20, v6, 0
	v_cmp_gt_i64_e64 s[2:3], s[16:17], v[14:15]
	v_lshlrev_b32_e32 v9, 1, v12
	s_lshl_b64 s[22:23], s[22:23], 1
	v_mov_b32_e32 v14, v11
	s_lshl_b64 s[30:31], s[30:31], 6
	v_lshl_or_b32 v16, v4, 6, v9
	v_lshlrev_b32_e32 v9, 1, v6
	v_mad_u64_u32 v[14:15], s[34:35], s21, v6, v[14:15]
	s_add_u32 s22, s30, s22
	v_lshl_or_b32 v9, v8, 4, v9
	v_mov_b32_e32 v11, v14
	s_addc_u32 s23, s31, s23
	v_mov_b32_e32 v13, v1
	v_add_u32_e32 v17, 0x200, v9
	v_lshl_add_u64 v[10:11], v[10:11], 1, s[22:23]
	v_lshlrev_b32_e32 v8, 1, v8
	v_mov_b32_e32 v9, v1
	v_lshl_add_u64 v[8:9], v[10:11], 0, v[8:9]
	v_lshl_add_u64 v[10:11], s[24:25], 0, v[12:13]
	v_mul_lo_u32 v12, s11, v10
	v_mul_lo_u32 v13, s10, v11
	v_mad_u64_u32 v[10:11], s[10:11], s10, v10, 0
	s_mul_i32 s5, s13, s4
	s_mul_hi_u32 s10, s12, s4
	s_add_i32 s11, s10, s5
	s_mul_i32 s10, s12, s4
	v_add3_u32 v11, v11, v13, v12
	s_lshl_b64 s[10:11], s[10:11], 1
	v_lshl_add_u64 v[10:11], v[10:11], 1, s[10:11]
	v_lshlrev_b32_e32 v12, 1, v4
	v_mov_b32_e32 v13, v1
	v_lshl_add_u64 v[10:11], v[10:11], 0, v[12:13]
	v_mov_b32_e32 v5, v1
	v_mov_b32_e32 v7, v1
	v_lshlrev_b32_e32 v18, 1, v2
	v_add_u32_e32 v19, 0x200, v19
	v_lshl_add_u64 v[8:9], s[14:15], 0, v[8:9]
	s_lshl_b64 s[14:15], s[20:21], 4
	v_lshl_add_u64 v[10:11], s[8:9], 0, v[10:11]
	s_mov_b64 s[8:9], 0
	s_mov_b32 s5, 0x5040100
	v_mov_b64_e32 v[12:13], s[28:29]
	v_mov_b32_e32 v15, v1
	v_mov_b32_e32 v14, v1
	s_branch .LBB28_3
.LBB28_2:                               ;   in Loop: Header=BB28_3 Depth=1
	s_or_b64 exec, exec, s[10:11]
	s_waitcnt vmcnt(0)
	ds_write_b16 v17, v20
	s_waitcnt lgkmcnt(0)
	s_barrier
	ds_read_u16 v28, v18
	ds_read_u16 v29, v18 offset:32
	ds_read_u16 v30, v18 offset:64
	;; [unrolled: 1-line block ×7, first 2 shown]
	ds_read_b128 v[20:23], v19
	ds_read_b128 v[24:27], v19 offset:256
	ds_read_u16 v36, v18 offset:256
	ds_read_u16 v37, v18 offset:288
	;; [unrolled: 1-line block ×8, first 2 shown]
	s_waitcnt lgkmcnt(14)
	v_perm_b32 v28, v29, v28, s5
	s_waitcnt lgkmcnt(8)
	v_pk_fma_f16 v14, v28, v24, v14 op_sel_hi:[1,0,1]
	v_pk_fma_f16 v15, v28, v20, v15 op_sel_hi:[1,0,1]
	v_perm_b32 v28, v31, v30, s5
	v_pk_fma_f16 v15, v28, v20, v15 op_sel:[0,1,0]
	v_pk_fma_f16 v14, v28, v24, v14 op_sel:[0,1,0]
	v_perm_b32 v20, v33, v32, s5
	v_pk_fma_f16 v14, v20, v25, v14 op_sel_hi:[1,0,1]
	v_pk_fma_f16 v15, v20, v21, v15 op_sel_hi:[1,0,1]
	v_perm_b32 v20, v35, v34, s5
	v_pk_fma_f16 v15, v20, v21, v15 op_sel:[0,1,0]
	v_pk_fma_f16 v14, v20, v25, v14 op_sel:[0,1,0]
	s_waitcnt lgkmcnt(6)
	v_perm_b32 v20, v37, v36, s5
	v_pk_fma_f16 v14, v20, v26, v14 op_sel_hi:[1,0,1]
	v_pk_fma_f16 v15, v20, v22, v15 op_sel_hi:[1,0,1]
	s_waitcnt lgkmcnt(4)
	v_perm_b32 v20, v39, v38, s5
	s_add_u32 s8, s8, 8
	v_pk_fma_f16 v15, v20, v22, v15 op_sel:[0,1,0]
	v_pk_fma_f16 v14, v20, v26, v14 op_sel:[0,1,0]
	s_waitcnt lgkmcnt(2)
	v_perm_b32 v20, v41, v40, s5
	s_addc_u32 s9, s9, 0
	v_pk_fma_f16 v14, v20, v27, v14 op_sel_hi:[1,0,1]
	v_pk_fma_f16 v15, v20, v23, v15 op_sel_hi:[1,0,1]
	s_waitcnt lgkmcnt(0)
	v_perm_b32 v20, v43, v42, s5
	v_cmp_lt_i64_e32 vcc, s[8:9], v[12:13]
	v_pk_fma_f16 v15, v20, v23, v15 op_sel:[0,1,0]
	v_pk_fma_f16 v14, v20, v27, v14 op_sel:[0,1,0]
	v_lshl_add_u64 v[8:9], v[8:9], 0, s[14:15]
	v_lshl_add_u64 v[10:11], v[10:11], 0, 16
	s_barrier
	s_cbranch_vccz .LBB28_8
.LBB28_3:                               ; =>This Inner Loop Header: Depth=1
	v_lshl_add_u64 v[20:21], v[4:5], 0, s[8:9]
	v_cmp_gt_i64_e32 vcc, s[28:29], v[20:21]
	s_and_b64 s[12:13], s[2:3], vcc
	v_mov_b32_e32 v20, 0
	v_mov_b32_e32 v21, 0
	s_and_saveexec_b64 s[10:11], s[12:13]
	s_cbranch_execz .LBB28_5
; %bb.4:                                ;   in Loop: Header=BB28_3 Depth=1
	global_load_ushort v21, v[10:11], off
.LBB28_5:                               ;   in Loop: Header=BB28_3 Depth=1
	s_or_b64 exec, exec, s[10:11]
	v_lshl_add_u64 v[22:23], v[6:7], 0, s[8:9]
	v_cmp_gt_i64_e32 vcc, s[28:29], v[22:23]
	s_and_b64 s[12:13], vcc, s[6:7]
	s_waitcnt vmcnt(0)
	ds_write_b16 v16, v21
	s_and_saveexec_b64 s[10:11], s[12:13]
	s_cbranch_execz .LBB28_2
; %bb.6:                                ;   in Loop: Header=BB28_3 Depth=1
	global_load_ushort v20, v[8:9], off
	s_branch .LBB28_2
.LBB28_7:
	v_mov_b32_e32 v14, v1
	v_mov_b32_e32 v15, v1
.LBB28_8:
	s_load_dwordx4 s[20:23], s[0:1], 0x78
	s_load_dword s5, s[0:1], 0x18
	s_load_dword s28, s[0:1], 0x50
	s_load_dwordx8 s[8:15], s[0:1], 0x58
	v_lshl_add_u64 v[0:1], s[26:27], 0, v[0:1]
	s_waitcnt lgkmcnt(0)
	s_mul_i32 s0, s23, s4
	s_mul_hi_u32 s1, s22, s4
	s_add_i32 s1, s1, s0
	s_mul_i32 s0, s22, s4
	s_lshl_b64 s[0:1], s[0:1], 1
	s_add_u32 s14, s14, s0
	v_cmp_neq_f16_e64 s[2:3], s28, 0
	s_addc_u32 s15, s15, s1
	v_cmp_gt_i64_e64 s[0:1], s[18:19], v[0:1]
	s_and_b64 vcc, exec, s[2:3]
	s_cbranch_vccnz .LBB28_21
; %bb.9:
	s_and_saveexec_b64 s[22:23], s[0:1]
	s_cbranch_execz .LBB28_19
; %bb.10:
	v_mul_lo_u32 v8, v1, s20
	v_mul_lo_u32 v9, v0, s21
	v_mad_u64_u32 v[6:7], s[2:3], v0, s20, 0
	v_add3_u32 v7, v7, v9, v8
	v_lshl_add_u64 v[4:5], s[24:25], 0, v[2:3]
	v_lshl_add_u64 v[6:7], v[6:7], 1, s[14:15]
	v_cmp_gt_i64_e32 vcc, s[16:17], v[4:5]
	v_lshl_add_u64 v[8:9], v[4:5], 1, v[6:7]
	s_and_saveexec_b64 s[2:3], vcc
	s_cbranch_execz .LBB28_12
; %bb.11:
	v_mul_f16_e32 v10, s5, v15
	global_store_short v[8:9], v10, off
.LBB28_12:
	s_or_b64 exec, exec, s[2:3]
	v_lshl_add_u64 v[10:11], v[4:5], 0, 16
	v_cmp_gt_i64_e64 s[2:3], s[16:17], v[10:11]
	s_and_saveexec_b64 s[6:7], s[2:3]
	s_cbranch_execz .LBB28_14
; %bb.13:
	v_mul_f16_sdwa v10, s5, v15 dst_sel:DWORD dst_unused:UNUSED_PAD src0_sel:DWORD src1_sel:WORD_1
	global_store_short v[8:9], v10, off offset:32
.LBB28_14:
	s_or_b64 exec, exec, s[6:7]
	v_lshl_add_u64 v[8:9], v[0:1], 0, 16
	v_cmp_gt_i64_e64 s[6:7], s[18:19], v[8:9]
	s_and_b64 exec, exec, s[6:7]
	s_cbranch_execz .LBB28_19
; %bb.15:
	s_lshl_b64 s[6:7], s[20:21], 5
	v_lshl_add_u64 v[6:7], v[6:7], 0, s[6:7]
	v_lshl_add_u64 v[4:5], v[4:5], 1, v[6:7]
	s_and_saveexec_b64 s[6:7], vcc
	s_cbranch_execz .LBB28_17
; %bb.16:
	v_mul_f16_e32 v6, s5, v14
	global_store_short v[4:5], v6, off
.LBB28_17:
	s_or_b64 exec, exec, s[6:7]
	s_and_b64 exec, exec, s[2:3]
	s_cbranch_execz .LBB28_19
; %bb.18:
	v_mul_f16_sdwa v6, s5, v14 dst_sel:DWORD dst_unused:UNUSED_PAD src0_sel:DWORD src1_sel:WORD_1
	global_store_short v[4:5], v6, off offset:32
.LBB28_19:
	s_or_b64 exec, exec, s[22:23]
	s_cbranch_execz .LBB28_22
.LBB28_20:
	s_endpgm
.LBB28_21:
.LBB28_22:
	s_and_saveexec_b64 s[2:3], s[0:1]
	s_cbranch_execz .LBB28_20
; %bb.23:
	s_mul_i32 s0, s13, s4
	s_mul_hi_u32 s1, s12, s4
	s_add_i32 s1, s1, s0
	s_mul_i32 s0, s12, s4
	s_lshl_b64 s[0:1], s[0:1], 1
	v_lshl_add_u64 v[8:9], s[24:25], 0, v[2:3]
	v_mul_lo_u32 v4, v1, s10
	v_mul_lo_u32 v5, v0, s11
	v_mad_u64_u32 v[2:3], s[2:3], v0, s10, 0
	s_add_u32 s0, s8, s0
	v_add3_u32 v3, v3, v5, v4
	v_mul_lo_u32 v6, v1, s20
	v_mul_lo_u32 v7, v0, s21
	v_mad_u64_u32 v[4:5], s[2:3], v0, s20, 0
	s_addc_u32 s1, s9, s1
	v_add3_u32 v5, v5, v7, v6
	v_cmp_gt_i64_e32 vcc, s[16:17], v[8:9]
	v_lshl_add_u64 v[6:7], v[2:3], 1, s[0:1]
	v_lshl_add_u64 v[4:5], v[4:5], 1, s[14:15]
	v_lshlrev_b64 v[2:3], 1, v[8:9]
	s_and_saveexec_b64 s[0:1], vcc
	s_cbranch_execz .LBB28_25
; %bb.24:
	v_lshl_add_u64 v[10:11], v[6:7], 0, v[2:3]
	global_load_ushort v10, v[10:11], off
	s_waitcnt vmcnt(0)
	v_mul_f16_e32 v10, s28, v10
	v_fma_f16 v12, s5, v15, v10
	v_lshl_add_u64 v[10:11], v[4:5], 0, v[2:3]
	global_store_short v[10:11], v12, off
.LBB28_25:
	s_or_b64 exec, exec, s[0:1]
	v_lshl_add_u64 v[8:9], v[8:9], 0, 16
	v_cmp_gt_i64_e64 s[0:1], s[16:17], v[8:9]
	s_and_saveexec_b64 s[2:3], s[0:1]
	s_cbranch_execz .LBB28_27
; %bb.26:
	v_lshl_add_u64 v[8:9], v[6:7], 0, v[2:3]
	global_load_ushort v8, v[8:9], off offset:32
	v_lshrrev_b32_e32 v9, 16, v15
	s_waitcnt vmcnt(0)
	v_mul_f16_e32 v8, s28, v8
	v_fma_f16 v10, s5, v9, v8
	v_lshl_add_u64 v[8:9], v[4:5], 0, v[2:3]
	global_store_short v[8:9], v10, off offset:32
.LBB28_27:
	s_or_b64 exec, exec, s[2:3]
	v_lshl_add_u64 v[0:1], v[0:1], 0, 16
	v_cmp_gt_i64_e64 s[2:3], s[18:19], v[0:1]
	s_and_b64 exec, exec, s[2:3]
	s_cbranch_execz .LBB28_20
; %bb.28:
	s_lshl_b64 s[2:3], s[10:11], 5
	v_lshl_add_u64 v[0:1], v[6:7], 0, s[2:3]
	s_lshl_b64 s[2:3], s[20:21], 5
	v_lshl_add_u64 v[6:7], v[4:5], 0, s[2:3]
	v_lshl_add_u64 v[4:5], v[0:1], 0, v[2:3]
	;; [unrolled: 1-line block ×3, first 2 shown]
	s_and_saveexec_b64 s[2:3], vcc
	s_cbranch_execz .LBB28_30
; %bb.29:
	global_load_ushort v2, v[4:5], off
	s_waitcnt vmcnt(0)
	v_mul_f16_e32 v2, s28, v2
	v_fma_f16 v2, s5, v14, v2
	global_store_short v[0:1], v2, off
.LBB28_30:
	s_or_b64 exec, exec, s[2:3]
	s_and_b64 exec, exec, s[0:1]
	s_cbranch_execz .LBB28_20
; %bb.31:
	global_load_ushort v2, v[4:5], off offset:32
	v_lshrrev_b32_e32 v3, 16, v14
	s_waitcnt vmcnt(0)
	v_mul_f16_e32 v2, s28, v2
	v_fma_f16 v2, s5, v3, v2
	global_store_short v[0:1], v2, off offset:32
	s_endpgm
	.section	.rodata,"a",@progbits
	.p2align	6, 0x0
	.amdhsa_kernel _ZN12_GLOBAL__N_135rocblas_gemm_batched_general_kernelIDF16_Li16ELi16ELi32ELi32ELi8ELi32ELi8ELi8ELi32ELc84ELc67EKDF16_S1_DF16_EEvlllT_PT11_llS4_llS2_PT12_llPT13_lli
		.amdhsa_group_segment_fixed_size 1024
		.amdhsa_private_segment_fixed_size 0
		.amdhsa_kernarg_size 140
		.amdhsa_user_sgpr_count 2
		.amdhsa_user_sgpr_dispatch_ptr 0
		.amdhsa_user_sgpr_queue_ptr 0
		.amdhsa_user_sgpr_kernarg_segment_ptr 1
		.amdhsa_user_sgpr_dispatch_id 0
		.amdhsa_user_sgpr_kernarg_preload_length 0
		.amdhsa_user_sgpr_kernarg_preload_offset 0
		.amdhsa_user_sgpr_private_segment_size 0
		.amdhsa_uses_dynamic_stack 0
		.amdhsa_enable_private_segment 0
		.amdhsa_system_sgpr_workgroup_id_x 1
		.amdhsa_system_sgpr_workgroup_id_y 1
		.amdhsa_system_sgpr_workgroup_id_z 1
		.amdhsa_system_sgpr_workgroup_info 0
		.amdhsa_system_vgpr_workitem_id 1
		.amdhsa_next_free_vgpr 44
		.amdhsa_next_free_sgpr 36
		.amdhsa_accum_offset 44
		.amdhsa_reserve_vcc 1
		.amdhsa_float_round_mode_32 0
		.amdhsa_float_round_mode_16_64 0
		.amdhsa_float_denorm_mode_32 3
		.amdhsa_float_denorm_mode_16_64 3
		.amdhsa_dx10_clamp 1
		.amdhsa_ieee_mode 1
		.amdhsa_fp16_overflow 0
		.amdhsa_tg_split 0
		.amdhsa_exception_fp_ieee_invalid_op 0
		.amdhsa_exception_fp_denorm_src 0
		.amdhsa_exception_fp_ieee_div_zero 0
		.amdhsa_exception_fp_ieee_overflow 0
		.amdhsa_exception_fp_ieee_underflow 0
		.amdhsa_exception_fp_ieee_inexact 0
		.amdhsa_exception_int_div_zero 0
	.end_amdhsa_kernel
	.section	.text._ZN12_GLOBAL__N_135rocblas_gemm_batched_general_kernelIDF16_Li16ELi16ELi32ELi32ELi8ELi32ELi8ELi8ELi32ELc84ELc67EKDF16_S1_DF16_EEvlllT_PT11_llS4_llS2_PT12_llPT13_lli,"axG",@progbits,_ZN12_GLOBAL__N_135rocblas_gemm_batched_general_kernelIDF16_Li16ELi16ELi32ELi32ELi8ELi32ELi8ELi8ELi32ELc84ELc67EKDF16_S1_DF16_EEvlllT_PT11_llS4_llS2_PT12_llPT13_lli,comdat
.Lfunc_end28:
	.size	_ZN12_GLOBAL__N_135rocblas_gemm_batched_general_kernelIDF16_Li16ELi16ELi32ELi32ELi8ELi32ELi8ELi8ELi32ELc84ELc67EKDF16_S1_DF16_EEvlllT_PT11_llS4_llS2_PT12_llPT13_lli, .Lfunc_end28-_ZN12_GLOBAL__N_135rocblas_gemm_batched_general_kernelIDF16_Li16ELi16ELi32ELi32ELi8ELi32ELi8ELi8ELi32ELc84ELc67EKDF16_S1_DF16_EEvlllT_PT11_llS4_llS2_PT12_llPT13_lli
                                        ; -- End function
	.set _ZN12_GLOBAL__N_135rocblas_gemm_batched_general_kernelIDF16_Li16ELi16ELi32ELi32ELi8ELi32ELi8ELi8ELi32ELc84ELc67EKDF16_S1_DF16_EEvlllT_PT11_llS4_llS2_PT12_llPT13_lli.num_vgpr, 44
	.set _ZN12_GLOBAL__N_135rocblas_gemm_batched_general_kernelIDF16_Li16ELi16ELi32ELi32ELi8ELi32ELi8ELi8ELi32ELc84ELc67EKDF16_S1_DF16_EEvlllT_PT11_llS4_llS2_PT12_llPT13_lli.num_agpr, 0
	.set _ZN12_GLOBAL__N_135rocblas_gemm_batched_general_kernelIDF16_Li16ELi16ELi32ELi32ELi8ELi32ELi8ELi8ELi32ELc84ELc67EKDF16_S1_DF16_EEvlllT_PT11_llS4_llS2_PT12_llPT13_lli.numbered_sgpr, 36
	.set _ZN12_GLOBAL__N_135rocblas_gemm_batched_general_kernelIDF16_Li16ELi16ELi32ELi32ELi8ELi32ELi8ELi8ELi32ELc84ELc67EKDF16_S1_DF16_EEvlllT_PT11_llS4_llS2_PT12_llPT13_lli.num_named_barrier, 0
	.set _ZN12_GLOBAL__N_135rocblas_gemm_batched_general_kernelIDF16_Li16ELi16ELi32ELi32ELi8ELi32ELi8ELi8ELi32ELc84ELc67EKDF16_S1_DF16_EEvlllT_PT11_llS4_llS2_PT12_llPT13_lli.private_seg_size, 0
	.set _ZN12_GLOBAL__N_135rocblas_gemm_batched_general_kernelIDF16_Li16ELi16ELi32ELi32ELi8ELi32ELi8ELi8ELi32ELc84ELc67EKDF16_S1_DF16_EEvlllT_PT11_llS4_llS2_PT12_llPT13_lli.uses_vcc, 1
	.set _ZN12_GLOBAL__N_135rocblas_gemm_batched_general_kernelIDF16_Li16ELi16ELi32ELi32ELi8ELi32ELi8ELi8ELi32ELc84ELc67EKDF16_S1_DF16_EEvlllT_PT11_llS4_llS2_PT12_llPT13_lli.uses_flat_scratch, 0
	.set _ZN12_GLOBAL__N_135rocblas_gemm_batched_general_kernelIDF16_Li16ELi16ELi32ELi32ELi8ELi32ELi8ELi8ELi32ELc84ELc67EKDF16_S1_DF16_EEvlllT_PT11_llS4_llS2_PT12_llPT13_lli.has_dyn_sized_stack, 0
	.set _ZN12_GLOBAL__N_135rocblas_gemm_batched_general_kernelIDF16_Li16ELi16ELi32ELi32ELi8ELi32ELi8ELi8ELi32ELc84ELc67EKDF16_S1_DF16_EEvlllT_PT11_llS4_llS2_PT12_llPT13_lli.has_recursion, 0
	.set _ZN12_GLOBAL__N_135rocblas_gemm_batched_general_kernelIDF16_Li16ELi16ELi32ELi32ELi8ELi32ELi8ELi8ELi32ELc84ELc67EKDF16_S1_DF16_EEvlllT_PT11_llS4_llS2_PT12_llPT13_lli.has_indirect_call, 0
	.section	.AMDGPU.csdata,"",@progbits
; Kernel info:
; codeLenInByte = 1716
; TotalNumSgprs: 42
; NumVgprs: 44
; NumAgprs: 0
; TotalNumVgprs: 44
; ScratchSize: 0
; MemoryBound: 0
; FloatMode: 240
; IeeeMode: 1
; LDSByteSize: 1024 bytes/workgroup (compile time only)
; SGPRBlocks: 5
; VGPRBlocks: 5
; NumSGPRsForWavesPerEU: 42
; NumVGPRsForWavesPerEU: 44
; AccumOffset: 44
; Occupancy: 8
; WaveLimiterHint : 0
; COMPUTE_PGM_RSRC2:SCRATCH_EN: 0
; COMPUTE_PGM_RSRC2:USER_SGPR: 2
; COMPUTE_PGM_RSRC2:TRAP_HANDLER: 0
; COMPUTE_PGM_RSRC2:TGID_X_EN: 1
; COMPUTE_PGM_RSRC2:TGID_Y_EN: 1
; COMPUTE_PGM_RSRC2:TGID_Z_EN: 1
; COMPUTE_PGM_RSRC2:TIDIG_COMP_CNT: 1
; COMPUTE_PGM_RSRC3_GFX90A:ACCUM_OFFSET: 10
; COMPUTE_PGM_RSRC3_GFX90A:TG_SPLIT: 0
	.section	.text._ZN12_GLOBAL__N_125rocblas_gemm_scale_kernelILi32ELi32EfPfEEviiT1_T2_llli,"axG",@progbits,_ZN12_GLOBAL__N_125rocblas_gemm_scale_kernelILi32ELi32EfPfEEviiT1_T2_llli,comdat
	.globl	_ZN12_GLOBAL__N_125rocblas_gemm_scale_kernelILi32ELi32EfPfEEviiT1_T2_llli ; -- Begin function _ZN12_GLOBAL__N_125rocblas_gemm_scale_kernelILi32ELi32EfPfEEviiT1_T2_llli
	.p2align	8
	.type	_ZN12_GLOBAL__N_125rocblas_gemm_scale_kernelILi32ELi32EfPfEEviiT1_T2_llli,@function
_ZN12_GLOBAL__N_125rocblas_gemm_scale_kernelILi32ELi32EfPfEEviiT1_T2_llli: ; @_ZN12_GLOBAL__N_125rocblas_gemm_scale_kernelILi32ELi32EfPfEEviiT1_T2_llli
; %bb.0:
	s_load_dwordx4 s[8:11], s[0:1], 0x0
	v_and_b32_e32 v1, 0x3ff, v0
	v_bfe_u32 v0, v0, 10, 10
	v_lshl_add_u32 v2, s2, 5, v1
	v_lshl_add_u32 v0, s3, 5, v0
	s_waitcnt lgkmcnt(0)
	v_cmp_gt_u32_e32 vcc, s8, v2
	v_cmp_gt_u32_e64 s[2:3], s9, v0
	s_and_b64 s[2:3], vcc, s[2:3]
	s_and_saveexec_b64 s[6:7], s[2:3]
	s_cbranch_execz .LBB29_4
; %bb.1:
	s_load_dwordx8 s[12:19], s[0:1], 0x10
	v_mov_b32_e32 v3, 0
	s_waitcnt lgkmcnt(0)
	s_mul_i32 s1, s19, s4
	s_mul_hi_u32 s2, s18, s4
	s_mul_i32 s0, s18, s4
	s_add_i32 s1, s2, s1
	s_lshl_b64 s[0:1], s[0:1], 2
	s_add_u32 s2, s12, s0
	v_mad_u64_u32 v[4:5], s[4:5], s16, v0, 0
	s_addc_u32 s3, s13, s1
	s_lshl_b64 s[0:1], s[14:15], 2
	v_mov_b32_e32 v6, v5
	s_add_u32 s0, s2, s0
	v_mad_u64_u32 v[0:1], s[4:5], s17, v0, v[6:7]
	s_addc_u32 s1, s3, s1
	v_cmp_eq_f32_e64 s[2:3], s10, 0
	v_mov_b32_e32 v5, v0
	s_and_b64 vcc, exec, s[2:3]
	v_lshl_add_u64 v[0:1], v[4:5], 2, s[0:1]
	v_mov_b32_e32 v4, v3
	s_cbranch_vccnz .LBB29_3
; %bb.2:
	v_lshl_add_u64 v[4:5], v[2:3], 2, v[0:1]
	global_load_dword v4, v[4:5], off
	s_waitcnt vmcnt(0)
	v_mul_f32_e32 v4, s10, v4
.LBB29_3:
	v_lshl_add_u64 v[0:1], v[2:3], 2, v[0:1]
	global_store_dword v[0:1], v4, off
.LBB29_4:
	s_endpgm
	.section	.rodata,"a",@progbits
	.p2align	6, 0x0
	.amdhsa_kernel _ZN12_GLOBAL__N_125rocblas_gemm_scale_kernelILi32ELi32EfPfEEviiT1_T2_llli
		.amdhsa_group_segment_fixed_size 0
		.amdhsa_private_segment_fixed_size 0
		.amdhsa_kernarg_size 52
		.amdhsa_user_sgpr_count 2
		.amdhsa_user_sgpr_dispatch_ptr 0
		.amdhsa_user_sgpr_queue_ptr 0
		.amdhsa_user_sgpr_kernarg_segment_ptr 1
		.amdhsa_user_sgpr_dispatch_id 0
		.amdhsa_user_sgpr_kernarg_preload_length 0
		.amdhsa_user_sgpr_kernarg_preload_offset 0
		.amdhsa_user_sgpr_private_segment_size 0
		.amdhsa_uses_dynamic_stack 0
		.amdhsa_enable_private_segment 0
		.amdhsa_system_sgpr_workgroup_id_x 1
		.amdhsa_system_sgpr_workgroup_id_y 1
		.amdhsa_system_sgpr_workgroup_id_z 1
		.amdhsa_system_sgpr_workgroup_info 0
		.amdhsa_system_vgpr_workitem_id 1
		.amdhsa_next_free_vgpr 8
		.amdhsa_next_free_sgpr 20
		.amdhsa_accum_offset 8
		.amdhsa_reserve_vcc 1
		.amdhsa_float_round_mode_32 0
		.amdhsa_float_round_mode_16_64 0
		.amdhsa_float_denorm_mode_32 3
		.amdhsa_float_denorm_mode_16_64 3
		.amdhsa_dx10_clamp 1
		.amdhsa_ieee_mode 1
		.amdhsa_fp16_overflow 0
		.amdhsa_tg_split 0
		.amdhsa_exception_fp_ieee_invalid_op 0
		.amdhsa_exception_fp_denorm_src 0
		.amdhsa_exception_fp_ieee_div_zero 0
		.amdhsa_exception_fp_ieee_overflow 0
		.amdhsa_exception_fp_ieee_underflow 0
		.amdhsa_exception_fp_ieee_inexact 0
		.amdhsa_exception_int_div_zero 0
	.end_amdhsa_kernel
	.section	.text._ZN12_GLOBAL__N_125rocblas_gemm_scale_kernelILi32ELi32EfPfEEviiT1_T2_llli,"axG",@progbits,_ZN12_GLOBAL__N_125rocblas_gemm_scale_kernelILi32ELi32EfPfEEviiT1_T2_llli,comdat
.Lfunc_end29:
	.size	_ZN12_GLOBAL__N_125rocblas_gemm_scale_kernelILi32ELi32EfPfEEviiT1_T2_llli, .Lfunc_end29-_ZN12_GLOBAL__N_125rocblas_gemm_scale_kernelILi32ELi32EfPfEEviiT1_T2_llli
                                        ; -- End function
	.set _ZN12_GLOBAL__N_125rocblas_gemm_scale_kernelILi32ELi32EfPfEEviiT1_T2_llli.num_vgpr, 8
	.set _ZN12_GLOBAL__N_125rocblas_gemm_scale_kernelILi32ELi32EfPfEEviiT1_T2_llli.num_agpr, 0
	.set _ZN12_GLOBAL__N_125rocblas_gemm_scale_kernelILi32ELi32EfPfEEviiT1_T2_llli.numbered_sgpr, 20
	.set _ZN12_GLOBAL__N_125rocblas_gemm_scale_kernelILi32ELi32EfPfEEviiT1_T2_llli.num_named_barrier, 0
	.set _ZN12_GLOBAL__N_125rocblas_gemm_scale_kernelILi32ELi32EfPfEEviiT1_T2_llli.private_seg_size, 0
	.set _ZN12_GLOBAL__N_125rocblas_gemm_scale_kernelILi32ELi32EfPfEEviiT1_T2_llli.uses_vcc, 1
	.set _ZN12_GLOBAL__N_125rocblas_gemm_scale_kernelILi32ELi32EfPfEEviiT1_T2_llli.uses_flat_scratch, 0
	.set _ZN12_GLOBAL__N_125rocblas_gemm_scale_kernelILi32ELi32EfPfEEviiT1_T2_llli.has_dyn_sized_stack, 0
	.set _ZN12_GLOBAL__N_125rocblas_gemm_scale_kernelILi32ELi32EfPfEEviiT1_T2_llli.has_recursion, 0
	.set _ZN12_GLOBAL__N_125rocblas_gemm_scale_kernelILi32ELi32EfPfEEviiT1_T2_llli.has_indirect_call, 0
	.section	.AMDGPU.csdata,"",@progbits
; Kernel info:
; codeLenInByte = 220
; TotalNumSgprs: 26
; NumVgprs: 8
; NumAgprs: 0
; TotalNumVgprs: 8
; ScratchSize: 0
; MemoryBound: 0
; FloatMode: 240
; IeeeMode: 1
; LDSByteSize: 0 bytes/workgroup (compile time only)
; SGPRBlocks: 3
; VGPRBlocks: 0
; NumSGPRsForWavesPerEU: 26
; NumVGPRsForWavesPerEU: 8
; AccumOffset: 8
; Occupancy: 8
; WaveLimiterHint : 0
; COMPUTE_PGM_RSRC2:SCRATCH_EN: 0
; COMPUTE_PGM_RSRC2:USER_SGPR: 2
; COMPUTE_PGM_RSRC2:TRAP_HANDLER: 0
; COMPUTE_PGM_RSRC2:TGID_X_EN: 1
; COMPUTE_PGM_RSRC2:TGID_Y_EN: 1
; COMPUTE_PGM_RSRC2:TGID_Z_EN: 1
; COMPUTE_PGM_RSRC2:TIDIG_COMP_CNT: 1
; COMPUTE_PGM_RSRC3_GFX90A:ACCUM_OFFSET: 1
; COMPUTE_PGM_RSRC3_GFX90A:TG_SPLIT: 0
	.section	.text._ZN12_GLOBAL__N_120gemm_ex_scale_kernelILi32ELi32EfPKfPfEEviiT1_T2_lllT3_llli,"axG",@progbits,_ZN12_GLOBAL__N_120gemm_ex_scale_kernelILi32ELi32EfPKfPfEEviiT1_T2_lllT3_llli,comdat
	.globl	_ZN12_GLOBAL__N_120gemm_ex_scale_kernelILi32ELi32EfPKfPfEEviiT1_T2_lllT3_llli ; -- Begin function _ZN12_GLOBAL__N_120gemm_ex_scale_kernelILi32ELi32EfPKfPfEEviiT1_T2_lllT3_llli
	.p2align	8
	.type	_ZN12_GLOBAL__N_120gemm_ex_scale_kernelILi32ELi32EfPKfPfEEviiT1_T2_lllT3_llli,@function
_ZN12_GLOBAL__N_120gemm_ex_scale_kernelILi32ELi32EfPKfPfEEviiT1_T2_lllT3_llli: ; @_ZN12_GLOBAL__N_120gemm_ex_scale_kernelILi32ELi32EfPKfPfEEviiT1_T2_lllT3_llli
; %bb.0:
	s_load_dwordx4 s[24:27], s[0:1], 0x0
	v_and_b32_e32 v1, 0x3ff, v0
	v_bfe_u32 v0, v0, 10, 10
	v_lshl_add_u32 v2, s2, 5, v1
	v_lshl_add_u32 v4, s3, 5, v0
	s_waitcnt lgkmcnt(0)
	v_cmp_gt_u32_e32 vcc, s24, v2
	v_cmp_gt_u32_e64 s[2:3], s25, v4
	s_and_b64 s[2:3], vcc, s[2:3]
	s_and_saveexec_b64 s[6:7], s[2:3]
	s_cbranch_execz .LBB30_5
; %bb.1:
	v_cmp_neq_f32_e64 s[2:3], s26, 0
	v_mov_b32_e32 v3, 0
	s_and_b64 vcc, exec, s[2:3]
	s_cbranch_vccnz .LBB30_6
; %bb.2:
	v_mov_b32_e32 v1, 0
	v_mov_b32_e32 v0, v2
	s_load_dwordx16 s[8:23], s[0:1], 0x10
	s_cbranch_execnz .LBB30_4
.LBB30_3:
	s_waitcnt lgkmcnt(0)
	s_mul_i32 s0, s15, s4
	s_mul_hi_u32 s1, s14, s4
	s_add_i32 s1, s1, s0
	s_mul_i32 s0, s14, s4
	s_lshl_b64 s[0:1], s[0:1], 2
	s_add_u32 s2, s8, s0
	s_addc_u32 s3, s9, s1
	s_lshl_b64 s[0:1], s[10:11], 2
	s_add_u32 s0, s2, s0
	s_addc_u32 s1, s3, s1
	v_mad_u64_u32 v[6:7], s[2:3], s12, v4, 0
	v_mov_b32_e32 v8, v7
	v_mad_u64_u32 v[8:9], s[2:3], s13, v4, v[8:9]
	v_mov_b32_e32 v7, v8
	v_lshl_add_u64 v[6:7], v[6:7], 2, s[0:1]
	v_lshl_add_u64 v[2:3], v[2:3], 2, v[6:7]
	global_load_dword v2, v[2:3], off
	s_waitcnt vmcnt(0)
	v_mul_f32_e32 v3, s26, v2
.LBB30_4:
	s_waitcnt lgkmcnt(0)
	s_mul_i32 s0, s23, s4
	s_mul_hi_u32 s1, s22, s4
	s_add_i32 s1, s1, s0
	s_mul_i32 s0, s22, s4
	s_lshl_b64 s[0:1], s[0:1], 2
	s_add_u32 s2, s16, s0
	s_addc_u32 s3, s17, s1
	s_lshl_b64 s[0:1], s[18:19], 2
	s_add_u32 s0, s2, s0
	s_addc_u32 s1, s3, s1
	v_mad_u64_u32 v[6:7], s[2:3], s20, v4, 0
	v_mov_b32_e32 v2, v7
	v_mad_u64_u32 v[4:5], s[2:3], s21, v4, v[2:3]
	v_mov_b32_e32 v7, v4
	v_lshl_add_u64 v[4:5], v[6:7], 2, s[0:1]
	v_lshl_add_u64 v[0:1], v[0:1], 2, v[4:5]
	global_store_dword v[0:1], v3, off
.LBB30_5:
	s_endpgm
.LBB30_6:
	v_mov_b64_e32 v[0:1], v[2:3]
	s_load_dwordx16 s[8:23], s[0:1], 0x10
	s_branch .LBB30_3
	.section	.rodata,"a",@progbits
	.p2align	6, 0x0
	.amdhsa_kernel _ZN12_GLOBAL__N_120gemm_ex_scale_kernelILi32ELi32EfPKfPfEEviiT1_T2_lllT3_llli
		.amdhsa_group_segment_fixed_size 0
		.amdhsa_private_segment_fixed_size 0
		.amdhsa_kernarg_size 84
		.amdhsa_user_sgpr_count 2
		.amdhsa_user_sgpr_dispatch_ptr 0
		.amdhsa_user_sgpr_queue_ptr 0
		.amdhsa_user_sgpr_kernarg_segment_ptr 1
		.amdhsa_user_sgpr_dispatch_id 0
		.amdhsa_user_sgpr_kernarg_preload_length 0
		.amdhsa_user_sgpr_kernarg_preload_offset 0
		.amdhsa_user_sgpr_private_segment_size 0
		.amdhsa_uses_dynamic_stack 0
		.amdhsa_enable_private_segment 0
		.amdhsa_system_sgpr_workgroup_id_x 1
		.amdhsa_system_sgpr_workgroup_id_y 1
		.amdhsa_system_sgpr_workgroup_id_z 1
		.amdhsa_system_sgpr_workgroup_info 0
		.amdhsa_system_vgpr_workitem_id 1
		.amdhsa_next_free_vgpr 10
		.amdhsa_next_free_sgpr 28
		.amdhsa_accum_offset 12
		.amdhsa_reserve_vcc 1
		.amdhsa_float_round_mode_32 0
		.amdhsa_float_round_mode_16_64 0
		.amdhsa_float_denorm_mode_32 3
		.amdhsa_float_denorm_mode_16_64 3
		.amdhsa_dx10_clamp 1
		.amdhsa_ieee_mode 1
		.amdhsa_fp16_overflow 0
		.amdhsa_tg_split 0
		.amdhsa_exception_fp_ieee_invalid_op 0
		.amdhsa_exception_fp_denorm_src 0
		.amdhsa_exception_fp_ieee_div_zero 0
		.amdhsa_exception_fp_ieee_overflow 0
		.amdhsa_exception_fp_ieee_underflow 0
		.amdhsa_exception_fp_ieee_inexact 0
		.amdhsa_exception_int_div_zero 0
	.end_amdhsa_kernel
	.section	.text._ZN12_GLOBAL__N_120gemm_ex_scale_kernelILi32ELi32EfPKfPfEEviiT1_T2_lllT3_llli,"axG",@progbits,_ZN12_GLOBAL__N_120gemm_ex_scale_kernelILi32ELi32EfPKfPfEEviiT1_T2_lllT3_llli,comdat
.Lfunc_end30:
	.size	_ZN12_GLOBAL__N_120gemm_ex_scale_kernelILi32ELi32EfPKfPfEEviiT1_T2_lllT3_llli, .Lfunc_end30-_ZN12_GLOBAL__N_120gemm_ex_scale_kernelILi32ELi32EfPKfPfEEviiT1_T2_lllT3_llli
                                        ; -- End function
	.set _ZN12_GLOBAL__N_120gemm_ex_scale_kernelILi32ELi32EfPKfPfEEviiT1_T2_lllT3_llli.num_vgpr, 10
	.set _ZN12_GLOBAL__N_120gemm_ex_scale_kernelILi32ELi32EfPKfPfEEviiT1_T2_lllT3_llli.num_agpr, 0
	.set _ZN12_GLOBAL__N_120gemm_ex_scale_kernelILi32ELi32EfPKfPfEEviiT1_T2_lllT3_llli.numbered_sgpr, 28
	.set _ZN12_GLOBAL__N_120gemm_ex_scale_kernelILi32ELi32EfPKfPfEEviiT1_T2_lllT3_llli.num_named_barrier, 0
	.set _ZN12_GLOBAL__N_120gemm_ex_scale_kernelILi32ELi32EfPKfPfEEviiT1_T2_lllT3_llli.private_seg_size, 0
	.set _ZN12_GLOBAL__N_120gemm_ex_scale_kernelILi32ELi32EfPKfPfEEviiT1_T2_lllT3_llli.uses_vcc, 1
	.set _ZN12_GLOBAL__N_120gemm_ex_scale_kernelILi32ELi32EfPKfPfEEviiT1_T2_lllT3_llli.uses_flat_scratch, 0
	.set _ZN12_GLOBAL__N_120gemm_ex_scale_kernelILi32ELi32EfPKfPfEEviiT1_T2_lllT3_llli.has_dyn_sized_stack, 0
	.set _ZN12_GLOBAL__N_120gemm_ex_scale_kernelILi32ELi32EfPKfPfEEviiT1_T2_lllT3_llli.has_recursion, 0
	.set _ZN12_GLOBAL__N_120gemm_ex_scale_kernelILi32ELi32EfPKfPfEEviiT1_T2_lllT3_llli.has_indirect_call, 0
	.section	.AMDGPU.csdata,"",@progbits
; Kernel info:
; codeLenInByte = 320
; TotalNumSgprs: 34
; NumVgprs: 10
; NumAgprs: 0
; TotalNumVgprs: 10
; ScratchSize: 0
; MemoryBound: 0
; FloatMode: 240
; IeeeMode: 1
; LDSByteSize: 0 bytes/workgroup (compile time only)
; SGPRBlocks: 4
; VGPRBlocks: 1
; NumSGPRsForWavesPerEU: 34
; NumVGPRsForWavesPerEU: 10
; AccumOffset: 12
; Occupancy: 8
; WaveLimiterHint : 0
; COMPUTE_PGM_RSRC2:SCRATCH_EN: 0
; COMPUTE_PGM_RSRC2:USER_SGPR: 2
; COMPUTE_PGM_RSRC2:TRAP_HANDLER: 0
; COMPUTE_PGM_RSRC2:TGID_X_EN: 1
; COMPUTE_PGM_RSRC2:TGID_Y_EN: 1
; COMPUTE_PGM_RSRC2:TGID_Z_EN: 1
; COMPUTE_PGM_RSRC2:TIDIG_COMP_CNT: 1
; COMPUTE_PGM_RSRC3_GFX90A:ACCUM_OFFSET: 2
; COMPUTE_PGM_RSRC3_GFX90A:TG_SPLIT: 0
	.section	.text._ZN12_GLOBAL__N_127rocblas_gemm_batched_kernelIfLi16ELi16ELi64ELi64ELi4ELi64ELi4ELi4ELi64ELc78ELc78EKfS1_fEEvlllT_PT11_llS4_llS2_PT12_llPT13_lli,"axG",@progbits,_ZN12_GLOBAL__N_127rocblas_gemm_batched_kernelIfLi16ELi16ELi64ELi64ELi4ELi64ELi4ELi4ELi64ELc78ELc78EKfS1_fEEvlllT_PT11_llS4_llS2_PT12_llPT13_lli,comdat
	.globl	_ZN12_GLOBAL__N_127rocblas_gemm_batched_kernelIfLi16ELi16ELi64ELi64ELi4ELi64ELi4ELi4ELi64ELc78ELc78EKfS1_fEEvlllT_PT11_llS4_llS2_PT12_llPT13_lli ; -- Begin function _ZN12_GLOBAL__N_127rocblas_gemm_batched_kernelIfLi16ELi16ELi64ELi64ELi4ELi64ELi4ELi4ELi64ELc78ELc78EKfS1_fEEvlllT_PT11_llS4_llS2_PT12_llPT13_lli
	.p2align	8
	.type	_ZN12_GLOBAL__N_127rocblas_gemm_batched_kernelIfLi16ELi16ELi64ELi64ELi4ELi64ELi4ELi4ELi64ELc78ELc78EKfS1_fEEvlllT_PT11_llS4_llS2_PT12_llPT13_lli,@function
_ZN12_GLOBAL__N_127rocblas_gemm_batched_kernelIfLi16ELi16ELi64ELi64ELi4ELi64ELi4ELi4ELi64ELc78ELc78EKfS1_fEEvlllT_PT11_llS4_llS2_PT12_llPT13_lli: ; @_ZN12_GLOBAL__N_127rocblas_gemm_batched_kernelIfLi16ELi16ELi64ELi64ELi4ELi64ELi4ELi4ELi64ELc78ELc78EKfS1_fEEvlllT_PT11_llS4_llS2_PT12_llPT13_lli
; %bb.0:
	s_load_dwordx2 s[16:17], s[0:1], 0x10
	s_mov_b32 s6, s3
	v_mov_b32_e32 v15, 0
	s_ashr_i32 s3, s2, 31
	s_ashr_i32 s7, s6, 31
	s_waitcnt lgkmcnt(0)
	v_cmp_lt_i64_e64 s[8:9], s[16:17], 1
	v_bfe_u32 v14, v0, 10, 10
	v_and_b32_e32 v16, 0x3ff, v0
	v_mov_b32_e32 v17, v15
	s_lshl_b64 s[2:3], s[2:3], 6
	s_lshl_b64 s[6:7], s[6:7], 6
	s_and_b64 vcc, exec, s[8:9]
	v_mov_b32_e32 v19, v15
	v_mov_b32_e32 v18, v15
	;; [unrolled: 1-line block ×16, first 2 shown]
	s_cbranch_vccnz .LBB31_3
; %bb.1:
	v_lshlrev_b32_e32 v7, 4, v14
	s_load_dwordx8 s[8:15], s[0:1], 0x20
	s_load_dwordx4 s[20:23], s[0:1], 0x40
	v_add_u32_e32 v6, v7, v16
	v_and_b32_e32 v4, 63, v6
	v_lshrrev_b32_e32 v0, 2, v6
	v_and_b32_e32 v8, 3, v16
	v_lshrrev_b32_e32 v9, 6, v6
	v_lshlrev_b32_e32 v6, 2, v4
	v_mov_b32_e32 v1, 0
	v_lshl_or_b32 v26, v9, 8, v6
	v_lshlrev_b32_e32 v6, 2, v8
	v_lshl_add_u64 v[2:3], v[0:1], 0, s[6:7]
	v_lshl_or_b32 v0, v0, 4, v6
	v_add_u32_e32 v27, 0x400, v0
	v_add_u32_e32 v29, 0x400, v7
	s_waitcnt lgkmcnt(0)
	v_mul_lo_u32 v0, s21, v2
	v_mul_lo_u32 v7, s20, v3
	v_mad_u64_u32 v[2:3], s[18:19], s20, v2, 0
	s_mul_i32 s5, s23, s4
	s_mul_hi_u32 s18, s22, s4
	s_add_i32 s19, s18, s5
	s_mul_i32 s18, s22, s4
	v_add3_u32 v3, v3, v7, v0
	s_lshl_b64 s[18:19], s[18:19], 2
	v_lshl_add_u64 v[2:3], v[2:3], 2, s[18:19]
	v_mov_b32_e32 v7, v1
	v_lshl_add_u64 v[2:3], v[2:3], 0, v[6:7]
	v_lshl_add_u64 v[20:21], s[14:15], 0, v[2:3]
	v_mov_b64_e32 v[2:3], s[2:3]
	s_mul_i32 s5, s13, s4
	s_mul_hi_u32 s13, s12, s4
	v_mad_u64_u32 v[2:3], s[14:15], s10, v9, v[2:3]
	s_add_i32 s13, s13, s5
	s_mul_i32 s12, s12, s4
	v_mov_b32_e32 v0, v3
	s_lshl_b64 s[12:13], s[12:13], 2
	v_mad_u64_u32 v[6:7], s[14:15], s11, v9, v[0:1]
	v_mov_b32_e32 v5, v1
	v_mov_b32_e32 v3, v6
	s_add_u32 s8, s8, s12
	v_lshl_add_u64 v[2:3], v[2:3], 0, v[4:5]
	s_addc_u32 s9, s9, s13
	v_lshlrev_b32_e32 v28, 2, v16
	v_lshl_add_u64 v[22:23], v[2:3], 2, s[8:9]
	s_lshl_b64 s[8:9], s[10:11], 4
	s_mov_b64 s[10:11], 0
	v_mov_b64_e32 v[24:25], s[16:17]
	v_mov_b32_e32 v0, v1
	v_mov_b32_e32 v2, v1
	;; [unrolled: 1-line block ×14, first 2 shown]
.LBB31_2:                               ; =>This Inner Loop Header: Depth=1
	global_load_dword v30, v[22:23], off
	s_add_u32 s10, s10, 4
	s_addc_u32 s11, s11, 0
	v_cmp_lt_i64_e32 vcc, s[10:11], v[24:25]
	v_lshl_add_u64 v[22:23], v[22:23], 0, s[8:9]
	s_and_b64 vcc, exec, vcc
	s_waitcnt vmcnt(0)
	ds_write_b32 v26, v30
	global_load_dword v30, v[20:21], off
	v_lshl_add_u64 v[20:21], v[20:21], 0, 16
	s_waitcnt vmcnt(0)
	ds_write_b32 v27, v30
	s_waitcnt lgkmcnt(0)
	s_barrier
	ds_read_b128 v[30:33], v29
	ds_read2_b32 v[48:49], v28 offset1:16
	ds_read2_b32 v[58:59], v28 offset0:32 offset1:48
	ds_read_b128 v[34:37], v29 offset:256
	ds_read_b128 v[38:41], v29 offset:512
	;; [unrolled: 1-line block ×3, first 2 shown]
	ds_read2_b32 v[50:51], v28 offset0:64 offset1:80
	ds_read2_b32 v[60:61], v28 offset0:96 offset1:112
	ds_read2_b32 v[52:53], v28 offset0:128 offset1:144
	ds_read2_b32 v[62:63], v28 offset0:160 offset1:176
	ds_read2_b32 v[54:55], v28 offset0:192 offset1:208
	ds_read2_b32 v[64:65], v28 offset0:224 offset1:240
	s_waitcnt lgkmcnt(10)
	v_mov_b32_e32 v46, v49
	v_mov_b32_e32 v47, v48
	s_waitcnt lgkmcnt(9)
	v_mov_b32_e32 v56, v59
	v_mov_b32_e32 v57, v58
	v_pk_fma_f32 v[18:19], v[46:47], v[30:31], v[18:19] op_sel_hi:[1,0,1]
	s_waitcnt lgkmcnt(5)
	v_mov_b32_e32 v48, v51
	v_mov_b32_e32 v49, v50
	v_pk_fma_f32 v[12:13], v[56:57], v[30:31], v[12:13] op_sel_hi:[1,0,1]
	;; [unrolled: 4-line block ×3, first 2 shown]
	v_pk_fma_f32 v[4:5], v[56:57], v[38:39], v[4:5] op_sel_hi:[1,0,1]
	v_pk_fma_f32 v[18:19], v[48:49], v[30:31], v[18:19] op_sel:[0,1,0]
	s_waitcnt lgkmcnt(3)
	v_mov_b32_e32 v50, v53
	v_mov_b32_e32 v51, v52
	v_pk_fma_f32 v[12:13], v[58:59], v[30:31], v[12:13] op_sel:[0,1,0]
	s_waitcnt lgkmcnt(2)
	v_mov_b32_e32 v30, v63
	v_mov_b32_e32 v31, v62
	v_pk_fma_f32 v[10:11], v[46:47], v[34:35], v[10:11] op_sel_hi:[1,0,1]
	v_pk_fma_f32 v[8:9], v[56:57], v[34:35], v[8:9] op_sel_hi:[1,0,1]
	v_pk_fma_f32 v[6:7], v[48:49], v[38:39], v[6:7] op_sel:[0,1,0]
	v_pk_fma_f32 v[4:5], v[58:59], v[38:39], v[4:5] op_sel:[0,1,0]
	v_pk_fma_f32 v[2:3], v[46:47], v[42:43], v[2:3] op_sel_hi:[1,0,1]
	v_pk_fma_f32 v[0:1], v[56:57], v[42:43], v[0:1] op_sel_hi:[1,0,1]
	;; [unrolled: 1-line block ×3, first 2 shown]
	s_waitcnt lgkmcnt(1)
	v_mov_b32_e32 v52, v55
	v_mov_b32_e32 v53, v54
	;; [unrolled: 1-line block ×3, first 2 shown]
	v_pk_fma_f32 v[12:13], v[30:31], v[32:33], v[12:13] op_sel_hi:[1,0,1]
	s_waitcnt lgkmcnt(0)
	v_mov_b32_e32 v32, v65
	v_mov_b32_e32 v33, v64
	v_pk_fma_f32 v[10:11], v[48:49], v[34:35], v[10:11] op_sel:[0,1,0]
	v_pk_fma_f32 v[8:9], v[58:59], v[34:35], v[8:9] op_sel:[0,1,0]
	v_pk_fma_f32 v[6:7], v[50:51], v[40:41], v[6:7] op_sel_hi:[1,0,1]
	v_mov_b32_e32 v34, v41
	v_pk_fma_f32 v[4:5], v[30:31], v[40:41], v[4:5] op_sel_hi:[1,0,1]
	v_pk_fma_f32 v[2:3], v[48:49], v[42:43], v[2:3] op_sel:[0,1,0]
	v_pk_fma_f32 v[0:1], v[58:59], v[42:43], v[0:1] op_sel:[0,1,0]
	v_pk_fma_f32 v[18:19], v[52:53], v[54:55], v[18:19] op_sel_hi:[1,0,1]
	v_pk_fma_f32 v[12:13], v[32:33], v[54:55], v[12:13] op_sel_hi:[1,0,1]
	v_pk_fma_f32 v[10:11], v[50:51], v[36:37], v[10:11] op_sel_hi:[1,0,1]
	v_mov_b32_e32 v54, v37
	v_pk_fma_f32 v[8:9], v[30:31], v[36:37], v[8:9] op_sel_hi:[1,0,1]
	v_pk_fma_f32 v[6:7], v[52:53], v[34:35], v[6:7] op_sel_hi:[1,0,1]
	v_pk_fma_f32 v[4:5], v[32:33], v[34:35], v[4:5] op_sel_hi:[1,0,1]
	v_pk_fma_f32 v[2:3], v[50:51], v[44:45], v[2:3] op_sel_hi:[1,0,1]
	v_mov_b32_e32 v34, v45
	v_pk_fma_f32 v[0:1], v[30:31], v[44:45], v[0:1] op_sel_hi:[1,0,1]
	v_pk_fma_f32 v[10:11], v[52:53], v[54:55], v[10:11] op_sel_hi:[1,0,1]
	;; [unrolled: 1-line block ×5, first 2 shown]
	s_barrier
	s_cbranch_vccnz .LBB31_2
.LBB31_3:
	s_load_dwordx4 s[16:19], s[0:1], 0x78
	s_load_dword s5, s[0:1], 0x18
	s_load_dword s20, s[0:1], 0x50
	s_load_dwordx8 s[8:15], s[0:1], 0x58
	v_lshl_add_u64 v[20:21], s[6:7], 0, v[14:15]
	s_waitcnt lgkmcnt(0)
	s_mul_i32 s0, s19, s4
	s_mul_hi_u32 s1, s18, s4
	s_add_i32 s1, s1, s0
	s_mul_i32 s0, s18, s4
	s_lshl_b64 s[0:1], s[0:1], 2
	s_add_u32 s0, s14, s0
	v_cmp_neq_f32_e64 s[6:7], s20, 0
	v_lshl_add_u64 v[14:15], s[2:3], 0, v[16:17]
	s_addc_u32 s1, s15, s1
	s_and_b64 vcc, exec, s[6:7]
	v_mul_lo_u32 v16, v21, s16
	v_mul_lo_u32 v17, v20, s17
	v_lshlrev_b64 v[14:15], 2, v[14:15]
	s_cbranch_vccnz .LBB31_7
; %bb.4:
	v_mad_u64_u32 v[22:23], s[2:3], v20, s16, 0
	v_add3_u32 v23, v23, v17, v16
	v_lshl_add_u64 v[22:23], v[22:23], 2, s[0:1]
	v_mul_f32_e32 v26, s5, v19
	v_lshl_add_u64 v[24:25], v[22:23], 0, v[14:15]
	global_store_dword v[24:25], v26, off
	v_mul_f32_e32 v26, s5, v18
	global_store_dword v[24:25], v26, off offset:64
	v_mul_f32_e32 v26, s5, v13
	s_lshl_b64 s[2:3], s[16:17], 6
	global_store_dword v[24:25], v26, off offset:128
	v_mul_f32_e32 v26, s5, v12
	v_lshl_add_u64 v[22:23], v[22:23], 0, s[2:3]
	global_store_dword v[24:25], v26, off offset:192
	v_mul_f32_e32 v26, s5, v11
	v_lshl_add_u64 v[24:25], v[22:23], 0, v[14:15]
	global_store_dword v[24:25], v26, off
	v_mul_f32_e32 v26, s5, v10
	global_store_dword v[24:25], v26, off offset:64
	v_mul_f32_e32 v26, s5, v9
	global_store_dword v[24:25], v26, off offset:128
	v_mul_f32_e32 v26, s5, v8
	v_lshl_add_u64 v[22:23], v[22:23], 0, s[2:3]
	global_store_dword v[24:25], v26, off offset:192
	v_mul_f32_e32 v26, s5, v7
	v_lshl_add_u64 v[24:25], v[22:23], 0, v[14:15]
	global_store_dword v[24:25], v26, off
	v_mul_f32_e32 v26, s5, v6
	global_store_dword v[24:25], v26, off offset:64
	v_mul_f32_e32 v26, s5, v5
	;; [unrolled: 10-line block ×3, first 2 shown]
	global_store_dword v[22:23], v24, off offset:128
	v_mul_f32_e32 v24, s5, v0
	global_store_dword v[22:23], v24, off offset:192
	s_cbranch_execnz .LBB31_6
.LBB31_5:
	s_mul_i32 s2, s13, s4
	s_mul_hi_u32 s3, s12, s4
	s_add_i32 s3, s3, s2
	s_mul_i32 s2, s12, s4
	s_lshl_b64 s[2:3], s[2:3], 2
	s_add_u32 s2, s8, s2
	v_mul_lo_u32 v21, v21, s10
	v_mul_lo_u32 v24, v20, s11
	v_mad_u64_u32 v[22:23], s[6:7], v20, s10, 0
	s_addc_u32 s3, s9, s3
	v_add3_u32 v23, v23, v24, v21
	v_lshl_add_u64 v[22:23], v[22:23], 2, s[2:3]
	v_lshl_add_u64 v[24:25], v[22:23], 0, v[14:15]
	global_load_dword v26, v[24:25], off
	v_mad_u64_u32 v[20:21], s[2:3], v20, s16, 0
	v_add3_u32 v21, v21, v17, v16
	v_lshl_add_u64 v[16:17], v[20:21], 2, s[0:1]
	v_lshl_add_u64 v[20:21], v[16:17], 0, v[14:15]
	s_lshl_b64 s[0:1], s[10:11], 6
	s_lshl_b64 s[2:3], s[16:17], 6
	s_waitcnt vmcnt(0)
	v_mul_f32_e32 v26, s20, v26
	v_fmac_f32_e32 v26, s5, v19
	global_store_dword v[20:21], v26, off
	global_load_dword v19, v[24:25], off offset:64
	s_waitcnt vmcnt(0)
	v_mul_f32_e32 v19, s20, v19
	v_fmac_f32_e32 v19, s5, v18
	global_store_dword v[20:21], v19, off offset:64
	global_load_dword v18, v[24:25], off offset:128
	s_waitcnt vmcnt(0)
	v_mul_f32_e32 v18, s20, v18
	v_fmac_f32_e32 v18, s5, v13
	global_store_dword v[20:21], v18, off offset:128
	global_load_dword v13, v[24:25], off offset:192
	v_lshl_add_u64 v[18:19], v[22:23], 0, s[0:1]
	v_lshl_add_u64 v[22:23], v[18:19], 0, v[14:15]
	s_waitcnt vmcnt(0)
	v_mul_f32_e32 v13, s20, v13
	v_fmac_f32_e32 v13, s5, v12
	global_store_dword v[20:21], v13, off offset:192
	global_load_dword v20, v[22:23], off
	v_lshl_add_u64 v[12:13], v[16:17], 0, s[2:3]
	v_lshl_add_u64 v[16:17], v[12:13], 0, v[14:15]
	s_waitcnt vmcnt(0)
	v_mul_f32_e32 v20, s20, v20
	v_fmac_f32_e32 v20, s5, v11
	global_store_dword v[16:17], v20, off
	global_load_dword v11, v[22:23], off offset:64
	s_waitcnt vmcnt(0)
	v_mul_f32_e32 v11, s20, v11
	v_fmac_f32_e32 v11, s5, v10
	global_store_dword v[16:17], v11, off offset:64
	global_load_dword v10, v[22:23], off offset:128
	s_waitcnt vmcnt(0)
	v_mul_f32_e32 v10, s20, v10
	v_fmac_f32_e32 v10, s5, v9
	global_store_dword v[16:17], v10, off offset:128
	global_load_dword v9, v[22:23], off offset:192
	v_lshl_add_u64 v[10:11], v[18:19], 0, s[0:1]
	v_lshl_add_u64 v[18:19], v[10:11], 0, v[14:15]
	s_waitcnt vmcnt(0)
	v_mul_f32_e32 v9, s20, v9
	v_fmac_f32_e32 v9, s5, v8
	global_store_dword v[16:17], v9, off offset:192
	global_load_dword v16, v[18:19], off
	v_lshl_add_u64 v[8:9], v[12:13], 0, s[2:3]
	v_lshl_add_u64 v[12:13], v[8:9], 0, v[14:15]
	;; [unrolled: 24-line block ×3, first 2 shown]
	s_waitcnt vmcnt(0)
	v_mul_f32_e32 v8, s20, v10
	v_fmac_f32_e32 v8, s5, v3
	global_store_dword v[4:5], v8, off
	global_load_dword v3, v[6:7], off offset:64
	s_waitcnt vmcnt(0)
	v_mul_f32_e32 v3, s20, v3
	v_fmac_f32_e32 v3, s5, v2
	global_store_dword v[4:5], v3, off offset:64
	global_load_dword v2, v[6:7], off offset:128
	s_waitcnt vmcnt(0)
	v_mul_f32_e32 v2, s20, v2
	v_fmac_f32_e32 v2, s5, v1
	global_store_dword v[4:5], v2, off offset:128
	global_load_dword v1, v[6:7], off offset:192
	s_waitcnt vmcnt(0)
	v_mul_f32_e32 v1, s20, v1
	v_fmac_f32_e32 v1, s5, v0
	global_store_dword v[4:5], v1, off offset:192
.LBB31_6:
	s_endpgm
.LBB31_7:
	s_branch .LBB31_5
	.section	.rodata,"a",@progbits
	.p2align	6, 0x0
	.amdhsa_kernel _ZN12_GLOBAL__N_127rocblas_gemm_batched_kernelIfLi16ELi16ELi64ELi64ELi4ELi64ELi4ELi4ELi64ELc78ELc78EKfS1_fEEvlllT_PT11_llS4_llS2_PT12_llPT13_lli
		.amdhsa_group_segment_fixed_size 2048
		.amdhsa_private_segment_fixed_size 0
		.amdhsa_kernarg_size 140
		.amdhsa_user_sgpr_count 2
		.amdhsa_user_sgpr_dispatch_ptr 0
		.amdhsa_user_sgpr_queue_ptr 0
		.amdhsa_user_sgpr_kernarg_segment_ptr 1
		.amdhsa_user_sgpr_dispatch_id 0
		.amdhsa_user_sgpr_kernarg_preload_length 0
		.amdhsa_user_sgpr_kernarg_preload_offset 0
		.amdhsa_user_sgpr_private_segment_size 0
		.amdhsa_uses_dynamic_stack 0
		.amdhsa_enable_private_segment 0
		.amdhsa_system_sgpr_workgroup_id_x 1
		.amdhsa_system_sgpr_workgroup_id_y 1
		.amdhsa_system_sgpr_workgroup_id_z 1
		.amdhsa_system_sgpr_workgroup_info 0
		.amdhsa_system_vgpr_workitem_id 1
		.amdhsa_next_free_vgpr 66
		.amdhsa_next_free_sgpr 24
		.amdhsa_accum_offset 68
		.amdhsa_reserve_vcc 1
		.amdhsa_float_round_mode_32 0
		.amdhsa_float_round_mode_16_64 0
		.amdhsa_float_denorm_mode_32 3
		.amdhsa_float_denorm_mode_16_64 3
		.amdhsa_dx10_clamp 1
		.amdhsa_ieee_mode 1
		.amdhsa_fp16_overflow 0
		.amdhsa_tg_split 0
		.amdhsa_exception_fp_ieee_invalid_op 0
		.amdhsa_exception_fp_denorm_src 0
		.amdhsa_exception_fp_ieee_div_zero 0
		.amdhsa_exception_fp_ieee_overflow 0
		.amdhsa_exception_fp_ieee_underflow 0
		.amdhsa_exception_fp_ieee_inexact 0
		.amdhsa_exception_int_div_zero 0
	.end_amdhsa_kernel
	.section	.text._ZN12_GLOBAL__N_127rocblas_gemm_batched_kernelIfLi16ELi16ELi64ELi64ELi4ELi64ELi4ELi4ELi64ELc78ELc78EKfS1_fEEvlllT_PT11_llS4_llS2_PT12_llPT13_lli,"axG",@progbits,_ZN12_GLOBAL__N_127rocblas_gemm_batched_kernelIfLi16ELi16ELi64ELi64ELi4ELi64ELi4ELi4ELi64ELc78ELc78EKfS1_fEEvlllT_PT11_llS4_llS2_PT12_llPT13_lli,comdat
.Lfunc_end31:
	.size	_ZN12_GLOBAL__N_127rocblas_gemm_batched_kernelIfLi16ELi16ELi64ELi64ELi4ELi64ELi4ELi4ELi64ELc78ELc78EKfS1_fEEvlllT_PT11_llS4_llS2_PT12_llPT13_lli, .Lfunc_end31-_ZN12_GLOBAL__N_127rocblas_gemm_batched_kernelIfLi16ELi16ELi64ELi64ELi4ELi64ELi4ELi4ELi64ELc78ELc78EKfS1_fEEvlllT_PT11_llS4_llS2_PT12_llPT13_lli
                                        ; -- End function
	.set _ZN12_GLOBAL__N_127rocblas_gemm_batched_kernelIfLi16ELi16ELi64ELi64ELi4ELi64ELi4ELi4ELi64ELc78ELc78EKfS1_fEEvlllT_PT11_llS4_llS2_PT12_llPT13_lli.num_vgpr, 66
	.set _ZN12_GLOBAL__N_127rocblas_gemm_batched_kernelIfLi16ELi16ELi64ELi64ELi4ELi64ELi4ELi4ELi64ELc78ELc78EKfS1_fEEvlllT_PT11_llS4_llS2_PT12_llPT13_lli.num_agpr, 0
	.set _ZN12_GLOBAL__N_127rocblas_gemm_batched_kernelIfLi16ELi16ELi64ELi64ELi4ELi64ELi4ELi4ELi64ELc78ELc78EKfS1_fEEvlllT_PT11_llS4_llS2_PT12_llPT13_lli.numbered_sgpr, 24
	.set _ZN12_GLOBAL__N_127rocblas_gemm_batched_kernelIfLi16ELi16ELi64ELi64ELi4ELi64ELi4ELi4ELi64ELc78ELc78EKfS1_fEEvlllT_PT11_llS4_llS2_PT12_llPT13_lli.num_named_barrier, 0
	.set _ZN12_GLOBAL__N_127rocblas_gemm_batched_kernelIfLi16ELi16ELi64ELi64ELi4ELi64ELi4ELi4ELi64ELc78ELc78EKfS1_fEEvlllT_PT11_llS4_llS2_PT12_llPT13_lli.private_seg_size, 0
	.set _ZN12_GLOBAL__N_127rocblas_gemm_batched_kernelIfLi16ELi16ELi64ELi64ELi4ELi64ELi4ELi4ELi64ELc78ELc78EKfS1_fEEvlllT_PT11_llS4_llS2_PT12_llPT13_lli.uses_vcc, 1
	.set _ZN12_GLOBAL__N_127rocblas_gemm_batched_kernelIfLi16ELi16ELi64ELi64ELi4ELi64ELi4ELi4ELi64ELc78ELc78EKfS1_fEEvlllT_PT11_llS4_llS2_PT12_llPT13_lli.uses_flat_scratch, 0
	.set _ZN12_GLOBAL__N_127rocblas_gemm_batched_kernelIfLi16ELi16ELi64ELi64ELi4ELi64ELi4ELi4ELi64ELc78ELc78EKfS1_fEEvlllT_PT11_llS4_llS2_PT12_llPT13_lli.has_dyn_sized_stack, 0
	.set _ZN12_GLOBAL__N_127rocblas_gemm_batched_kernelIfLi16ELi16ELi64ELi64ELi4ELi64ELi4ELi4ELi64ELc78ELc78EKfS1_fEEvlllT_PT11_llS4_llS2_PT12_llPT13_lli.has_recursion, 0
	.set _ZN12_GLOBAL__N_127rocblas_gemm_batched_kernelIfLi16ELi16ELi64ELi64ELi4ELi64ELi4ELi4ELi64ELc78ELc78EKfS1_fEEvlllT_PT11_llS4_llS2_PT12_llPT13_lli.has_indirect_call, 0
	.section	.AMDGPU.csdata,"",@progbits
; Kernel info:
; codeLenInByte = 2080
; TotalNumSgprs: 30
; NumVgprs: 66
; NumAgprs: 0
; TotalNumVgprs: 66
; ScratchSize: 0
; MemoryBound: 0
; FloatMode: 240
; IeeeMode: 1
; LDSByteSize: 2048 bytes/workgroup (compile time only)
; SGPRBlocks: 3
; VGPRBlocks: 8
; NumSGPRsForWavesPerEU: 30
; NumVGPRsForWavesPerEU: 66
; AccumOffset: 68
; Occupancy: 7
; WaveLimiterHint : 0
; COMPUTE_PGM_RSRC2:SCRATCH_EN: 0
; COMPUTE_PGM_RSRC2:USER_SGPR: 2
; COMPUTE_PGM_RSRC2:TRAP_HANDLER: 0
; COMPUTE_PGM_RSRC2:TGID_X_EN: 1
; COMPUTE_PGM_RSRC2:TGID_Y_EN: 1
; COMPUTE_PGM_RSRC2:TGID_Z_EN: 1
; COMPUTE_PGM_RSRC2:TIDIG_COMP_CNT: 1
; COMPUTE_PGM_RSRC3_GFX90A:ACCUM_OFFSET: 16
; COMPUTE_PGM_RSRC3_GFX90A:TG_SPLIT: 0
	.section	.text._ZN12_GLOBAL__N_127rocblas_gemm_batched_kernelIfLi16ELi16ELi64ELi64ELi4ELi64ELi4ELi4ELi64ELc84ELc78EKfS1_fEEvlllT_PT11_llS4_llS2_PT12_llPT13_lli,"axG",@progbits,_ZN12_GLOBAL__N_127rocblas_gemm_batched_kernelIfLi16ELi16ELi64ELi64ELi4ELi64ELi4ELi4ELi64ELc84ELc78EKfS1_fEEvlllT_PT11_llS4_llS2_PT12_llPT13_lli,comdat
	.globl	_ZN12_GLOBAL__N_127rocblas_gemm_batched_kernelIfLi16ELi16ELi64ELi64ELi4ELi64ELi4ELi4ELi64ELc84ELc78EKfS1_fEEvlllT_PT11_llS4_llS2_PT12_llPT13_lli ; -- Begin function _ZN12_GLOBAL__N_127rocblas_gemm_batched_kernelIfLi16ELi16ELi64ELi64ELi4ELi64ELi4ELi4ELi64ELc84ELc78EKfS1_fEEvlllT_PT11_llS4_llS2_PT12_llPT13_lli
	.p2align	8
	.type	_ZN12_GLOBAL__N_127rocblas_gemm_batched_kernelIfLi16ELi16ELi64ELi64ELi4ELi64ELi4ELi4ELi64ELc84ELc78EKfS1_fEEvlllT_PT11_llS4_llS2_PT12_llPT13_lli,@function
_ZN12_GLOBAL__N_127rocblas_gemm_batched_kernelIfLi16ELi16ELi64ELi64ELi4ELi64ELi4ELi4ELi64ELc84ELc78EKfS1_fEEvlllT_PT11_llS4_llS2_PT12_llPT13_lli: ; @_ZN12_GLOBAL__N_127rocblas_gemm_batched_kernelIfLi16ELi16ELi64ELi64ELi4ELi64ELi4ELi4ELi64ELc84ELc78EKfS1_fEEvlllT_PT11_llS4_llS2_PT12_llPT13_lli
; %bb.0:
	s_load_dwordx2 s[16:17], s[0:1], 0x10
	s_mov_b32 s6, s3
	v_mov_b32_e32 v15, 0
	s_ashr_i32 s3, s2, 31
	s_ashr_i32 s7, s6, 31
	s_waitcnt lgkmcnt(0)
	v_cmp_lt_i64_e64 s[8:9], s[16:17], 1
	v_bfe_u32 v14, v0, 10, 10
	v_and_b32_e32 v16, 0x3ff, v0
	v_mov_b32_e32 v17, v15
	s_lshl_b64 s[2:3], s[2:3], 6
	s_lshl_b64 s[6:7], s[6:7], 6
	s_and_b64 vcc, exec, s[8:9]
	v_mov_b32_e32 v19, v15
	v_mov_b32_e32 v18, v15
	;; [unrolled: 1-line block ×16, first 2 shown]
	s_cbranch_vccnz .LBB32_3
; %bb.1:
	v_lshlrev_b32_e32 v7, 4, v14
	s_load_dwordx8 s[8:15], s[0:1], 0x20
	s_load_dwordx4 s[20:23], s[0:1], 0x40
	v_add_u32_e32 v6, v7, v16
	v_and_b32_e32 v4, 63, v6
	v_lshrrev_b32_e32 v0, 2, v6
	v_and_b32_e32 v8, 3, v16
	v_lshrrev_b32_e32 v9, 6, v6
	v_lshlrev_b32_e32 v6, 2, v4
	v_mov_b32_e32 v1, 0
	v_lshl_or_b32 v26, v9, 8, v6
	v_lshlrev_b32_e32 v6, 2, v8
	v_lshl_add_u64 v[2:3], v[0:1], 0, s[6:7]
	v_lshl_or_b32 v0, v0, 4, v6
	v_add_u32_e32 v27, 0x400, v0
	v_add_u32_e32 v29, 0x400, v7
	s_waitcnt lgkmcnt(0)
	v_mul_lo_u32 v0, s21, v2
	v_mul_lo_u32 v7, s20, v3
	v_mad_u64_u32 v[2:3], s[18:19], s20, v2, 0
	s_mul_i32 s5, s23, s4
	s_mul_hi_u32 s18, s22, s4
	s_add_i32 s19, s18, s5
	s_mul_i32 s18, s22, s4
	v_add3_u32 v3, v3, v7, v0
	s_lshl_b64 s[18:19], s[18:19], 2
	v_lshl_add_u64 v[2:3], v[2:3], 2, s[18:19]
	v_mov_b32_e32 v7, v1
	v_mov_b32_e32 v5, v1
	v_lshl_add_u64 v[2:3], v[2:3], 0, v[6:7]
	v_lshl_add_u64 v[20:21], s[14:15], 0, v[2:3]
	;; [unrolled: 1-line block ×3, first 2 shown]
	v_mul_lo_u32 v0, s11, v2
	v_mul_lo_u32 v4, s10, v3
	v_mad_u64_u32 v[2:3], s[10:11], s10, v2, 0
	s_mul_i32 s5, s13, s4
	s_mul_hi_u32 s10, s12, s4
	s_add_i32 s11, s10, s5
	s_mul_i32 s10, s12, s4
	v_add3_u32 v3, v3, v4, v0
	s_lshl_b64 s[10:11], s[10:11], 2
	v_lshl_add_u64 v[2:3], v[2:3], 2, s[10:11]
	v_lshlrev_b32_e32 v0, 2, v9
	v_lshl_add_u64 v[2:3], v[2:3], 0, v[0:1]
	v_lshlrev_b32_e32 v28, 2, v16
	v_lshl_add_u64 v[22:23], s[8:9], 0, v[2:3]
	s_mov_b64 s[8:9], 0
	v_mov_b64_e32 v[24:25], s[16:17]
	v_mov_b32_e32 v0, v1
	v_mov_b32_e32 v2, v1
	;; [unrolled: 1-line block ×13, first 2 shown]
.LBB32_2:                               ; =>This Inner Loop Header: Depth=1
	global_load_dword v30, v[22:23], off
	s_add_u32 s8, s8, 4
	s_addc_u32 s9, s9, 0
	v_cmp_lt_i64_e32 vcc, s[8:9], v[24:25]
	v_lshl_add_u64 v[22:23], v[22:23], 0, 16
	s_and_b64 vcc, exec, vcc
	s_waitcnt vmcnt(0)
	ds_write_b32 v26, v30
	global_load_dword v30, v[20:21], off
	v_lshl_add_u64 v[20:21], v[20:21], 0, 16
	s_waitcnt vmcnt(0)
	ds_write_b32 v27, v30
	s_waitcnt lgkmcnt(0)
	s_barrier
	ds_read_b128 v[30:33], v29
	ds_read2_b32 v[48:49], v28 offset1:16
	ds_read2_b32 v[58:59], v28 offset0:32 offset1:48
	ds_read_b128 v[34:37], v29 offset:256
	ds_read_b128 v[38:41], v29 offset:512
	;; [unrolled: 1-line block ×3, first 2 shown]
	ds_read2_b32 v[50:51], v28 offset0:64 offset1:80
	ds_read2_b32 v[60:61], v28 offset0:96 offset1:112
	;; [unrolled: 1-line block ×6, first 2 shown]
	s_waitcnt lgkmcnt(10)
	v_mov_b32_e32 v46, v49
	v_mov_b32_e32 v47, v48
	s_waitcnt lgkmcnt(9)
	v_mov_b32_e32 v56, v59
	v_mov_b32_e32 v57, v58
	v_pk_fma_f32 v[18:19], v[46:47], v[30:31], v[18:19] op_sel_hi:[1,0,1]
	s_waitcnt lgkmcnt(5)
	v_mov_b32_e32 v48, v51
	v_mov_b32_e32 v49, v50
	v_pk_fma_f32 v[12:13], v[56:57], v[30:31], v[12:13] op_sel_hi:[1,0,1]
	;; [unrolled: 4-line block ×3, first 2 shown]
	v_pk_fma_f32 v[4:5], v[56:57], v[38:39], v[4:5] op_sel_hi:[1,0,1]
	v_pk_fma_f32 v[18:19], v[48:49], v[30:31], v[18:19] op_sel:[0,1,0]
	s_waitcnt lgkmcnt(3)
	v_mov_b32_e32 v50, v53
	v_mov_b32_e32 v51, v52
	v_pk_fma_f32 v[12:13], v[58:59], v[30:31], v[12:13] op_sel:[0,1,0]
	s_waitcnt lgkmcnt(2)
	v_mov_b32_e32 v30, v63
	v_mov_b32_e32 v31, v62
	v_pk_fma_f32 v[10:11], v[46:47], v[34:35], v[10:11] op_sel_hi:[1,0,1]
	v_pk_fma_f32 v[8:9], v[56:57], v[34:35], v[8:9] op_sel_hi:[1,0,1]
	v_pk_fma_f32 v[6:7], v[48:49], v[38:39], v[6:7] op_sel:[0,1,0]
	v_pk_fma_f32 v[4:5], v[58:59], v[38:39], v[4:5] op_sel:[0,1,0]
	v_pk_fma_f32 v[2:3], v[46:47], v[42:43], v[2:3] op_sel_hi:[1,0,1]
	v_pk_fma_f32 v[0:1], v[56:57], v[42:43], v[0:1] op_sel_hi:[1,0,1]
	;; [unrolled: 1-line block ×3, first 2 shown]
	s_waitcnt lgkmcnt(1)
	v_mov_b32_e32 v52, v55
	v_mov_b32_e32 v53, v54
	;; [unrolled: 1-line block ×3, first 2 shown]
	v_pk_fma_f32 v[12:13], v[30:31], v[32:33], v[12:13] op_sel_hi:[1,0,1]
	s_waitcnt lgkmcnt(0)
	v_mov_b32_e32 v32, v65
	v_mov_b32_e32 v33, v64
	v_pk_fma_f32 v[10:11], v[48:49], v[34:35], v[10:11] op_sel:[0,1,0]
	v_pk_fma_f32 v[8:9], v[58:59], v[34:35], v[8:9] op_sel:[0,1,0]
	v_pk_fma_f32 v[6:7], v[50:51], v[40:41], v[6:7] op_sel_hi:[1,0,1]
	v_mov_b32_e32 v34, v41
	v_pk_fma_f32 v[4:5], v[30:31], v[40:41], v[4:5] op_sel_hi:[1,0,1]
	v_pk_fma_f32 v[2:3], v[48:49], v[42:43], v[2:3] op_sel:[0,1,0]
	v_pk_fma_f32 v[0:1], v[58:59], v[42:43], v[0:1] op_sel:[0,1,0]
	v_pk_fma_f32 v[18:19], v[52:53], v[54:55], v[18:19] op_sel_hi:[1,0,1]
	v_pk_fma_f32 v[12:13], v[32:33], v[54:55], v[12:13] op_sel_hi:[1,0,1]
	;; [unrolled: 1-line block ×3, first 2 shown]
	v_mov_b32_e32 v54, v37
	v_pk_fma_f32 v[8:9], v[30:31], v[36:37], v[8:9] op_sel_hi:[1,0,1]
	v_pk_fma_f32 v[6:7], v[52:53], v[34:35], v[6:7] op_sel_hi:[1,0,1]
	;; [unrolled: 1-line block ×4, first 2 shown]
	v_mov_b32_e32 v34, v45
	v_pk_fma_f32 v[0:1], v[30:31], v[44:45], v[0:1] op_sel_hi:[1,0,1]
	v_pk_fma_f32 v[10:11], v[52:53], v[54:55], v[10:11] op_sel_hi:[1,0,1]
	;; [unrolled: 1-line block ×5, first 2 shown]
	s_barrier
	s_cbranch_vccnz .LBB32_2
.LBB32_3:
	s_load_dwordx4 s[16:19], s[0:1], 0x78
	s_load_dword s5, s[0:1], 0x18
	s_load_dword s20, s[0:1], 0x50
	s_load_dwordx8 s[8:15], s[0:1], 0x58
	v_lshl_add_u64 v[20:21], s[6:7], 0, v[14:15]
	s_waitcnt lgkmcnt(0)
	s_mul_i32 s0, s19, s4
	s_mul_hi_u32 s1, s18, s4
	s_add_i32 s1, s1, s0
	s_mul_i32 s0, s18, s4
	s_lshl_b64 s[0:1], s[0:1], 2
	s_add_u32 s0, s14, s0
	v_cmp_neq_f32_e64 s[6:7], s20, 0
	v_lshl_add_u64 v[14:15], s[2:3], 0, v[16:17]
	s_addc_u32 s1, s15, s1
	s_and_b64 vcc, exec, s[6:7]
	v_mul_lo_u32 v16, v21, s16
	v_mul_lo_u32 v17, v20, s17
	v_lshlrev_b64 v[14:15], 2, v[14:15]
	s_cbranch_vccnz .LBB32_7
; %bb.4:
	v_mad_u64_u32 v[22:23], s[2:3], v20, s16, 0
	v_add3_u32 v23, v23, v17, v16
	v_lshl_add_u64 v[22:23], v[22:23], 2, s[0:1]
	v_mul_f32_e32 v26, s5, v19
	v_lshl_add_u64 v[24:25], v[22:23], 0, v[14:15]
	global_store_dword v[24:25], v26, off
	v_mul_f32_e32 v26, s5, v18
	global_store_dword v[24:25], v26, off offset:64
	v_mul_f32_e32 v26, s5, v13
	s_lshl_b64 s[2:3], s[16:17], 6
	global_store_dword v[24:25], v26, off offset:128
	v_mul_f32_e32 v26, s5, v12
	v_lshl_add_u64 v[22:23], v[22:23], 0, s[2:3]
	global_store_dword v[24:25], v26, off offset:192
	v_mul_f32_e32 v26, s5, v11
	v_lshl_add_u64 v[24:25], v[22:23], 0, v[14:15]
	global_store_dword v[24:25], v26, off
	v_mul_f32_e32 v26, s5, v10
	global_store_dword v[24:25], v26, off offset:64
	v_mul_f32_e32 v26, s5, v9
	global_store_dword v[24:25], v26, off offset:128
	v_mul_f32_e32 v26, s5, v8
	v_lshl_add_u64 v[22:23], v[22:23], 0, s[2:3]
	global_store_dword v[24:25], v26, off offset:192
	v_mul_f32_e32 v26, s5, v7
	v_lshl_add_u64 v[24:25], v[22:23], 0, v[14:15]
	global_store_dword v[24:25], v26, off
	v_mul_f32_e32 v26, s5, v6
	global_store_dword v[24:25], v26, off offset:64
	v_mul_f32_e32 v26, s5, v5
	;; [unrolled: 10-line block ×3, first 2 shown]
	global_store_dword v[22:23], v24, off offset:128
	v_mul_f32_e32 v24, s5, v0
	global_store_dword v[22:23], v24, off offset:192
	s_cbranch_execnz .LBB32_6
.LBB32_5:
	s_mul_i32 s2, s13, s4
	s_mul_hi_u32 s3, s12, s4
	s_add_i32 s3, s3, s2
	s_mul_i32 s2, s12, s4
	s_lshl_b64 s[2:3], s[2:3], 2
	s_add_u32 s2, s8, s2
	v_mul_lo_u32 v21, v21, s10
	v_mul_lo_u32 v24, v20, s11
	v_mad_u64_u32 v[22:23], s[6:7], v20, s10, 0
	s_addc_u32 s3, s9, s3
	v_add3_u32 v23, v23, v24, v21
	v_lshl_add_u64 v[22:23], v[22:23], 2, s[2:3]
	v_lshl_add_u64 v[24:25], v[22:23], 0, v[14:15]
	global_load_dword v26, v[24:25], off
	v_mad_u64_u32 v[20:21], s[2:3], v20, s16, 0
	v_add3_u32 v21, v21, v17, v16
	v_lshl_add_u64 v[16:17], v[20:21], 2, s[0:1]
	v_lshl_add_u64 v[20:21], v[16:17], 0, v[14:15]
	s_lshl_b64 s[0:1], s[10:11], 6
	s_lshl_b64 s[2:3], s[16:17], 6
	s_waitcnt vmcnt(0)
	v_mul_f32_e32 v26, s20, v26
	v_fmac_f32_e32 v26, s5, v19
	global_store_dword v[20:21], v26, off
	global_load_dword v19, v[24:25], off offset:64
	s_waitcnt vmcnt(0)
	v_mul_f32_e32 v19, s20, v19
	v_fmac_f32_e32 v19, s5, v18
	global_store_dword v[20:21], v19, off offset:64
	global_load_dword v18, v[24:25], off offset:128
	s_waitcnt vmcnt(0)
	v_mul_f32_e32 v18, s20, v18
	v_fmac_f32_e32 v18, s5, v13
	global_store_dword v[20:21], v18, off offset:128
	global_load_dword v13, v[24:25], off offset:192
	v_lshl_add_u64 v[18:19], v[22:23], 0, s[0:1]
	v_lshl_add_u64 v[22:23], v[18:19], 0, v[14:15]
	s_waitcnt vmcnt(0)
	v_mul_f32_e32 v13, s20, v13
	v_fmac_f32_e32 v13, s5, v12
	global_store_dword v[20:21], v13, off offset:192
	global_load_dword v20, v[22:23], off
	v_lshl_add_u64 v[12:13], v[16:17], 0, s[2:3]
	v_lshl_add_u64 v[16:17], v[12:13], 0, v[14:15]
	s_waitcnt vmcnt(0)
	v_mul_f32_e32 v20, s20, v20
	v_fmac_f32_e32 v20, s5, v11
	global_store_dword v[16:17], v20, off
	global_load_dword v11, v[22:23], off offset:64
	s_waitcnt vmcnt(0)
	v_mul_f32_e32 v11, s20, v11
	v_fmac_f32_e32 v11, s5, v10
	global_store_dword v[16:17], v11, off offset:64
	global_load_dword v10, v[22:23], off offset:128
	s_waitcnt vmcnt(0)
	v_mul_f32_e32 v10, s20, v10
	v_fmac_f32_e32 v10, s5, v9
	global_store_dword v[16:17], v10, off offset:128
	global_load_dword v9, v[22:23], off offset:192
	v_lshl_add_u64 v[10:11], v[18:19], 0, s[0:1]
	v_lshl_add_u64 v[18:19], v[10:11], 0, v[14:15]
	s_waitcnt vmcnt(0)
	v_mul_f32_e32 v9, s20, v9
	v_fmac_f32_e32 v9, s5, v8
	global_store_dword v[16:17], v9, off offset:192
	global_load_dword v16, v[18:19], off
	v_lshl_add_u64 v[8:9], v[12:13], 0, s[2:3]
	v_lshl_add_u64 v[12:13], v[8:9], 0, v[14:15]
	s_waitcnt vmcnt(0)
	v_mul_f32_e32 v16, s20, v16
	v_fmac_f32_e32 v16, s5, v7
	global_store_dword v[12:13], v16, off
	global_load_dword v7, v[18:19], off offset:64
	s_waitcnt vmcnt(0)
	v_mul_f32_e32 v7, s20, v7
	v_fmac_f32_e32 v7, s5, v6
	global_store_dword v[12:13], v7, off offset:64
	global_load_dword v6, v[18:19], off offset:128
	s_waitcnt vmcnt(0)
	v_mul_f32_e32 v6, s20, v6
	v_fmac_f32_e32 v6, s5, v5
	global_store_dword v[12:13], v6, off offset:128
	global_load_dword v5, v[18:19], off offset:192
	v_lshl_add_u64 v[6:7], v[10:11], 0, s[0:1]
	v_lshl_add_u64 v[6:7], v[6:7], 0, v[14:15]
	s_waitcnt vmcnt(0)
	v_mul_f32_e32 v5, s20, v5
	v_fmac_f32_e32 v5, s5, v4
	global_store_dword v[12:13], v5, off offset:192
	global_load_dword v10, v[6:7], off
	v_lshl_add_u64 v[4:5], v[8:9], 0, s[2:3]
	v_lshl_add_u64 v[4:5], v[4:5], 0, v[14:15]
	s_waitcnt vmcnt(0)
	v_mul_f32_e32 v8, s20, v10
	v_fmac_f32_e32 v8, s5, v3
	global_store_dword v[4:5], v8, off
	global_load_dword v3, v[6:7], off offset:64
	s_waitcnt vmcnt(0)
	v_mul_f32_e32 v3, s20, v3
	v_fmac_f32_e32 v3, s5, v2
	global_store_dword v[4:5], v3, off offset:64
	global_load_dword v2, v[6:7], off offset:128
	s_waitcnt vmcnt(0)
	v_mul_f32_e32 v2, s20, v2
	v_fmac_f32_e32 v2, s5, v1
	global_store_dword v[4:5], v2, off offset:128
	;; [unrolled: 5-line block ×3, first 2 shown]
.LBB32_6:
	s_endpgm
.LBB32_7:
	s_branch .LBB32_5
	.section	.rodata,"a",@progbits
	.p2align	6, 0x0
	.amdhsa_kernel _ZN12_GLOBAL__N_127rocblas_gemm_batched_kernelIfLi16ELi16ELi64ELi64ELi4ELi64ELi4ELi4ELi64ELc84ELc78EKfS1_fEEvlllT_PT11_llS4_llS2_PT12_llPT13_lli
		.amdhsa_group_segment_fixed_size 2048
		.amdhsa_private_segment_fixed_size 0
		.amdhsa_kernarg_size 140
		.amdhsa_user_sgpr_count 2
		.amdhsa_user_sgpr_dispatch_ptr 0
		.amdhsa_user_sgpr_queue_ptr 0
		.amdhsa_user_sgpr_kernarg_segment_ptr 1
		.amdhsa_user_sgpr_dispatch_id 0
		.amdhsa_user_sgpr_kernarg_preload_length 0
		.amdhsa_user_sgpr_kernarg_preload_offset 0
		.amdhsa_user_sgpr_private_segment_size 0
		.amdhsa_uses_dynamic_stack 0
		.amdhsa_enable_private_segment 0
		.amdhsa_system_sgpr_workgroup_id_x 1
		.amdhsa_system_sgpr_workgroup_id_y 1
		.amdhsa_system_sgpr_workgroup_id_z 1
		.amdhsa_system_sgpr_workgroup_info 0
		.amdhsa_system_vgpr_workitem_id 1
		.amdhsa_next_free_vgpr 66
		.amdhsa_next_free_sgpr 24
		.amdhsa_accum_offset 68
		.amdhsa_reserve_vcc 1
		.amdhsa_float_round_mode_32 0
		.amdhsa_float_round_mode_16_64 0
		.amdhsa_float_denorm_mode_32 3
		.amdhsa_float_denorm_mode_16_64 3
		.amdhsa_dx10_clamp 1
		.amdhsa_ieee_mode 1
		.amdhsa_fp16_overflow 0
		.amdhsa_tg_split 0
		.amdhsa_exception_fp_ieee_invalid_op 0
		.amdhsa_exception_fp_denorm_src 0
		.amdhsa_exception_fp_ieee_div_zero 0
		.amdhsa_exception_fp_ieee_overflow 0
		.amdhsa_exception_fp_ieee_underflow 0
		.amdhsa_exception_fp_ieee_inexact 0
		.amdhsa_exception_int_div_zero 0
	.end_amdhsa_kernel
	.section	.text._ZN12_GLOBAL__N_127rocblas_gemm_batched_kernelIfLi16ELi16ELi64ELi64ELi4ELi64ELi4ELi4ELi64ELc84ELc78EKfS1_fEEvlllT_PT11_llS4_llS2_PT12_llPT13_lli,"axG",@progbits,_ZN12_GLOBAL__N_127rocblas_gemm_batched_kernelIfLi16ELi16ELi64ELi64ELi4ELi64ELi4ELi4ELi64ELc84ELc78EKfS1_fEEvlllT_PT11_llS4_llS2_PT12_llPT13_lli,comdat
.Lfunc_end32:
	.size	_ZN12_GLOBAL__N_127rocblas_gemm_batched_kernelIfLi16ELi16ELi64ELi64ELi4ELi64ELi4ELi4ELi64ELc84ELc78EKfS1_fEEvlllT_PT11_llS4_llS2_PT12_llPT13_lli, .Lfunc_end32-_ZN12_GLOBAL__N_127rocblas_gemm_batched_kernelIfLi16ELi16ELi64ELi64ELi4ELi64ELi4ELi4ELi64ELc84ELc78EKfS1_fEEvlllT_PT11_llS4_llS2_PT12_llPT13_lli
                                        ; -- End function
	.set _ZN12_GLOBAL__N_127rocblas_gemm_batched_kernelIfLi16ELi16ELi64ELi64ELi4ELi64ELi4ELi4ELi64ELc84ELc78EKfS1_fEEvlllT_PT11_llS4_llS2_PT12_llPT13_lli.num_vgpr, 66
	.set _ZN12_GLOBAL__N_127rocblas_gemm_batched_kernelIfLi16ELi16ELi64ELi64ELi4ELi64ELi4ELi4ELi64ELc84ELc78EKfS1_fEEvlllT_PT11_llS4_llS2_PT12_llPT13_lli.num_agpr, 0
	.set _ZN12_GLOBAL__N_127rocblas_gemm_batched_kernelIfLi16ELi16ELi64ELi64ELi4ELi64ELi4ELi4ELi64ELc84ELc78EKfS1_fEEvlllT_PT11_llS4_llS2_PT12_llPT13_lli.numbered_sgpr, 24
	.set _ZN12_GLOBAL__N_127rocblas_gemm_batched_kernelIfLi16ELi16ELi64ELi64ELi4ELi64ELi4ELi4ELi64ELc84ELc78EKfS1_fEEvlllT_PT11_llS4_llS2_PT12_llPT13_lli.num_named_barrier, 0
	.set _ZN12_GLOBAL__N_127rocblas_gemm_batched_kernelIfLi16ELi16ELi64ELi64ELi4ELi64ELi4ELi4ELi64ELc84ELc78EKfS1_fEEvlllT_PT11_llS4_llS2_PT12_llPT13_lli.private_seg_size, 0
	.set _ZN12_GLOBAL__N_127rocblas_gemm_batched_kernelIfLi16ELi16ELi64ELi64ELi4ELi64ELi4ELi4ELi64ELc84ELc78EKfS1_fEEvlllT_PT11_llS4_llS2_PT12_llPT13_lli.uses_vcc, 1
	.set _ZN12_GLOBAL__N_127rocblas_gemm_batched_kernelIfLi16ELi16ELi64ELi64ELi4ELi64ELi4ELi4ELi64ELc84ELc78EKfS1_fEEvlllT_PT11_llS4_llS2_PT12_llPT13_lli.uses_flat_scratch, 0
	.set _ZN12_GLOBAL__N_127rocblas_gemm_batched_kernelIfLi16ELi16ELi64ELi64ELi4ELi64ELi4ELi4ELi64ELc84ELc78EKfS1_fEEvlllT_PT11_llS4_llS2_PT12_llPT13_lli.has_dyn_sized_stack, 0
	.set _ZN12_GLOBAL__N_127rocblas_gemm_batched_kernelIfLi16ELi16ELi64ELi64ELi4ELi64ELi4ELi4ELi64ELc84ELc78EKfS1_fEEvlllT_PT11_llS4_llS2_PT12_llPT13_lli.has_recursion, 0
	.set _ZN12_GLOBAL__N_127rocblas_gemm_batched_kernelIfLi16ELi16ELi64ELi64ELi4ELi64ELi4ELi4ELi64ELc84ELc78EKfS1_fEEvlllT_PT11_llS4_llS2_PT12_llPT13_lli.has_indirect_call, 0
	.section	.AMDGPU.csdata,"",@progbits
; Kernel info:
; codeLenInByte = 2088
; TotalNumSgprs: 30
; NumVgprs: 66
; NumAgprs: 0
; TotalNumVgprs: 66
; ScratchSize: 0
; MemoryBound: 0
; FloatMode: 240
; IeeeMode: 1
; LDSByteSize: 2048 bytes/workgroup (compile time only)
; SGPRBlocks: 3
; VGPRBlocks: 8
; NumSGPRsForWavesPerEU: 30
; NumVGPRsForWavesPerEU: 66
; AccumOffset: 68
; Occupancy: 7
; WaveLimiterHint : 0
; COMPUTE_PGM_RSRC2:SCRATCH_EN: 0
; COMPUTE_PGM_RSRC2:USER_SGPR: 2
; COMPUTE_PGM_RSRC2:TRAP_HANDLER: 0
; COMPUTE_PGM_RSRC2:TGID_X_EN: 1
; COMPUTE_PGM_RSRC2:TGID_Y_EN: 1
; COMPUTE_PGM_RSRC2:TGID_Z_EN: 1
; COMPUTE_PGM_RSRC2:TIDIG_COMP_CNT: 1
; COMPUTE_PGM_RSRC3_GFX90A:ACCUM_OFFSET: 16
; COMPUTE_PGM_RSRC3_GFX90A:TG_SPLIT: 0
	.section	.text._ZN12_GLOBAL__N_127rocblas_gemm_batched_kernelIfLi16ELi16ELi64ELi64ELi4ELi64ELi4ELi4ELi64ELc78ELc84EKfS1_fEEvlllT_PT11_llS4_llS2_PT12_llPT13_lli,"axG",@progbits,_ZN12_GLOBAL__N_127rocblas_gemm_batched_kernelIfLi16ELi16ELi64ELi64ELi4ELi64ELi4ELi4ELi64ELc78ELc84EKfS1_fEEvlllT_PT11_llS4_llS2_PT12_llPT13_lli,comdat
	.globl	_ZN12_GLOBAL__N_127rocblas_gemm_batched_kernelIfLi16ELi16ELi64ELi64ELi4ELi64ELi4ELi4ELi64ELc78ELc84EKfS1_fEEvlllT_PT11_llS4_llS2_PT12_llPT13_lli ; -- Begin function _ZN12_GLOBAL__N_127rocblas_gemm_batched_kernelIfLi16ELi16ELi64ELi64ELi4ELi64ELi4ELi4ELi64ELc78ELc84EKfS1_fEEvlllT_PT11_llS4_llS2_PT12_llPT13_lli
	.p2align	8
	.type	_ZN12_GLOBAL__N_127rocblas_gemm_batched_kernelIfLi16ELi16ELi64ELi64ELi4ELi64ELi4ELi4ELi64ELc78ELc84EKfS1_fEEvlllT_PT11_llS4_llS2_PT12_llPT13_lli,@function
_ZN12_GLOBAL__N_127rocblas_gemm_batched_kernelIfLi16ELi16ELi64ELi64ELi4ELi64ELi4ELi4ELi64ELc78ELc84EKfS1_fEEvlllT_PT11_llS4_llS2_PT12_llPT13_lli: ; @_ZN12_GLOBAL__N_127rocblas_gemm_batched_kernelIfLi16ELi16ELi64ELi64ELi4ELi64ELi4ELi4ELi64ELc78ELc84EKfS1_fEEvlllT_PT11_llS4_llS2_PT12_llPT13_lli
; %bb.0:
	s_load_dwordx2 s[16:17], s[0:1], 0x10
	s_mov_b32 s6, s3
	v_mov_b32_e32 v15, 0
	s_ashr_i32 s3, s2, 31
	s_ashr_i32 s7, s6, 31
	s_waitcnt lgkmcnt(0)
	v_cmp_lt_i64_e64 s[8:9], s[16:17], 1
	v_bfe_u32 v14, v0, 10, 10
	v_and_b32_e32 v16, 0x3ff, v0
	v_mov_b32_e32 v17, v15
	s_lshl_b64 s[2:3], s[2:3], 6
	s_lshl_b64 s[6:7], s[6:7], 6
	s_and_b64 vcc, exec, s[8:9]
	v_mov_b32_e32 v19, v15
	v_mov_b32_e32 v18, v15
	v_mov_b32_e32 v13, v15
	v_mov_b32_e32 v12, v15
	v_mov_b32_e32 v11, v15
	v_mov_b32_e32 v10, v15
	v_mov_b32_e32 v9, v15
	v_mov_b32_e32 v8, v15
	v_mov_b32_e32 v7, v15
	v_mov_b32_e32 v6, v15
	v_mov_b32_e32 v5, v15
	v_mov_b32_e32 v4, v15
	v_mov_b32_e32 v3, v15
	v_mov_b32_e32 v2, v15
	v_mov_b32_e32 v1, v15
	v_mov_b32_e32 v0, v15
	s_cbranch_vccnz .LBB33_3
; %bb.1:
	s_load_dwordx8 s[8:15], s[0:1], 0x20
	s_load_dwordx4 s[20:23], s[0:1], 0x40
	v_lshlrev_b32_e32 v4, 4, v14
	v_add_u32_e32 v5, v4, v16
	v_and_b32_e32 v2, 63, v5
	v_lshrrev_b32_e32 v0, 2, v5
	v_and_b32_e32 v6, 3, v16
	v_lshrrev_b32_e32 v8, 6, v5
	v_lshlrev_b32_e32 v5, 2, v2
	v_lshl_or_b32 v26, v8, 8, v5
	v_lshlrev_b32_e32 v5, 2, v6
	v_mov_b32_e32 v1, 0
	v_lshl_or_b32 v5, v0, 4, v5
	s_waitcnt lgkmcnt(0)
	s_mul_i32 s5, s23, s4
	s_mul_hi_u32 s18, s22, s4
	v_add_u32_e32 v27, 0x400, v5
	v_add_u32_e32 v29, 0x400, v4
	s_add_i32 s19, s18, s5
	s_mul_i32 s18, s22, s4
	v_mad_u64_u32 v[4:5], s[22:23], s20, v6, v[0:1]
	v_mov_b32_e32 v0, v5
	s_lshl_b64 s[18:19], s[18:19], 2
	v_mad_u64_u32 v[6:7], s[22:23], s21, v6, v[0:1]
	v_mov_b32_e32 v5, v6
	s_add_u32 s14, s14, s18
	v_lshl_add_u64 v[4:5], v[4:5], 0, s[6:7]
	s_addc_u32 s15, s15, s19
	v_lshl_add_u64 v[20:21], v[4:5], 2, s[14:15]
	v_mov_b64_e32 v[4:5], s[2:3]
	s_mul_i32 s5, s13, s4
	s_mul_hi_u32 s13, s12, s4
	v_mad_u64_u32 v[4:5], s[18:19], s10, v8, v[4:5]
	s_add_i32 s13, s13, s5
	s_mul_i32 s12, s12, s4
	v_mov_b32_e32 v0, v5
	s_lshl_b64 s[14:15], s[20:21], 4
	s_lshl_b64 s[12:13], s[12:13], 2
	v_mad_u64_u32 v[6:7], s[18:19], s11, v8, v[0:1]
	v_mov_b32_e32 v3, v1
	v_mov_b32_e32 v5, v6
	s_add_u32 s8, s8, s12
	v_lshl_add_u64 v[2:3], v[4:5], 0, v[2:3]
	s_addc_u32 s9, s9, s13
	v_lshlrev_b32_e32 v28, 2, v16
	v_lshl_add_u64 v[22:23], v[2:3], 2, s[8:9]
	s_lshl_b64 s[8:9], s[10:11], 4
	s_mov_b64 s[10:11], 0
	v_mov_b64_e32 v[24:25], s[16:17]
	v_mov_b32_e32 v0, v1
	v_mov_b32_e32 v2, v1
	;; [unrolled: 1-line block ×15, first 2 shown]
.LBB33_2:                               ; =>This Inner Loop Header: Depth=1
	global_load_dword v30, v[22:23], off
	s_add_u32 s10, s10, 4
	s_addc_u32 s11, s11, 0
	v_cmp_lt_i64_e32 vcc, s[10:11], v[24:25]
	v_lshl_add_u64 v[22:23], v[22:23], 0, s[8:9]
	s_and_b64 vcc, exec, vcc
	s_waitcnt vmcnt(0)
	ds_write_b32 v26, v30
	global_load_dword v30, v[20:21], off
	v_lshl_add_u64 v[20:21], v[20:21], 0, s[14:15]
	s_waitcnt vmcnt(0)
	ds_write_b32 v27, v30
	s_waitcnt lgkmcnt(0)
	s_barrier
	ds_read_b128 v[30:33], v29
	ds_read2_b32 v[48:49], v28 offset1:16
	ds_read2_b32 v[58:59], v28 offset0:32 offset1:48
	ds_read_b128 v[34:37], v29 offset:256
	ds_read_b128 v[38:41], v29 offset:512
	ds_read_b128 v[42:45], v29 offset:768
	ds_read2_b32 v[50:51], v28 offset0:64 offset1:80
	ds_read2_b32 v[60:61], v28 offset0:96 offset1:112
	;; [unrolled: 1-line block ×6, first 2 shown]
	s_waitcnt lgkmcnt(10)
	v_mov_b32_e32 v46, v49
	v_mov_b32_e32 v47, v48
	s_waitcnt lgkmcnt(9)
	v_mov_b32_e32 v56, v59
	v_mov_b32_e32 v57, v58
	v_pk_fma_f32 v[18:19], v[46:47], v[30:31], v[18:19] op_sel_hi:[1,0,1]
	s_waitcnt lgkmcnt(5)
	v_mov_b32_e32 v48, v51
	v_mov_b32_e32 v49, v50
	v_pk_fma_f32 v[12:13], v[56:57], v[30:31], v[12:13] op_sel_hi:[1,0,1]
	s_waitcnt lgkmcnt(4)
	v_mov_b32_e32 v58, v61
	v_mov_b32_e32 v59, v60
	v_pk_fma_f32 v[6:7], v[46:47], v[38:39], v[6:7] op_sel_hi:[1,0,1]
	v_pk_fma_f32 v[4:5], v[56:57], v[38:39], v[4:5] op_sel_hi:[1,0,1]
	v_pk_fma_f32 v[18:19], v[48:49], v[30:31], v[18:19] op_sel:[0,1,0]
	s_waitcnt lgkmcnt(3)
	v_mov_b32_e32 v50, v53
	v_mov_b32_e32 v51, v52
	v_pk_fma_f32 v[12:13], v[58:59], v[30:31], v[12:13] op_sel:[0,1,0]
	s_waitcnt lgkmcnt(2)
	v_mov_b32_e32 v30, v63
	v_mov_b32_e32 v31, v62
	v_pk_fma_f32 v[10:11], v[46:47], v[34:35], v[10:11] op_sel_hi:[1,0,1]
	v_pk_fma_f32 v[8:9], v[56:57], v[34:35], v[8:9] op_sel_hi:[1,0,1]
	v_pk_fma_f32 v[6:7], v[48:49], v[38:39], v[6:7] op_sel:[0,1,0]
	v_pk_fma_f32 v[4:5], v[58:59], v[38:39], v[4:5] op_sel:[0,1,0]
	v_pk_fma_f32 v[2:3], v[46:47], v[42:43], v[2:3] op_sel_hi:[1,0,1]
	v_pk_fma_f32 v[0:1], v[56:57], v[42:43], v[0:1] op_sel_hi:[1,0,1]
	;; [unrolled: 1-line block ×3, first 2 shown]
	s_waitcnt lgkmcnt(1)
	v_mov_b32_e32 v52, v55
	v_mov_b32_e32 v53, v54
	;; [unrolled: 1-line block ×3, first 2 shown]
	v_pk_fma_f32 v[12:13], v[30:31], v[32:33], v[12:13] op_sel_hi:[1,0,1]
	s_waitcnt lgkmcnt(0)
	v_mov_b32_e32 v32, v65
	v_mov_b32_e32 v33, v64
	v_pk_fma_f32 v[10:11], v[48:49], v[34:35], v[10:11] op_sel:[0,1,0]
	v_pk_fma_f32 v[8:9], v[58:59], v[34:35], v[8:9] op_sel:[0,1,0]
	v_pk_fma_f32 v[6:7], v[50:51], v[40:41], v[6:7] op_sel_hi:[1,0,1]
	v_mov_b32_e32 v34, v41
	v_pk_fma_f32 v[4:5], v[30:31], v[40:41], v[4:5] op_sel_hi:[1,0,1]
	v_pk_fma_f32 v[2:3], v[48:49], v[42:43], v[2:3] op_sel:[0,1,0]
	v_pk_fma_f32 v[0:1], v[58:59], v[42:43], v[0:1] op_sel:[0,1,0]
	v_pk_fma_f32 v[18:19], v[52:53], v[54:55], v[18:19] op_sel_hi:[1,0,1]
	v_pk_fma_f32 v[12:13], v[32:33], v[54:55], v[12:13] op_sel_hi:[1,0,1]
	v_pk_fma_f32 v[10:11], v[50:51], v[36:37], v[10:11] op_sel_hi:[1,0,1]
	v_mov_b32_e32 v54, v37
	v_pk_fma_f32 v[8:9], v[30:31], v[36:37], v[8:9] op_sel_hi:[1,0,1]
	v_pk_fma_f32 v[6:7], v[52:53], v[34:35], v[6:7] op_sel_hi:[1,0,1]
	;; [unrolled: 1-line block ×4, first 2 shown]
	v_mov_b32_e32 v34, v45
	v_pk_fma_f32 v[0:1], v[30:31], v[44:45], v[0:1] op_sel_hi:[1,0,1]
	v_pk_fma_f32 v[10:11], v[52:53], v[54:55], v[10:11] op_sel_hi:[1,0,1]
	;; [unrolled: 1-line block ×5, first 2 shown]
	s_barrier
	s_cbranch_vccnz .LBB33_2
.LBB33_3:
	s_load_dwordx4 s[16:19], s[0:1], 0x78
	s_load_dword s5, s[0:1], 0x18
	s_load_dword s20, s[0:1], 0x50
	s_load_dwordx8 s[8:15], s[0:1], 0x58
	v_lshl_add_u64 v[20:21], s[6:7], 0, v[14:15]
	s_waitcnt lgkmcnt(0)
	s_mul_i32 s0, s19, s4
	s_mul_hi_u32 s1, s18, s4
	s_add_i32 s1, s1, s0
	s_mul_i32 s0, s18, s4
	s_lshl_b64 s[0:1], s[0:1], 2
	s_add_u32 s0, s14, s0
	v_cmp_neq_f32_e64 s[6:7], s20, 0
	v_lshl_add_u64 v[14:15], s[2:3], 0, v[16:17]
	s_addc_u32 s1, s15, s1
	s_and_b64 vcc, exec, s[6:7]
	v_mul_lo_u32 v16, v21, s16
	v_mul_lo_u32 v17, v20, s17
	v_lshlrev_b64 v[14:15], 2, v[14:15]
	s_cbranch_vccnz .LBB33_7
; %bb.4:
	v_mad_u64_u32 v[22:23], s[2:3], v20, s16, 0
	v_add3_u32 v23, v23, v17, v16
	v_lshl_add_u64 v[22:23], v[22:23], 2, s[0:1]
	v_mul_f32_e32 v26, s5, v19
	v_lshl_add_u64 v[24:25], v[22:23], 0, v[14:15]
	global_store_dword v[24:25], v26, off
	v_mul_f32_e32 v26, s5, v18
	global_store_dword v[24:25], v26, off offset:64
	v_mul_f32_e32 v26, s5, v13
	s_lshl_b64 s[2:3], s[16:17], 6
	global_store_dword v[24:25], v26, off offset:128
	v_mul_f32_e32 v26, s5, v12
	v_lshl_add_u64 v[22:23], v[22:23], 0, s[2:3]
	global_store_dword v[24:25], v26, off offset:192
	v_mul_f32_e32 v26, s5, v11
	v_lshl_add_u64 v[24:25], v[22:23], 0, v[14:15]
	global_store_dword v[24:25], v26, off
	v_mul_f32_e32 v26, s5, v10
	global_store_dword v[24:25], v26, off offset:64
	v_mul_f32_e32 v26, s5, v9
	global_store_dword v[24:25], v26, off offset:128
	v_mul_f32_e32 v26, s5, v8
	v_lshl_add_u64 v[22:23], v[22:23], 0, s[2:3]
	global_store_dword v[24:25], v26, off offset:192
	v_mul_f32_e32 v26, s5, v7
	v_lshl_add_u64 v[24:25], v[22:23], 0, v[14:15]
	global_store_dword v[24:25], v26, off
	v_mul_f32_e32 v26, s5, v6
	global_store_dword v[24:25], v26, off offset:64
	v_mul_f32_e32 v26, s5, v5
	global_store_dword v[24:25], v26, off offset:128
	v_mul_f32_e32 v26, s5, v4
	v_lshl_add_u64 v[22:23], v[22:23], 0, s[2:3]
	global_store_dword v[24:25], v26, off offset:192
	v_mul_f32_e32 v24, s5, v3
	v_lshl_add_u64 v[22:23], v[22:23], 0, v[14:15]
	global_store_dword v[22:23], v24, off
	v_mul_f32_e32 v24, s5, v2
	global_store_dword v[22:23], v24, off offset:64
	v_mul_f32_e32 v24, s5, v1
	global_store_dword v[22:23], v24, off offset:128
	v_mul_f32_e32 v24, s5, v0
	global_store_dword v[22:23], v24, off offset:192
	s_cbranch_execnz .LBB33_6
.LBB33_5:
	s_mul_i32 s2, s13, s4
	s_mul_hi_u32 s3, s12, s4
	s_add_i32 s3, s3, s2
	s_mul_i32 s2, s12, s4
	s_lshl_b64 s[2:3], s[2:3], 2
	s_add_u32 s2, s8, s2
	v_mul_lo_u32 v21, v21, s10
	v_mul_lo_u32 v24, v20, s11
	v_mad_u64_u32 v[22:23], s[6:7], v20, s10, 0
	s_addc_u32 s3, s9, s3
	v_add3_u32 v23, v23, v24, v21
	v_lshl_add_u64 v[22:23], v[22:23], 2, s[2:3]
	v_lshl_add_u64 v[24:25], v[22:23], 0, v[14:15]
	global_load_dword v26, v[24:25], off
	v_mad_u64_u32 v[20:21], s[2:3], v20, s16, 0
	v_add3_u32 v21, v21, v17, v16
	v_lshl_add_u64 v[16:17], v[20:21], 2, s[0:1]
	v_lshl_add_u64 v[20:21], v[16:17], 0, v[14:15]
	s_lshl_b64 s[0:1], s[10:11], 6
	s_lshl_b64 s[2:3], s[16:17], 6
	s_waitcnt vmcnt(0)
	v_mul_f32_e32 v26, s20, v26
	v_fmac_f32_e32 v26, s5, v19
	global_store_dword v[20:21], v26, off
	global_load_dword v19, v[24:25], off offset:64
	s_waitcnt vmcnt(0)
	v_mul_f32_e32 v19, s20, v19
	v_fmac_f32_e32 v19, s5, v18
	global_store_dword v[20:21], v19, off offset:64
	global_load_dword v18, v[24:25], off offset:128
	s_waitcnt vmcnt(0)
	v_mul_f32_e32 v18, s20, v18
	v_fmac_f32_e32 v18, s5, v13
	global_store_dword v[20:21], v18, off offset:128
	global_load_dword v13, v[24:25], off offset:192
	v_lshl_add_u64 v[18:19], v[22:23], 0, s[0:1]
	v_lshl_add_u64 v[22:23], v[18:19], 0, v[14:15]
	s_waitcnt vmcnt(0)
	v_mul_f32_e32 v13, s20, v13
	v_fmac_f32_e32 v13, s5, v12
	global_store_dword v[20:21], v13, off offset:192
	global_load_dword v20, v[22:23], off
	v_lshl_add_u64 v[12:13], v[16:17], 0, s[2:3]
	v_lshl_add_u64 v[16:17], v[12:13], 0, v[14:15]
	s_waitcnt vmcnt(0)
	v_mul_f32_e32 v20, s20, v20
	v_fmac_f32_e32 v20, s5, v11
	global_store_dword v[16:17], v20, off
	global_load_dword v11, v[22:23], off offset:64
	s_waitcnt vmcnt(0)
	v_mul_f32_e32 v11, s20, v11
	v_fmac_f32_e32 v11, s5, v10
	global_store_dword v[16:17], v11, off offset:64
	global_load_dword v10, v[22:23], off offset:128
	s_waitcnt vmcnt(0)
	v_mul_f32_e32 v10, s20, v10
	v_fmac_f32_e32 v10, s5, v9
	global_store_dword v[16:17], v10, off offset:128
	global_load_dword v9, v[22:23], off offset:192
	v_lshl_add_u64 v[10:11], v[18:19], 0, s[0:1]
	v_lshl_add_u64 v[18:19], v[10:11], 0, v[14:15]
	s_waitcnt vmcnt(0)
	v_mul_f32_e32 v9, s20, v9
	v_fmac_f32_e32 v9, s5, v8
	global_store_dword v[16:17], v9, off offset:192
	global_load_dword v16, v[18:19], off
	v_lshl_add_u64 v[8:9], v[12:13], 0, s[2:3]
	v_lshl_add_u64 v[12:13], v[8:9], 0, v[14:15]
	;; [unrolled: 24-line block ×3, first 2 shown]
	s_waitcnt vmcnt(0)
	v_mul_f32_e32 v8, s20, v10
	v_fmac_f32_e32 v8, s5, v3
	global_store_dword v[4:5], v8, off
	global_load_dword v3, v[6:7], off offset:64
	s_waitcnt vmcnt(0)
	v_mul_f32_e32 v3, s20, v3
	v_fmac_f32_e32 v3, s5, v2
	global_store_dword v[4:5], v3, off offset:64
	global_load_dword v2, v[6:7], off offset:128
	s_waitcnt vmcnt(0)
	v_mul_f32_e32 v2, s20, v2
	v_fmac_f32_e32 v2, s5, v1
	global_store_dword v[4:5], v2, off offset:128
	;; [unrolled: 5-line block ×3, first 2 shown]
.LBB33_6:
	s_endpgm
.LBB33_7:
	s_branch .LBB33_5
	.section	.rodata,"a",@progbits
	.p2align	6, 0x0
	.amdhsa_kernel _ZN12_GLOBAL__N_127rocblas_gemm_batched_kernelIfLi16ELi16ELi64ELi64ELi4ELi64ELi4ELi4ELi64ELc78ELc84EKfS1_fEEvlllT_PT11_llS4_llS2_PT12_llPT13_lli
		.amdhsa_group_segment_fixed_size 2048
		.amdhsa_private_segment_fixed_size 0
		.amdhsa_kernarg_size 140
		.amdhsa_user_sgpr_count 2
		.amdhsa_user_sgpr_dispatch_ptr 0
		.amdhsa_user_sgpr_queue_ptr 0
		.amdhsa_user_sgpr_kernarg_segment_ptr 1
		.amdhsa_user_sgpr_dispatch_id 0
		.amdhsa_user_sgpr_kernarg_preload_length 0
		.amdhsa_user_sgpr_kernarg_preload_offset 0
		.amdhsa_user_sgpr_private_segment_size 0
		.amdhsa_uses_dynamic_stack 0
		.amdhsa_enable_private_segment 0
		.amdhsa_system_sgpr_workgroup_id_x 1
		.amdhsa_system_sgpr_workgroup_id_y 1
		.amdhsa_system_sgpr_workgroup_id_z 1
		.amdhsa_system_sgpr_workgroup_info 0
		.amdhsa_system_vgpr_workitem_id 1
		.amdhsa_next_free_vgpr 66
		.amdhsa_next_free_sgpr 24
		.amdhsa_accum_offset 68
		.amdhsa_reserve_vcc 1
		.amdhsa_float_round_mode_32 0
		.amdhsa_float_round_mode_16_64 0
		.amdhsa_float_denorm_mode_32 3
		.amdhsa_float_denorm_mode_16_64 3
		.amdhsa_dx10_clamp 1
		.amdhsa_ieee_mode 1
		.amdhsa_fp16_overflow 0
		.amdhsa_tg_split 0
		.amdhsa_exception_fp_ieee_invalid_op 0
		.amdhsa_exception_fp_denorm_src 0
		.amdhsa_exception_fp_ieee_div_zero 0
		.amdhsa_exception_fp_ieee_overflow 0
		.amdhsa_exception_fp_ieee_underflow 0
		.amdhsa_exception_fp_ieee_inexact 0
		.amdhsa_exception_int_div_zero 0
	.end_amdhsa_kernel
	.section	.text._ZN12_GLOBAL__N_127rocblas_gemm_batched_kernelIfLi16ELi16ELi64ELi64ELi4ELi64ELi4ELi4ELi64ELc78ELc84EKfS1_fEEvlllT_PT11_llS4_llS2_PT12_llPT13_lli,"axG",@progbits,_ZN12_GLOBAL__N_127rocblas_gemm_batched_kernelIfLi16ELi16ELi64ELi64ELi4ELi64ELi4ELi4ELi64ELc78ELc84EKfS1_fEEvlllT_PT11_llS4_llS2_PT12_llPT13_lli,comdat
.Lfunc_end33:
	.size	_ZN12_GLOBAL__N_127rocblas_gemm_batched_kernelIfLi16ELi16ELi64ELi64ELi4ELi64ELi4ELi4ELi64ELc78ELc84EKfS1_fEEvlllT_PT11_llS4_llS2_PT12_llPT13_lli, .Lfunc_end33-_ZN12_GLOBAL__N_127rocblas_gemm_batched_kernelIfLi16ELi16ELi64ELi64ELi4ELi64ELi4ELi4ELi64ELc78ELc84EKfS1_fEEvlllT_PT11_llS4_llS2_PT12_llPT13_lli
                                        ; -- End function
	.set _ZN12_GLOBAL__N_127rocblas_gemm_batched_kernelIfLi16ELi16ELi64ELi64ELi4ELi64ELi4ELi4ELi64ELc78ELc84EKfS1_fEEvlllT_PT11_llS4_llS2_PT12_llPT13_lli.num_vgpr, 66
	.set _ZN12_GLOBAL__N_127rocblas_gemm_batched_kernelIfLi16ELi16ELi64ELi64ELi4ELi64ELi4ELi4ELi64ELc78ELc84EKfS1_fEEvlllT_PT11_llS4_llS2_PT12_llPT13_lli.num_agpr, 0
	.set _ZN12_GLOBAL__N_127rocblas_gemm_batched_kernelIfLi16ELi16ELi64ELi64ELi4ELi64ELi4ELi4ELi64ELc78ELc84EKfS1_fEEvlllT_PT11_llS4_llS2_PT12_llPT13_lli.numbered_sgpr, 24
	.set _ZN12_GLOBAL__N_127rocblas_gemm_batched_kernelIfLi16ELi16ELi64ELi64ELi4ELi64ELi4ELi4ELi64ELc78ELc84EKfS1_fEEvlllT_PT11_llS4_llS2_PT12_llPT13_lli.num_named_barrier, 0
	.set _ZN12_GLOBAL__N_127rocblas_gemm_batched_kernelIfLi16ELi16ELi64ELi64ELi4ELi64ELi4ELi4ELi64ELc78ELc84EKfS1_fEEvlllT_PT11_llS4_llS2_PT12_llPT13_lli.private_seg_size, 0
	.set _ZN12_GLOBAL__N_127rocblas_gemm_batched_kernelIfLi16ELi16ELi64ELi64ELi4ELi64ELi4ELi4ELi64ELc78ELc84EKfS1_fEEvlllT_PT11_llS4_llS2_PT12_llPT13_lli.uses_vcc, 1
	.set _ZN12_GLOBAL__N_127rocblas_gemm_batched_kernelIfLi16ELi16ELi64ELi64ELi4ELi64ELi4ELi4ELi64ELc78ELc84EKfS1_fEEvlllT_PT11_llS4_llS2_PT12_llPT13_lli.uses_flat_scratch, 0
	.set _ZN12_GLOBAL__N_127rocblas_gemm_batched_kernelIfLi16ELi16ELi64ELi64ELi4ELi64ELi4ELi4ELi64ELc78ELc84EKfS1_fEEvlllT_PT11_llS4_llS2_PT12_llPT13_lli.has_dyn_sized_stack, 0
	.set _ZN12_GLOBAL__N_127rocblas_gemm_batched_kernelIfLi16ELi16ELi64ELi64ELi4ELi64ELi4ELi4ELi64ELc78ELc84EKfS1_fEEvlllT_PT11_llS4_llS2_PT12_llPT13_lli.has_recursion, 0
	.set _ZN12_GLOBAL__N_127rocblas_gemm_batched_kernelIfLi16ELi16ELi64ELi64ELi4ELi64ELi4ELi4ELi64ELc78ELc84EKfS1_fEEvlllT_PT11_llS4_llS2_PT12_llPT13_lli.has_indirect_call, 0
	.section	.AMDGPU.csdata,"",@progbits
; Kernel info:
; codeLenInByte = 2068
; TotalNumSgprs: 30
; NumVgprs: 66
; NumAgprs: 0
; TotalNumVgprs: 66
; ScratchSize: 0
; MemoryBound: 0
; FloatMode: 240
; IeeeMode: 1
; LDSByteSize: 2048 bytes/workgroup (compile time only)
; SGPRBlocks: 3
; VGPRBlocks: 8
; NumSGPRsForWavesPerEU: 30
; NumVGPRsForWavesPerEU: 66
; AccumOffset: 68
; Occupancy: 7
; WaveLimiterHint : 0
; COMPUTE_PGM_RSRC2:SCRATCH_EN: 0
; COMPUTE_PGM_RSRC2:USER_SGPR: 2
; COMPUTE_PGM_RSRC2:TRAP_HANDLER: 0
; COMPUTE_PGM_RSRC2:TGID_X_EN: 1
; COMPUTE_PGM_RSRC2:TGID_Y_EN: 1
; COMPUTE_PGM_RSRC2:TGID_Z_EN: 1
; COMPUTE_PGM_RSRC2:TIDIG_COMP_CNT: 1
; COMPUTE_PGM_RSRC3_GFX90A:ACCUM_OFFSET: 16
; COMPUTE_PGM_RSRC3_GFX90A:TG_SPLIT: 0
	.section	.text._ZN12_GLOBAL__N_127rocblas_gemm_batched_kernelIfLi16ELi16ELi64ELi64ELi4ELi64ELi4ELi4ELi64ELc84ELc84EKfS1_fEEvlllT_PT11_llS4_llS2_PT12_llPT13_lli,"axG",@progbits,_ZN12_GLOBAL__N_127rocblas_gemm_batched_kernelIfLi16ELi16ELi64ELi64ELi4ELi64ELi4ELi4ELi64ELc84ELc84EKfS1_fEEvlllT_PT11_llS4_llS2_PT12_llPT13_lli,comdat
	.globl	_ZN12_GLOBAL__N_127rocblas_gemm_batched_kernelIfLi16ELi16ELi64ELi64ELi4ELi64ELi4ELi4ELi64ELc84ELc84EKfS1_fEEvlllT_PT11_llS4_llS2_PT12_llPT13_lli ; -- Begin function _ZN12_GLOBAL__N_127rocblas_gemm_batched_kernelIfLi16ELi16ELi64ELi64ELi4ELi64ELi4ELi4ELi64ELc84ELc84EKfS1_fEEvlllT_PT11_llS4_llS2_PT12_llPT13_lli
	.p2align	8
	.type	_ZN12_GLOBAL__N_127rocblas_gemm_batched_kernelIfLi16ELi16ELi64ELi64ELi4ELi64ELi4ELi4ELi64ELc84ELc84EKfS1_fEEvlllT_PT11_llS4_llS2_PT12_llPT13_lli,@function
_ZN12_GLOBAL__N_127rocblas_gemm_batched_kernelIfLi16ELi16ELi64ELi64ELi4ELi64ELi4ELi4ELi64ELc84ELc84EKfS1_fEEvlllT_PT11_llS4_llS2_PT12_llPT13_lli: ; @_ZN12_GLOBAL__N_127rocblas_gemm_batched_kernelIfLi16ELi16ELi64ELi64ELi4ELi64ELi4ELi4ELi64ELc84ELc84EKfS1_fEEvlllT_PT11_llS4_llS2_PT12_llPT13_lli
; %bb.0:
	s_load_dwordx2 s[16:17], s[0:1], 0x10
	s_mov_b32 s6, s3
	v_mov_b32_e32 v15, 0
	s_ashr_i32 s3, s2, 31
	s_ashr_i32 s7, s6, 31
	s_waitcnt lgkmcnt(0)
	v_cmp_lt_i64_e64 s[8:9], s[16:17], 1
	v_bfe_u32 v14, v0, 10, 10
	v_and_b32_e32 v16, 0x3ff, v0
	v_mov_b32_e32 v17, v15
	s_lshl_b64 s[2:3], s[2:3], 6
	s_lshl_b64 s[6:7], s[6:7], 6
	s_and_b64 vcc, exec, s[8:9]
	v_mov_b32_e32 v19, v15
	v_mov_b32_e32 v18, v15
	;; [unrolled: 1-line block ×16, first 2 shown]
	s_cbranch_vccnz .LBB34_3
; %bb.1:
	s_load_dwordx8 s[8:15], s[0:1], 0x20
	s_load_dwordx4 s[20:23], s[0:1], 0x40
	v_lshlrev_b32_e32 v4, 4, v14
	v_add_u32_e32 v5, v4, v16
	v_and_b32_e32 v2, 63, v5
	v_lshrrev_b32_e32 v0, 2, v5
	v_and_b32_e32 v6, 3, v16
	v_lshrrev_b32_e32 v8, 6, v5
	v_lshlrev_b32_e32 v5, 2, v2
	v_lshl_or_b32 v26, v8, 8, v5
	v_lshlrev_b32_e32 v5, 2, v6
	v_mov_b32_e32 v1, 0
	v_lshl_or_b32 v5, v0, 4, v5
	s_waitcnt lgkmcnt(0)
	s_mul_i32 s5, s23, s4
	s_mul_hi_u32 s18, s22, s4
	v_add_u32_e32 v27, 0x400, v5
	v_add_u32_e32 v29, 0x400, v4
	s_add_i32 s19, s18, s5
	s_mul_i32 s18, s22, s4
	v_mad_u64_u32 v[4:5], s[22:23], s20, v6, v[0:1]
	v_mov_b32_e32 v0, v5
	s_lshl_b64 s[18:19], s[18:19], 2
	v_mad_u64_u32 v[6:7], s[22:23], s21, v6, v[0:1]
	v_mov_b32_e32 v3, v1
	v_mov_b32_e32 v5, v6
	s_add_u32 s14, s14, s18
	v_lshl_add_u64 v[4:5], v[4:5], 0, s[6:7]
	s_addc_u32 s15, s15, s19
	v_lshl_add_u64 v[2:3], s[2:3], 0, v[2:3]
	v_lshl_add_u64 v[20:21], v[4:5], 2, s[14:15]
	v_mul_lo_u32 v0, s11, v2
	v_mul_lo_u32 v4, s10, v3
	v_mad_u64_u32 v[2:3], s[10:11], s10, v2, 0
	s_mul_i32 s5, s13, s4
	s_mul_hi_u32 s10, s12, s4
	s_add_i32 s11, s10, s5
	s_mul_i32 s10, s12, s4
	v_add3_u32 v3, v3, v4, v0
	s_lshl_b64 s[10:11], s[10:11], 2
	v_lshl_add_u64 v[2:3], v[2:3], 2, s[10:11]
	v_lshlrev_b32_e32 v0, 2, v8
	v_lshl_add_u64 v[2:3], v[2:3], 0, v[0:1]
	v_lshlrev_b32_e32 v28, 2, v16
	s_lshl_b64 s[14:15], s[20:21], 4
	v_lshl_add_u64 v[22:23], s[8:9], 0, v[2:3]
	s_mov_b64 s[8:9], 0
	v_mov_b64_e32 v[24:25], s[16:17]
	v_mov_b32_e32 v0, v1
	v_mov_b32_e32 v2, v1
	;; [unrolled: 1-line block ×15, first 2 shown]
.LBB34_2:                               ; =>This Inner Loop Header: Depth=1
	global_load_dword v30, v[22:23], off
	s_add_u32 s8, s8, 4
	s_addc_u32 s9, s9, 0
	v_cmp_lt_i64_e32 vcc, s[8:9], v[24:25]
	v_lshl_add_u64 v[22:23], v[22:23], 0, 16
	s_and_b64 vcc, exec, vcc
	s_waitcnt vmcnt(0)
	ds_write_b32 v26, v30
	global_load_dword v30, v[20:21], off
	v_lshl_add_u64 v[20:21], v[20:21], 0, s[14:15]
	s_waitcnt vmcnt(0)
	ds_write_b32 v27, v30
	s_waitcnt lgkmcnt(0)
	s_barrier
	ds_read_b128 v[30:33], v29
	ds_read2_b32 v[48:49], v28 offset1:16
	ds_read2_b32 v[58:59], v28 offset0:32 offset1:48
	ds_read_b128 v[34:37], v29 offset:256
	ds_read_b128 v[38:41], v29 offset:512
	;; [unrolled: 1-line block ×3, first 2 shown]
	ds_read2_b32 v[50:51], v28 offset0:64 offset1:80
	ds_read2_b32 v[60:61], v28 offset0:96 offset1:112
	;; [unrolled: 1-line block ×6, first 2 shown]
	s_waitcnt lgkmcnt(10)
	v_mov_b32_e32 v46, v49
	v_mov_b32_e32 v47, v48
	s_waitcnt lgkmcnt(9)
	v_mov_b32_e32 v56, v59
	v_mov_b32_e32 v57, v58
	v_pk_fma_f32 v[18:19], v[46:47], v[30:31], v[18:19] op_sel_hi:[1,0,1]
	s_waitcnt lgkmcnt(5)
	v_mov_b32_e32 v48, v51
	v_mov_b32_e32 v49, v50
	v_pk_fma_f32 v[12:13], v[56:57], v[30:31], v[12:13] op_sel_hi:[1,0,1]
	;; [unrolled: 4-line block ×3, first 2 shown]
	v_pk_fma_f32 v[4:5], v[56:57], v[38:39], v[4:5] op_sel_hi:[1,0,1]
	v_pk_fma_f32 v[18:19], v[48:49], v[30:31], v[18:19] op_sel:[0,1,0]
	s_waitcnt lgkmcnt(3)
	v_mov_b32_e32 v50, v53
	v_mov_b32_e32 v51, v52
	v_pk_fma_f32 v[12:13], v[58:59], v[30:31], v[12:13] op_sel:[0,1,0]
	s_waitcnt lgkmcnt(2)
	v_mov_b32_e32 v30, v63
	v_mov_b32_e32 v31, v62
	v_pk_fma_f32 v[10:11], v[46:47], v[34:35], v[10:11] op_sel_hi:[1,0,1]
	v_pk_fma_f32 v[8:9], v[56:57], v[34:35], v[8:9] op_sel_hi:[1,0,1]
	v_pk_fma_f32 v[6:7], v[48:49], v[38:39], v[6:7] op_sel:[0,1,0]
	v_pk_fma_f32 v[4:5], v[58:59], v[38:39], v[4:5] op_sel:[0,1,0]
	v_pk_fma_f32 v[2:3], v[46:47], v[42:43], v[2:3] op_sel_hi:[1,0,1]
	v_pk_fma_f32 v[0:1], v[56:57], v[42:43], v[0:1] op_sel_hi:[1,0,1]
	v_pk_fma_f32 v[18:19], v[50:51], v[32:33], v[18:19] op_sel_hi:[1,0,1]
	s_waitcnt lgkmcnt(1)
	v_mov_b32_e32 v52, v55
	v_mov_b32_e32 v53, v54
	v_mov_b32_e32 v54, v33
	v_pk_fma_f32 v[12:13], v[30:31], v[32:33], v[12:13] op_sel_hi:[1,0,1]
	s_waitcnt lgkmcnt(0)
	v_mov_b32_e32 v32, v65
	v_mov_b32_e32 v33, v64
	v_pk_fma_f32 v[10:11], v[48:49], v[34:35], v[10:11] op_sel:[0,1,0]
	v_pk_fma_f32 v[8:9], v[58:59], v[34:35], v[8:9] op_sel:[0,1,0]
	v_pk_fma_f32 v[6:7], v[50:51], v[40:41], v[6:7] op_sel_hi:[1,0,1]
	v_mov_b32_e32 v34, v41
	v_pk_fma_f32 v[4:5], v[30:31], v[40:41], v[4:5] op_sel_hi:[1,0,1]
	v_pk_fma_f32 v[2:3], v[48:49], v[42:43], v[2:3] op_sel:[0,1,0]
	v_pk_fma_f32 v[0:1], v[58:59], v[42:43], v[0:1] op_sel:[0,1,0]
	v_pk_fma_f32 v[18:19], v[52:53], v[54:55], v[18:19] op_sel_hi:[1,0,1]
	v_pk_fma_f32 v[12:13], v[32:33], v[54:55], v[12:13] op_sel_hi:[1,0,1]
	;; [unrolled: 1-line block ×3, first 2 shown]
	v_mov_b32_e32 v54, v37
	v_pk_fma_f32 v[8:9], v[30:31], v[36:37], v[8:9] op_sel_hi:[1,0,1]
	v_pk_fma_f32 v[6:7], v[52:53], v[34:35], v[6:7] op_sel_hi:[1,0,1]
	;; [unrolled: 1-line block ×4, first 2 shown]
	v_mov_b32_e32 v34, v45
	v_pk_fma_f32 v[0:1], v[30:31], v[44:45], v[0:1] op_sel_hi:[1,0,1]
	v_pk_fma_f32 v[10:11], v[52:53], v[54:55], v[10:11] op_sel_hi:[1,0,1]
	;; [unrolled: 1-line block ×5, first 2 shown]
	s_barrier
	s_cbranch_vccnz .LBB34_2
.LBB34_3:
	s_load_dwordx4 s[16:19], s[0:1], 0x78
	s_load_dword s5, s[0:1], 0x18
	s_load_dword s20, s[0:1], 0x50
	s_load_dwordx8 s[8:15], s[0:1], 0x58
	v_lshl_add_u64 v[20:21], s[6:7], 0, v[14:15]
	s_waitcnt lgkmcnt(0)
	s_mul_i32 s0, s19, s4
	s_mul_hi_u32 s1, s18, s4
	s_add_i32 s1, s1, s0
	s_mul_i32 s0, s18, s4
	s_lshl_b64 s[0:1], s[0:1], 2
	s_add_u32 s0, s14, s0
	v_cmp_neq_f32_e64 s[6:7], s20, 0
	v_lshl_add_u64 v[14:15], s[2:3], 0, v[16:17]
	s_addc_u32 s1, s15, s1
	s_and_b64 vcc, exec, s[6:7]
	v_mul_lo_u32 v16, v21, s16
	v_mul_lo_u32 v17, v20, s17
	v_lshlrev_b64 v[14:15], 2, v[14:15]
	s_cbranch_vccnz .LBB34_7
; %bb.4:
	v_mad_u64_u32 v[22:23], s[2:3], v20, s16, 0
	v_add3_u32 v23, v23, v17, v16
	v_lshl_add_u64 v[22:23], v[22:23], 2, s[0:1]
	v_mul_f32_e32 v26, s5, v19
	v_lshl_add_u64 v[24:25], v[22:23], 0, v[14:15]
	global_store_dword v[24:25], v26, off
	v_mul_f32_e32 v26, s5, v18
	global_store_dword v[24:25], v26, off offset:64
	v_mul_f32_e32 v26, s5, v13
	s_lshl_b64 s[2:3], s[16:17], 6
	global_store_dword v[24:25], v26, off offset:128
	v_mul_f32_e32 v26, s5, v12
	v_lshl_add_u64 v[22:23], v[22:23], 0, s[2:3]
	global_store_dword v[24:25], v26, off offset:192
	v_mul_f32_e32 v26, s5, v11
	v_lshl_add_u64 v[24:25], v[22:23], 0, v[14:15]
	global_store_dword v[24:25], v26, off
	v_mul_f32_e32 v26, s5, v10
	global_store_dword v[24:25], v26, off offset:64
	v_mul_f32_e32 v26, s5, v9
	global_store_dword v[24:25], v26, off offset:128
	v_mul_f32_e32 v26, s5, v8
	v_lshl_add_u64 v[22:23], v[22:23], 0, s[2:3]
	global_store_dword v[24:25], v26, off offset:192
	v_mul_f32_e32 v26, s5, v7
	v_lshl_add_u64 v[24:25], v[22:23], 0, v[14:15]
	global_store_dword v[24:25], v26, off
	v_mul_f32_e32 v26, s5, v6
	global_store_dword v[24:25], v26, off offset:64
	v_mul_f32_e32 v26, s5, v5
	;; [unrolled: 10-line block ×3, first 2 shown]
	global_store_dword v[22:23], v24, off offset:128
	v_mul_f32_e32 v24, s5, v0
	global_store_dword v[22:23], v24, off offset:192
	s_cbranch_execnz .LBB34_6
.LBB34_5:
	s_mul_i32 s2, s13, s4
	s_mul_hi_u32 s3, s12, s4
	s_add_i32 s3, s3, s2
	s_mul_i32 s2, s12, s4
	s_lshl_b64 s[2:3], s[2:3], 2
	s_add_u32 s2, s8, s2
	v_mul_lo_u32 v21, v21, s10
	v_mul_lo_u32 v24, v20, s11
	v_mad_u64_u32 v[22:23], s[6:7], v20, s10, 0
	s_addc_u32 s3, s9, s3
	v_add3_u32 v23, v23, v24, v21
	v_lshl_add_u64 v[22:23], v[22:23], 2, s[2:3]
	v_lshl_add_u64 v[24:25], v[22:23], 0, v[14:15]
	global_load_dword v26, v[24:25], off
	v_mad_u64_u32 v[20:21], s[2:3], v20, s16, 0
	v_add3_u32 v21, v21, v17, v16
	v_lshl_add_u64 v[16:17], v[20:21], 2, s[0:1]
	v_lshl_add_u64 v[20:21], v[16:17], 0, v[14:15]
	s_lshl_b64 s[0:1], s[10:11], 6
	s_lshl_b64 s[2:3], s[16:17], 6
	s_waitcnt vmcnt(0)
	v_mul_f32_e32 v26, s20, v26
	v_fmac_f32_e32 v26, s5, v19
	global_store_dword v[20:21], v26, off
	global_load_dword v19, v[24:25], off offset:64
	s_waitcnt vmcnt(0)
	v_mul_f32_e32 v19, s20, v19
	v_fmac_f32_e32 v19, s5, v18
	global_store_dword v[20:21], v19, off offset:64
	global_load_dword v18, v[24:25], off offset:128
	s_waitcnt vmcnt(0)
	v_mul_f32_e32 v18, s20, v18
	v_fmac_f32_e32 v18, s5, v13
	global_store_dword v[20:21], v18, off offset:128
	global_load_dword v13, v[24:25], off offset:192
	v_lshl_add_u64 v[18:19], v[22:23], 0, s[0:1]
	v_lshl_add_u64 v[22:23], v[18:19], 0, v[14:15]
	s_waitcnt vmcnt(0)
	v_mul_f32_e32 v13, s20, v13
	v_fmac_f32_e32 v13, s5, v12
	global_store_dword v[20:21], v13, off offset:192
	global_load_dword v20, v[22:23], off
	v_lshl_add_u64 v[12:13], v[16:17], 0, s[2:3]
	v_lshl_add_u64 v[16:17], v[12:13], 0, v[14:15]
	s_waitcnt vmcnt(0)
	v_mul_f32_e32 v20, s20, v20
	v_fmac_f32_e32 v20, s5, v11
	global_store_dword v[16:17], v20, off
	global_load_dword v11, v[22:23], off offset:64
	s_waitcnt vmcnt(0)
	v_mul_f32_e32 v11, s20, v11
	v_fmac_f32_e32 v11, s5, v10
	global_store_dword v[16:17], v11, off offset:64
	global_load_dword v10, v[22:23], off offset:128
	s_waitcnt vmcnt(0)
	v_mul_f32_e32 v10, s20, v10
	v_fmac_f32_e32 v10, s5, v9
	global_store_dword v[16:17], v10, off offset:128
	global_load_dword v9, v[22:23], off offset:192
	v_lshl_add_u64 v[10:11], v[18:19], 0, s[0:1]
	v_lshl_add_u64 v[18:19], v[10:11], 0, v[14:15]
	s_waitcnt vmcnt(0)
	v_mul_f32_e32 v9, s20, v9
	v_fmac_f32_e32 v9, s5, v8
	global_store_dword v[16:17], v9, off offset:192
	global_load_dword v16, v[18:19], off
	v_lshl_add_u64 v[8:9], v[12:13], 0, s[2:3]
	v_lshl_add_u64 v[12:13], v[8:9], 0, v[14:15]
	;; [unrolled: 24-line block ×3, first 2 shown]
	s_waitcnt vmcnt(0)
	v_mul_f32_e32 v8, s20, v10
	v_fmac_f32_e32 v8, s5, v3
	global_store_dword v[4:5], v8, off
	global_load_dword v3, v[6:7], off offset:64
	s_waitcnt vmcnt(0)
	v_mul_f32_e32 v3, s20, v3
	v_fmac_f32_e32 v3, s5, v2
	global_store_dword v[4:5], v3, off offset:64
	global_load_dword v2, v[6:7], off offset:128
	s_waitcnt vmcnt(0)
	v_mul_f32_e32 v2, s20, v2
	v_fmac_f32_e32 v2, s5, v1
	global_store_dword v[4:5], v2, off offset:128
	;; [unrolled: 5-line block ×3, first 2 shown]
.LBB34_6:
	s_endpgm
.LBB34_7:
	s_branch .LBB34_5
	.section	.rodata,"a",@progbits
	.p2align	6, 0x0
	.amdhsa_kernel _ZN12_GLOBAL__N_127rocblas_gemm_batched_kernelIfLi16ELi16ELi64ELi64ELi4ELi64ELi4ELi4ELi64ELc84ELc84EKfS1_fEEvlllT_PT11_llS4_llS2_PT12_llPT13_lli
		.amdhsa_group_segment_fixed_size 2048
		.amdhsa_private_segment_fixed_size 0
		.amdhsa_kernarg_size 140
		.amdhsa_user_sgpr_count 2
		.amdhsa_user_sgpr_dispatch_ptr 0
		.amdhsa_user_sgpr_queue_ptr 0
		.amdhsa_user_sgpr_kernarg_segment_ptr 1
		.amdhsa_user_sgpr_dispatch_id 0
		.amdhsa_user_sgpr_kernarg_preload_length 0
		.amdhsa_user_sgpr_kernarg_preload_offset 0
		.amdhsa_user_sgpr_private_segment_size 0
		.amdhsa_uses_dynamic_stack 0
		.amdhsa_enable_private_segment 0
		.amdhsa_system_sgpr_workgroup_id_x 1
		.amdhsa_system_sgpr_workgroup_id_y 1
		.amdhsa_system_sgpr_workgroup_id_z 1
		.amdhsa_system_sgpr_workgroup_info 0
		.amdhsa_system_vgpr_workitem_id 1
		.amdhsa_next_free_vgpr 66
		.amdhsa_next_free_sgpr 24
		.amdhsa_accum_offset 68
		.amdhsa_reserve_vcc 1
		.amdhsa_float_round_mode_32 0
		.amdhsa_float_round_mode_16_64 0
		.amdhsa_float_denorm_mode_32 3
		.amdhsa_float_denorm_mode_16_64 3
		.amdhsa_dx10_clamp 1
		.amdhsa_ieee_mode 1
		.amdhsa_fp16_overflow 0
		.amdhsa_tg_split 0
		.amdhsa_exception_fp_ieee_invalid_op 0
		.amdhsa_exception_fp_denorm_src 0
		.amdhsa_exception_fp_ieee_div_zero 0
		.amdhsa_exception_fp_ieee_overflow 0
		.amdhsa_exception_fp_ieee_underflow 0
		.amdhsa_exception_fp_ieee_inexact 0
		.amdhsa_exception_int_div_zero 0
	.end_amdhsa_kernel
	.section	.text._ZN12_GLOBAL__N_127rocblas_gemm_batched_kernelIfLi16ELi16ELi64ELi64ELi4ELi64ELi4ELi4ELi64ELc84ELc84EKfS1_fEEvlllT_PT11_llS4_llS2_PT12_llPT13_lli,"axG",@progbits,_ZN12_GLOBAL__N_127rocblas_gemm_batched_kernelIfLi16ELi16ELi64ELi64ELi4ELi64ELi4ELi4ELi64ELc84ELc84EKfS1_fEEvlllT_PT11_llS4_llS2_PT12_llPT13_lli,comdat
.Lfunc_end34:
	.size	_ZN12_GLOBAL__N_127rocblas_gemm_batched_kernelIfLi16ELi16ELi64ELi64ELi4ELi64ELi4ELi4ELi64ELc84ELc84EKfS1_fEEvlllT_PT11_llS4_llS2_PT12_llPT13_lli, .Lfunc_end34-_ZN12_GLOBAL__N_127rocblas_gemm_batched_kernelIfLi16ELi16ELi64ELi64ELi4ELi64ELi4ELi4ELi64ELc84ELc84EKfS1_fEEvlllT_PT11_llS4_llS2_PT12_llPT13_lli
                                        ; -- End function
	.set _ZN12_GLOBAL__N_127rocblas_gemm_batched_kernelIfLi16ELi16ELi64ELi64ELi4ELi64ELi4ELi4ELi64ELc84ELc84EKfS1_fEEvlllT_PT11_llS4_llS2_PT12_llPT13_lli.num_vgpr, 66
	.set _ZN12_GLOBAL__N_127rocblas_gemm_batched_kernelIfLi16ELi16ELi64ELi64ELi4ELi64ELi4ELi4ELi64ELc84ELc84EKfS1_fEEvlllT_PT11_llS4_llS2_PT12_llPT13_lli.num_agpr, 0
	.set _ZN12_GLOBAL__N_127rocblas_gemm_batched_kernelIfLi16ELi16ELi64ELi64ELi4ELi64ELi4ELi4ELi64ELc84ELc84EKfS1_fEEvlllT_PT11_llS4_llS2_PT12_llPT13_lli.numbered_sgpr, 24
	.set _ZN12_GLOBAL__N_127rocblas_gemm_batched_kernelIfLi16ELi16ELi64ELi64ELi4ELi64ELi4ELi4ELi64ELc84ELc84EKfS1_fEEvlllT_PT11_llS4_llS2_PT12_llPT13_lli.num_named_barrier, 0
	.set _ZN12_GLOBAL__N_127rocblas_gemm_batched_kernelIfLi16ELi16ELi64ELi64ELi4ELi64ELi4ELi4ELi64ELc84ELc84EKfS1_fEEvlllT_PT11_llS4_llS2_PT12_llPT13_lli.private_seg_size, 0
	.set _ZN12_GLOBAL__N_127rocblas_gemm_batched_kernelIfLi16ELi16ELi64ELi64ELi4ELi64ELi4ELi4ELi64ELc84ELc84EKfS1_fEEvlllT_PT11_llS4_llS2_PT12_llPT13_lli.uses_vcc, 1
	.set _ZN12_GLOBAL__N_127rocblas_gemm_batched_kernelIfLi16ELi16ELi64ELi64ELi4ELi64ELi4ELi4ELi64ELc84ELc84EKfS1_fEEvlllT_PT11_llS4_llS2_PT12_llPT13_lli.uses_flat_scratch, 0
	.set _ZN12_GLOBAL__N_127rocblas_gemm_batched_kernelIfLi16ELi16ELi64ELi64ELi4ELi64ELi4ELi4ELi64ELc84ELc84EKfS1_fEEvlllT_PT11_llS4_llS2_PT12_llPT13_lli.has_dyn_sized_stack, 0
	.set _ZN12_GLOBAL__N_127rocblas_gemm_batched_kernelIfLi16ELi16ELi64ELi64ELi4ELi64ELi4ELi4ELi64ELc84ELc84EKfS1_fEEvlllT_PT11_llS4_llS2_PT12_llPT13_lli.has_recursion, 0
	.set _ZN12_GLOBAL__N_127rocblas_gemm_batched_kernelIfLi16ELi16ELi64ELi64ELi4ELi64ELi4ELi4ELi64ELc84ELc84EKfS1_fEEvlllT_PT11_llS4_llS2_PT12_llPT13_lli.has_indirect_call, 0
	.section	.AMDGPU.csdata,"",@progbits
; Kernel info:
; codeLenInByte = 2080
; TotalNumSgprs: 30
; NumVgprs: 66
; NumAgprs: 0
; TotalNumVgprs: 66
; ScratchSize: 0
; MemoryBound: 0
; FloatMode: 240
; IeeeMode: 1
; LDSByteSize: 2048 bytes/workgroup (compile time only)
; SGPRBlocks: 3
; VGPRBlocks: 8
; NumSGPRsForWavesPerEU: 30
; NumVGPRsForWavesPerEU: 66
; AccumOffset: 68
; Occupancy: 7
; WaveLimiterHint : 0
; COMPUTE_PGM_RSRC2:SCRATCH_EN: 0
; COMPUTE_PGM_RSRC2:USER_SGPR: 2
; COMPUTE_PGM_RSRC2:TRAP_HANDLER: 0
; COMPUTE_PGM_RSRC2:TGID_X_EN: 1
; COMPUTE_PGM_RSRC2:TGID_Y_EN: 1
; COMPUTE_PGM_RSRC2:TGID_Z_EN: 1
; COMPUTE_PGM_RSRC2:TIDIG_COMP_CNT: 1
; COMPUTE_PGM_RSRC3_GFX90A:ACCUM_OFFSET: 16
; COMPUTE_PGM_RSRC3_GFX90A:TG_SPLIT: 0
	.section	.text._ZN12_GLOBAL__N_127rocblas_gemm_batched_kernelIfLi16ELi16ELi64ELi64ELi4ELi64ELi4ELi4ELi64ELc67ELc67EKfS1_fEEvlllT_PT11_llS4_llS2_PT12_llPT13_lli,"axG",@progbits,_ZN12_GLOBAL__N_127rocblas_gemm_batched_kernelIfLi16ELi16ELi64ELi64ELi4ELi64ELi4ELi4ELi64ELc67ELc67EKfS1_fEEvlllT_PT11_llS4_llS2_PT12_llPT13_lli,comdat
	.globl	_ZN12_GLOBAL__N_127rocblas_gemm_batched_kernelIfLi16ELi16ELi64ELi64ELi4ELi64ELi4ELi4ELi64ELc67ELc67EKfS1_fEEvlllT_PT11_llS4_llS2_PT12_llPT13_lli ; -- Begin function _ZN12_GLOBAL__N_127rocblas_gemm_batched_kernelIfLi16ELi16ELi64ELi64ELi4ELi64ELi4ELi4ELi64ELc67ELc67EKfS1_fEEvlllT_PT11_llS4_llS2_PT12_llPT13_lli
	.p2align	8
	.type	_ZN12_GLOBAL__N_127rocblas_gemm_batched_kernelIfLi16ELi16ELi64ELi64ELi4ELi64ELi4ELi4ELi64ELc67ELc67EKfS1_fEEvlllT_PT11_llS4_llS2_PT12_llPT13_lli,@function
_ZN12_GLOBAL__N_127rocblas_gemm_batched_kernelIfLi16ELi16ELi64ELi64ELi4ELi64ELi4ELi4ELi64ELc67ELc67EKfS1_fEEvlllT_PT11_llS4_llS2_PT12_llPT13_lli: ; @_ZN12_GLOBAL__N_127rocblas_gemm_batched_kernelIfLi16ELi16ELi64ELi64ELi4ELi64ELi4ELi4ELi64ELc67ELc67EKfS1_fEEvlllT_PT11_llS4_llS2_PT12_llPT13_lli
; %bb.0:
	s_load_dwordx2 s[16:17], s[0:1], 0x10
	s_mov_b32 s6, s3
	v_mov_b32_e32 v15, 0
	s_ashr_i32 s3, s2, 31
	s_ashr_i32 s7, s6, 31
	s_waitcnt lgkmcnt(0)
	v_cmp_lt_i64_e64 s[8:9], s[16:17], 1
	v_bfe_u32 v14, v0, 10, 10
	v_and_b32_e32 v16, 0x3ff, v0
	v_mov_b32_e32 v17, v15
	s_lshl_b64 s[2:3], s[2:3], 6
	s_lshl_b64 s[6:7], s[6:7], 6
	s_and_b64 vcc, exec, s[8:9]
	v_mov_b32_e32 v19, v15
	v_mov_b32_e32 v18, v15
	;; [unrolled: 1-line block ×16, first 2 shown]
	s_cbranch_vccnz .LBB35_3
; %bb.1:
	s_load_dwordx8 s[8:15], s[0:1], 0x20
	s_load_dwordx4 s[20:23], s[0:1], 0x40
	v_lshlrev_b32_e32 v4, 4, v14
	v_add_u32_e32 v5, v4, v16
	v_and_b32_e32 v2, 63, v5
	v_lshrrev_b32_e32 v0, 2, v5
	v_and_b32_e32 v6, 3, v16
	v_lshrrev_b32_e32 v8, 6, v5
	v_lshlrev_b32_e32 v5, 2, v2
	v_lshl_or_b32 v26, v8, 8, v5
	v_lshlrev_b32_e32 v5, 2, v6
	v_mov_b32_e32 v1, 0
	v_lshl_or_b32 v5, v0, 4, v5
	s_waitcnt lgkmcnt(0)
	s_mul_i32 s5, s23, s4
	s_mul_hi_u32 s18, s22, s4
	v_add_u32_e32 v27, 0x400, v5
	v_add_u32_e32 v29, 0x400, v4
	s_add_i32 s19, s18, s5
	s_mul_i32 s18, s22, s4
	v_mad_u64_u32 v[4:5], s[22:23], s20, v6, v[0:1]
	v_mov_b32_e32 v0, v5
	s_lshl_b64 s[18:19], s[18:19], 2
	v_mad_u64_u32 v[6:7], s[22:23], s21, v6, v[0:1]
	v_mov_b32_e32 v3, v1
	v_mov_b32_e32 v5, v6
	s_add_u32 s14, s14, s18
	v_lshl_add_u64 v[4:5], v[4:5], 0, s[6:7]
	s_addc_u32 s15, s15, s19
	v_lshl_add_u64 v[2:3], s[2:3], 0, v[2:3]
	v_lshl_add_u64 v[20:21], v[4:5], 2, s[14:15]
	v_mul_lo_u32 v0, s11, v2
	v_mul_lo_u32 v4, s10, v3
	v_mad_u64_u32 v[2:3], s[10:11], s10, v2, 0
	s_mul_i32 s5, s13, s4
	s_mul_hi_u32 s10, s12, s4
	s_add_i32 s11, s10, s5
	s_mul_i32 s10, s12, s4
	v_add3_u32 v3, v3, v4, v0
	s_lshl_b64 s[10:11], s[10:11], 2
	v_lshl_add_u64 v[2:3], v[2:3], 2, s[10:11]
	v_lshlrev_b32_e32 v0, 2, v8
	v_lshl_add_u64 v[2:3], v[2:3], 0, v[0:1]
	v_lshlrev_b32_e32 v28, 2, v16
	s_lshl_b64 s[14:15], s[20:21], 4
	v_lshl_add_u64 v[22:23], s[8:9], 0, v[2:3]
	s_mov_b64 s[8:9], 0
	v_mov_b64_e32 v[24:25], s[16:17]
	v_mov_b32_e32 v0, v1
	v_mov_b32_e32 v2, v1
	;; [unrolled: 1-line block ×15, first 2 shown]
.LBB35_2:                               ; =>This Inner Loop Header: Depth=1
	global_load_dword v30, v[22:23], off
	s_add_u32 s8, s8, 4
	s_addc_u32 s9, s9, 0
	v_cmp_lt_i64_e32 vcc, s[8:9], v[24:25]
	v_lshl_add_u64 v[22:23], v[22:23], 0, 16
	s_and_b64 vcc, exec, vcc
	s_waitcnt vmcnt(0)
	ds_write_b32 v26, v30
	global_load_dword v30, v[20:21], off
	v_lshl_add_u64 v[20:21], v[20:21], 0, s[14:15]
	s_waitcnt vmcnt(0)
	ds_write_b32 v27, v30
	s_waitcnt lgkmcnt(0)
	s_barrier
	ds_read_b128 v[30:33], v29
	ds_read2_b32 v[48:49], v28 offset1:16
	ds_read2_b32 v[58:59], v28 offset0:32 offset1:48
	ds_read_b128 v[34:37], v29 offset:256
	ds_read_b128 v[38:41], v29 offset:512
	;; [unrolled: 1-line block ×3, first 2 shown]
	ds_read2_b32 v[50:51], v28 offset0:64 offset1:80
	ds_read2_b32 v[60:61], v28 offset0:96 offset1:112
	;; [unrolled: 1-line block ×6, first 2 shown]
	s_waitcnt lgkmcnt(10)
	v_mov_b32_e32 v46, v49
	v_mov_b32_e32 v47, v48
	s_waitcnt lgkmcnt(9)
	v_mov_b32_e32 v56, v59
	v_mov_b32_e32 v57, v58
	v_pk_fma_f32 v[18:19], v[46:47], v[30:31], v[18:19] op_sel_hi:[1,0,1]
	s_waitcnt lgkmcnt(5)
	v_mov_b32_e32 v48, v51
	v_mov_b32_e32 v49, v50
	v_pk_fma_f32 v[12:13], v[56:57], v[30:31], v[12:13] op_sel_hi:[1,0,1]
	;; [unrolled: 4-line block ×3, first 2 shown]
	v_pk_fma_f32 v[4:5], v[56:57], v[38:39], v[4:5] op_sel_hi:[1,0,1]
	v_pk_fma_f32 v[18:19], v[48:49], v[30:31], v[18:19] op_sel:[0,1,0]
	s_waitcnt lgkmcnt(3)
	v_mov_b32_e32 v50, v53
	v_mov_b32_e32 v51, v52
	v_pk_fma_f32 v[12:13], v[58:59], v[30:31], v[12:13] op_sel:[0,1,0]
	s_waitcnt lgkmcnt(2)
	v_mov_b32_e32 v30, v63
	v_mov_b32_e32 v31, v62
	v_pk_fma_f32 v[10:11], v[46:47], v[34:35], v[10:11] op_sel_hi:[1,0,1]
	v_pk_fma_f32 v[8:9], v[56:57], v[34:35], v[8:9] op_sel_hi:[1,0,1]
	v_pk_fma_f32 v[6:7], v[48:49], v[38:39], v[6:7] op_sel:[0,1,0]
	v_pk_fma_f32 v[4:5], v[58:59], v[38:39], v[4:5] op_sel:[0,1,0]
	v_pk_fma_f32 v[2:3], v[46:47], v[42:43], v[2:3] op_sel_hi:[1,0,1]
	v_pk_fma_f32 v[0:1], v[56:57], v[42:43], v[0:1] op_sel_hi:[1,0,1]
	;; [unrolled: 1-line block ×3, first 2 shown]
	s_waitcnt lgkmcnt(1)
	v_mov_b32_e32 v52, v55
	v_mov_b32_e32 v53, v54
	;; [unrolled: 1-line block ×3, first 2 shown]
	v_pk_fma_f32 v[12:13], v[30:31], v[32:33], v[12:13] op_sel_hi:[1,0,1]
	s_waitcnt lgkmcnt(0)
	v_mov_b32_e32 v32, v65
	v_mov_b32_e32 v33, v64
	v_pk_fma_f32 v[10:11], v[48:49], v[34:35], v[10:11] op_sel:[0,1,0]
	v_pk_fma_f32 v[8:9], v[58:59], v[34:35], v[8:9] op_sel:[0,1,0]
	v_pk_fma_f32 v[6:7], v[50:51], v[40:41], v[6:7] op_sel_hi:[1,0,1]
	v_mov_b32_e32 v34, v41
	v_pk_fma_f32 v[4:5], v[30:31], v[40:41], v[4:5] op_sel_hi:[1,0,1]
	v_pk_fma_f32 v[2:3], v[48:49], v[42:43], v[2:3] op_sel:[0,1,0]
	v_pk_fma_f32 v[0:1], v[58:59], v[42:43], v[0:1] op_sel:[0,1,0]
	v_pk_fma_f32 v[18:19], v[52:53], v[54:55], v[18:19] op_sel_hi:[1,0,1]
	v_pk_fma_f32 v[12:13], v[32:33], v[54:55], v[12:13] op_sel_hi:[1,0,1]
	;; [unrolled: 1-line block ×3, first 2 shown]
	v_mov_b32_e32 v54, v37
	v_pk_fma_f32 v[8:9], v[30:31], v[36:37], v[8:9] op_sel_hi:[1,0,1]
	v_pk_fma_f32 v[6:7], v[52:53], v[34:35], v[6:7] op_sel_hi:[1,0,1]
	;; [unrolled: 1-line block ×4, first 2 shown]
	v_mov_b32_e32 v34, v45
	v_pk_fma_f32 v[0:1], v[30:31], v[44:45], v[0:1] op_sel_hi:[1,0,1]
	v_pk_fma_f32 v[10:11], v[52:53], v[54:55], v[10:11] op_sel_hi:[1,0,1]
	;; [unrolled: 1-line block ×5, first 2 shown]
	s_barrier
	s_cbranch_vccnz .LBB35_2
.LBB35_3:
	s_load_dwordx4 s[16:19], s[0:1], 0x78
	s_load_dword s5, s[0:1], 0x18
	s_load_dword s20, s[0:1], 0x50
	s_load_dwordx8 s[8:15], s[0:1], 0x58
	v_lshl_add_u64 v[20:21], s[6:7], 0, v[14:15]
	s_waitcnt lgkmcnt(0)
	s_mul_i32 s0, s19, s4
	s_mul_hi_u32 s1, s18, s4
	s_add_i32 s1, s1, s0
	s_mul_i32 s0, s18, s4
	s_lshl_b64 s[0:1], s[0:1], 2
	s_add_u32 s0, s14, s0
	v_cmp_neq_f32_e64 s[6:7], s20, 0
	v_lshl_add_u64 v[14:15], s[2:3], 0, v[16:17]
	s_addc_u32 s1, s15, s1
	s_and_b64 vcc, exec, s[6:7]
	v_mul_lo_u32 v16, v21, s16
	v_mul_lo_u32 v17, v20, s17
	v_lshlrev_b64 v[14:15], 2, v[14:15]
	s_cbranch_vccnz .LBB35_7
; %bb.4:
	v_mad_u64_u32 v[22:23], s[2:3], v20, s16, 0
	v_add3_u32 v23, v23, v17, v16
	v_lshl_add_u64 v[22:23], v[22:23], 2, s[0:1]
	v_mul_f32_e32 v26, s5, v19
	v_lshl_add_u64 v[24:25], v[22:23], 0, v[14:15]
	global_store_dword v[24:25], v26, off
	v_mul_f32_e32 v26, s5, v18
	global_store_dword v[24:25], v26, off offset:64
	v_mul_f32_e32 v26, s5, v13
	s_lshl_b64 s[2:3], s[16:17], 6
	global_store_dword v[24:25], v26, off offset:128
	v_mul_f32_e32 v26, s5, v12
	v_lshl_add_u64 v[22:23], v[22:23], 0, s[2:3]
	global_store_dword v[24:25], v26, off offset:192
	v_mul_f32_e32 v26, s5, v11
	v_lshl_add_u64 v[24:25], v[22:23], 0, v[14:15]
	global_store_dword v[24:25], v26, off
	v_mul_f32_e32 v26, s5, v10
	global_store_dword v[24:25], v26, off offset:64
	v_mul_f32_e32 v26, s5, v9
	global_store_dword v[24:25], v26, off offset:128
	v_mul_f32_e32 v26, s5, v8
	v_lshl_add_u64 v[22:23], v[22:23], 0, s[2:3]
	global_store_dword v[24:25], v26, off offset:192
	v_mul_f32_e32 v26, s5, v7
	v_lshl_add_u64 v[24:25], v[22:23], 0, v[14:15]
	global_store_dword v[24:25], v26, off
	v_mul_f32_e32 v26, s5, v6
	global_store_dword v[24:25], v26, off offset:64
	v_mul_f32_e32 v26, s5, v5
	;; [unrolled: 10-line block ×3, first 2 shown]
	global_store_dword v[22:23], v24, off offset:128
	v_mul_f32_e32 v24, s5, v0
	global_store_dword v[22:23], v24, off offset:192
	s_cbranch_execnz .LBB35_6
.LBB35_5:
	s_mul_i32 s2, s13, s4
	s_mul_hi_u32 s3, s12, s4
	s_add_i32 s3, s3, s2
	s_mul_i32 s2, s12, s4
	s_lshl_b64 s[2:3], s[2:3], 2
	s_add_u32 s2, s8, s2
	v_mul_lo_u32 v21, v21, s10
	v_mul_lo_u32 v24, v20, s11
	v_mad_u64_u32 v[22:23], s[6:7], v20, s10, 0
	s_addc_u32 s3, s9, s3
	v_add3_u32 v23, v23, v24, v21
	v_lshl_add_u64 v[22:23], v[22:23], 2, s[2:3]
	v_lshl_add_u64 v[24:25], v[22:23], 0, v[14:15]
	global_load_dword v26, v[24:25], off
	v_mad_u64_u32 v[20:21], s[2:3], v20, s16, 0
	v_add3_u32 v21, v21, v17, v16
	v_lshl_add_u64 v[16:17], v[20:21], 2, s[0:1]
	v_lshl_add_u64 v[20:21], v[16:17], 0, v[14:15]
	s_lshl_b64 s[0:1], s[10:11], 6
	s_lshl_b64 s[2:3], s[16:17], 6
	s_waitcnt vmcnt(0)
	v_mul_f32_e32 v26, s20, v26
	v_fmac_f32_e32 v26, s5, v19
	global_store_dword v[20:21], v26, off
	global_load_dword v19, v[24:25], off offset:64
	s_waitcnt vmcnt(0)
	v_mul_f32_e32 v19, s20, v19
	v_fmac_f32_e32 v19, s5, v18
	global_store_dword v[20:21], v19, off offset:64
	global_load_dword v18, v[24:25], off offset:128
	s_waitcnt vmcnt(0)
	v_mul_f32_e32 v18, s20, v18
	v_fmac_f32_e32 v18, s5, v13
	global_store_dword v[20:21], v18, off offset:128
	global_load_dword v13, v[24:25], off offset:192
	v_lshl_add_u64 v[18:19], v[22:23], 0, s[0:1]
	v_lshl_add_u64 v[22:23], v[18:19], 0, v[14:15]
	s_waitcnt vmcnt(0)
	v_mul_f32_e32 v13, s20, v13
	v_fmac_f32_e32 v13, s5, v12
	global_store_dword v[20:21], v13, off offset:192
	global_load_dword v20, v[22:23], off
	v_lshl_add_u64 v[12:13], v[16:17], 0, s[2:3]
	v_lshl_add_u64 v[16:17], v[12:13], 0, v[14:15]
	s_waitcnt vmcnt(0)
	v_mul_f32_e32 v20, s20, v20
	v_fmac_f32_e32 v20, s5, v11
	global_store_dword v[16:17], v20, off
	global_load_dword v11, v[22:23], off offset:64
	s_waitcnt vmcnt(0)
	v_mul_f32_e32 v11, s20, v11
	v_fmac_f32_e32 v11, s5, v10
	global_store_dword v[16:17], v11, off offset:64
	global_load_dword v10, v[22:23], off offset:128
	s_waitcnt vmcnt(0)
	v_mul_f32_e32 v10, s20, v10
	v_fmac_f32_e32 v10, s5, v9
	global_store_dword v[16:17], v10, off offset:128
	global_load_dword v9, v[22:23], off offset:192
	v_lshl_add_u64 v[10:11], v[18:19], 0, s[0:1]
	v_lshl_add_u64 v[18:19], v[10:11], 0, v[14:15]
	s_waitcnt vmcnt(0)
	v_mul_f32_e32 v9, s20, v9
	v_fmac_f32_e32 v9, s5, v8
	global_store_dword v[16:17], v9, off offset:192
	global_load_dword v16, v[18:19], off
	v_lshl_add_u64 v[8:9], v[12:13], 0, s[2:3]
	v_lshl_add_u64 v[12:13], v[8:9], 0, v[14:15]
	;; [unrolled: 24-line block ×3, first 2 shown]
	s_waitcnt vmcnt(0)
	v_mul_f32_e32 v8, s20, v10
	v_fmac_f32_e32 v8, s5, v3
	global_store_dword v[4:5], v8, off
	global_load_dword v3, v[6:7], off offset:64
	s_waitcnt vmcnt(0)
	v_mul_f32_e32 v3, s20, v3
	v_fmac_f32_e32 v3, s5, v2
	global_store_dword v[4:5], v3, off offset:64
	global_load_dword v2, v[6:7], off offset:128
	s_waitcnt vmcnt(0)
	v_mul_f32_e32 v2, s20, v2
	v_fmac_f32_e32 v2, s5, v1
	global_store_dword v[4:5], v2, off offset:128
	;; [unrolled: 5-line block ×3, first 2 shown]
.LBB35_6:
	s_endpgm
.LBB35_7:
	s_branch .LBB35_5
	.section	.rodata,"a",@progbits
	.p2align	6, 0x0
	.amdhsa_kernel _ZN12_GLOBAL__N_127rocblas_gemm_batched_kernelIfLi16ELi16ELi64ELi64ELi4ELi64ELi4ELi4ELi64ELc67ELc67EKfS1_fEEvlllT_PT11_llS4_llS2_PT12_llPT13_lli
		.amdhsa_group_segment_fixed_size 2048
		.amdhsa_private_segment_fixed_size 0
		.amdhsa_kernarg_size 140
		.amdhsa_user_sgpr_count 2
		.amdhsa_user_sgpr_dispatch_ptr 0
		.amdhsa_user_sgpr_queue_ptr 0
		.amdhsa_user_sgpr_kernarg_segment_ptr 1
		.amdhsa_user_sgpr_dispatch_id 0
		.amdhsa_user_sgpr_kernarg_preload_length 0
		.amdhsa_user_sgpr_kernarg_preload_offset 0
		.amdhsa_user_sgpr_private_segment_size 0
		.amdhsa_uses_dynamic_stack 0
		.amdhsa_enable_private_segment 0
		.amdhsa_system_sgpr_workgroup_id_x 1
		.amdhsa_system_sgpr_workgroup_id_y 1
		.amdhsa_system_sgpr_workgroup_id_z 1
		.amdhsa_system_sgpr_workgroup_info 0
		.amdhsa_system_vgpr_workitem_id 1
		.amdhsa_next_free_vgpr 66
		.amdhsa_next_free_sgpr 24
		.amdhsa_accum_offset 68
		.amdhsa_reserve_vcc 1
		.amdhsa_float_round_mode_32 0
		.amdhsa_float_round_mode_16_64 0
		.amdhsa_float_denorm_mode_32 3
		.amdhsa_float_denorm_mode_16_64 3
		.amdhsa_dx10_clamp 1
		.amdhsa_ieee_mode 1
		.amdhsa_fp16_overflow 0
		.amdhsa_tg_split 0
		.amdhsa_exception_fp_ieee_invalid_op 0
		.amdhsa_exception_fp_denorm_src 0
		.amdhsa_exception_fp_ieee_div_zero 0
		.amdhsa_exception_fp_ieee_overflow 0
		.amdhsa_exception_fp_ieee_underflow 0
		.amdhsa_exception_fp_ieee_inexact 0
		.amdhsa_exception_int_div_zero 0
	.end_amdhsa_kernel
	.section	.text._ZN12_GLOBAL__N_127rocblas_gemm_batched_kernelIfLi16ELi16ELi64ELi64ELi4ELi64ELi4ELi4ELi64ELc67ELc67EKfS1_fEEvlllT_PT11_llS4_llS2_PT12_llPT13_lli,"axG",@progbits,_ZN12_GLOBAL__N_127rocblas_gemm_batched_kernelIfLi16ELi16ELi64ELi64ELi4ELi64ELi4ELi4ELi64ELc67ELc67EKfS1_fEEvlllT_PT11_llS4_llS2_PT12_llPT13_lli,comdat
.Lfunc_end35:
	.size	_ZN12_GLOBAL__N_127rocblas_gemm_batched_kernelIfLi16ELi16ELi64ELi64ELi4ELi64ELi4ELi4ELi64ELc67ELc67EKfS1_fEEvlllT_PT11_llS4_llS2_PT12_llPT13_lli, .Lfunc_end35-_ZN12_GLOBAL__N_127rocblas_gemm_batched_kernelIfLi16ELi16ELi64ELi64ELi4ELi64ELi4ELi4ELi64ELc67ELc67EKfS1_fEEvlllT_PT11_llS4_llS2_PT12_llPT13_lli
                                        ; -- End function
	.set _ZN12_GLOBAL__N_127rocblas_gemm_batched_kernelIfLi16ELi16ELi64ELi64ELi4ELi64ELi4ELi4ELi64ELc67ELc67EKfS1_fEEvlllT_PT11_llS4_llS2_PT12_llPT13_lli.num_vgpr, 66
	.set _ZN12_GLOBAL__N_127rocblas_gemm_batched_kernelIfLi16ELi16ELi64ELi64ELi4ELi64ELi4ELi4ELi64ELc67ELc67EKfS1_fEEvlllT_PT11_llS4_llS2_PT12_llPT13_lli.num_agpr, 0
	.set _ZN12_GLOBAL__N_127rocblas_gemm_batched_kernelIfLi16ELi16ELi64ELi64ELi4ELi64ELi4ELi4ELi64ELc67ELc67EKfS1_fEEvlllT_PT11_llS4_llS2_PT12_llPT13_lli.numbered_sgpr, 24
	.set _ZN12_GLOBAL__N_127rocblas_gemm_batched_kernelIfLi16ELi16ELi64ELi64ELi4ELi64ELi4ELi4ELi64ELc67ELc67EKfS1_fEEvlllT_PT11_llS4_llS2_PT12_llPT13_lli.num_named_barrier, 0
	.set _ZN12_GLOBAL__N_127rocblas_gemm_batched_kernelIfLi16ELi16ELi64ELi64ELi4ELi64ELi4ELi4ELi64ELc67ELc67EKfS1_fEEvlllT_PT11_llS4_llS2_PT12_llPT13_lli.private_seg_size, 0
	.set _ZN12_GLOBAL__N_127rocblas_gemm_batched_kernelIfLi16ELi16ELi64ELi64ELi4ELi64ELi4ELi4ELi64ELc67ELc67EKfS1_fEEvlllT_PT11_llS4_llS2_PT12_llPT13_lli.uses_vcc, 1
	.set _ZN12_GLOBAL__N_127rocblas_gemm_batched_kernelIfLi16ELi16ELi64ELi64ELi4ELi64ELi4ELi4ELi64ELc67ELc67EKfS1_fEEvlllT_PT11_llS4_llS2_PT12_llPT13_lli.uses_flat_scratch, 0
	.set _ZN12_GLOBAL__N_127rocblas_gemm_batched_kernelIfLi16ELi16ELi64ELi64ELi4ELi64ELi4ELi4ELi64ELc67ELc67EKfS1_fEEvlllT_PT11_llS4_llS2_PT12_llPT13_lli.has_dyn_sized_stack, 0
	.set _ZN12_GLOBAL__N_127rocblas_gemm_batched_kernelIfLi16ELi16ELi64ELi64ELi4ELi64ELi4ELi4ELi64ELc67ELc67EKfS1_fEEvlllT_PT11_llS4_llS2_PT12_llPT13_lli.has_recursion, 0
	.set _ZN12_GLOBAL__N_127rocblas_gemm_batched_kernelIfLi16ELi16ELi64ELi64ELi4ELi64ELi4ELi4ELi64ELc67ELc67EKfS1_fEEvlllT_PT11_llS4_llS2_PT12_llPT13_lli.has_indirect_call, 0
	.section	.AMDGPU.csdata,"",@progbits
; Kernel info:
; codeLenInByte = 2080
; TotalNumSgprs: 30
; NumVgprs: 66
; NumAgprs: 0
; TotalNumVgprs: 66
; ScratchSize: 0
; MemoryBound: 0
; FloatMode: 240
; IeeeMode: 1
; LDSByteSize: 2048 bytes/workgroup (compile time only)
; SGPRBlocks: 3
; VGPRBlocks: 8
; NumSGPRsForWavesPerEU: 30
; NumVGPRsForWavesPerEU: 66
; AccumOffset: 68
; Occupancy: 7
; WaveLimiterHint : 0
; COMPUTE_PGM_RSRC2:SCRATCH_EN: 0
; COMPUTE_PGM_RSRC2:USER_SGPR: 2
; COMPUTE_PGM_RSRC2:TRAP_HANDLER: 0
; COMPUTE_PGM_RSRC2:TGID_X_EN: 1
; COMPUTE_PGM_RSRC2:TGID_Y_EN: 1
; COMPUTE_PGM_RSRC2:TGID_Z_EN: 1
; COMPUTE_PGM_RSRC2:TIDIG_COMP_CNT: 1
; COMPUTE_PGM_RSRC3_GFX90A:ACCUM_OFFSET: 16
; COMPUTE_PGM_RSRC3_GFX90A:TG_SPLIT: 0
	.section	.text._ZN12_GLOBAL__N_127rocblas_gemm_batched_kernelIfLi16ELi16ELi64ELi64ELi4ELi64ELi4ELi4ELi64ELc67ELc78EKfS1_fEEvlllT_PT11_llS4_llS2_PT12_llPT13_lli,"axG",@progbits,_ZN12_GLOBAL__N_127rocblas_gemm_batched_kernelIfLi16ELi16ELi64ELi64ELi4ELi64ELi4ELi4ELi64ELc67ELc78EKfS1_fEEvlllT_PT11_llS4_llS2_PT12_llPT13_lli,comdat
	.globl	_ZN12_GLOBAL__N_127rocblas_gemm_batched_kernelIfLi16ELi16ELi64ELi64ELi4ELi64ELi4ELi4ELi64ELc67ELc78EKfS1_fEEvlllT_PT11_llS4_llS2_PT12_llPT13_lli ; -- Begin function _ZN12_GLOBAL__N_127rocblas_gemm_batched_kernelIfLi16ELi16ELi64ELi64ELi4ELi64ELi4ELi4ELi64ELc67ELc78EKfS1_fEEvlllT_PT11_llS4_llS2_PT12_llPT13_lli
	.p2align	8
	.type	_ZN12_GLOBAL__N_127rocblas_gemm_batched_kernelIfLi16ELi16ELi64ELi64ELi4ELi64ELi4ELi4ELi64ELc67ELc78EKfS1_fEEvlllT_PT11_llS4_llS2_PT12_llPT13_lli,@function
_ZN12_GLOBAL__N_127rocblas_gemm_batched_kernelIfLi16ELi16ELi64ELi64ELi4ELi64ELi4ELi4ELi64ELc67ELc78EKfS1_fEEvlllT_PT11_llS4_llS2_PT12_llPT13_lli: ; @_ZN12_GLOBAL__N_127rocblas_gemm_batched_kernelIfLi16ELi16ELi64ELi64ELi4ELi64ELi4ELi4ELi64ELc67ELc78EKfS1_fEEvlllT_PT11_llS4_llS2_PT12_llPT13_lli
; %bb.0:
	s_load_dwordx2 s[16:17], s[0:1], 0x10
	s_mov_b32 s6, s3
	v_mov_b32_e32 v15, 0
	s_ashr_i32 s3, s2, 31
	s_ashr_i32 s7, s6, 31
	s_waitcnt lgkmcnt(0)
	v_cmp_lt_i64_e64 s[8:9], s[16:17], 1
	v_bfe_u32 v14, v0, 10, 10
	v_and_b32_e32 v16, 0x3ff, v0
	v_mov_b32_e32 v17, v15
	s_lshl_b64 s[2:3], s[2:3], 6
	s_lshl_b64 s[6:7], s[6:7], 6
	s_and_b64 vcc, exec, s[8:9]
	v_mov_b32_e32 v19, v15
	v_mov_b32_e32 v18, v15
	;; [unrolled: 1-line block ×16, first 2 shown]
	s_cbranch_vccnz .LBB36_3
; %bb.1:
	v_lshlrev_b32_e32 v7, 4, v14
	s_load_dwordx8 s[8:15], s[0:1], 0x20
	s_load_dwordx4 s[20:23], s[0:1], 0x40
	v_add_u32_e32 v6, v7, v16
	v_and_b32_e32 v4, 63, v6
	v_lshrrev_b32_e32 v0, 2, v6
	v_and_b32_e32 v8, 3, v16
	v_lshrrev_b32_e32 v9, 6, v6
	v_lshlrev_b32_e32 v6, 2, v4
	v_mov_b32_e32 v1, 0
	v_lshl_or_b32 v26, v9, 8, v6
	v_lshlrev_b32_e32 v6, 2, v8
	v_lshl_add_u64 v[2:3], v[0:1], 0, s[6:7]
	v_lshl_or_b32 v0, v0, 4, v6
	v_add_u32_e32 v27, 0x400, v0
	v_add_u32_e32 v29, 0x400, v7
	s_waitcnt lgkmcnt(0)
	v_mul_lo_u32 v0, s21, v2
	v_mul_lo_u32 v7, s20, v3
	v_mad_u64_u32 v[2:3], s[18:19], s20, v2, 0
	s_mul_i32 s5, s23, s4
	s_mul_hi_u32 s18, s22, s4
	s_add_i32 s19, s18, s5
	s_mul_i32 s18, s22, s4
	v_add3_u32 v3, v3, v7, v0
	s_lshl_b64 s[18:19], s[18:19], 2
	v_lshl_add_u64 v[2:3], v[2:3], 2, s[18:19]
	v_mov_b32_e32 v7, v1
	v_mov_b32_e32 v5, v1
	v_lshl_add_u64 v[2:3], v[2:3], 0, v[6:7]
	v_lshl_add_u64 v[20:21], s[14:15], 0, v[2:3]
	;; [unrolled: 1-line block ×3, first 2 shown]
	v_mul_lo_u32 v0, s11, v2
	v_mul_lo_u32 v4, s10, v3
	v_mad_u64_u32 v[2:3], s[10:11], s10, v2, 0
	s_mul_i32 s5, s13, s4
	s_mul_hi_u32 s10, s12, s4
	s_add_i32 s11, s10, s5
	s_mul_i32 s10, s12, s4
	v_add3_u32 v3, v3, v4, v0
	s_lshl_b64 s[10:11], s[10:11], 2
	v_lshl_add_u64 v[2:3], v[2:3], 2, s[10:11]
	v_lshlrev_b32_e32 v0, 2, v9
	v_lshl_add_u64 v[2:3], v[2:3], 0, v[0:1]
	v_lshlrev_b32_e32 v28, 2, v16
	v_lshl_add_u64 v[22:23], s[8:9], 0, v[2:3]
	s_mov_b64 s[8:9], 0
	v_mov_b64_e32 v[24:25], s[16:17]
	v_mov_b32_e32 v0, v1
	v_mov_b32_e32 v2, v1
	;; [unrolled: 1-line block ×13, first 2 shown]
.LBB36_2:                               ; =>This Inner Loop Header: Depth=1
	global_load_dword v30, v[22:23], off
	s_add_u32 s8, s8, 4
	s_addc_u32 s9, s9, 0
	v_cmp_lt_i64_e32 vcc, s[8:9], v[24:25]
	v_lshl_add_u64 v[22:23], v[22:23], 0, 16
	s_and_b64 vcc, exec, vcc
	s_waitcnt vmcnt(0)
	ds_write_b32 v26, v30
	global_load_dword v30, v[20:21], off
	v_lshl_add_u64 v[20:21], v[20:21], 0, 16
	s_waitcnt vmcnt(0)
	ds_write_b32 v27, v30
	s_waitcnt lgkmcnt(0)
	s_barrier
	ds_read_b128 v[30:33], v29
	ds_read2_b32 v[48:49], v28 offset1:16
	ds_read2_b32 v[58:59], v28 offset0:32 offset1:48
	ds_read_b128 v[34:37], v29 offset:256
	ds_read_b128 v[38:41], v29 offset:512
	;; [unrolled: 1-line block ×3, first 2 shown]
	ds_read2_b32 v[50:51], v28 offset0:64 offset1:80
	ds_read2_b32 v[60:61], v28 offset0:96 offset1:112
	;; [unrolled: 1-line block ×6, first 2 shown]
	s_waitcnt lgkmcnt(10)
	v_mov_b32_e32 v46, v49
	v_mov_b32_e32 v47, v48
	s_waitcnt lgkmcnt(9)
	v_mov_b32_e32 v56, v59
	v_mov_b32_e32 v57, v58
	v_pk_fma_f32 v[18:19], v[46:47], v[30:31], v[18:19] op_sel_hi:[1,0,1]
	s_waitcnt lgkmcnt(5)
	v_mov_b32_e32 v48, v51
	v_mov_b32_e32 v49, v50
	v_pk_fma_f32 v[12:13], v[56:57], v[30:31], v[12:13] op_sel_hi:[1,0,1]
	;; [unrolled: 4-line block ×3, first 2 shown]
	v_pk_fma_f32 v[4:5], v[56:57], v[38:39], v[4:5] op_sel_hi:[1,0,1]
	v_pk_fma_f32 v[18:19], v[48:49], v[30:31], v[18:19] op_sel:[0,1,0]
	s_waitcnt lgkmcnt(3)
	v_mov_b32_e32 v50, v53
	v_mov_b32_e32 v51, v52
	v_pk_fma_f32 v[12:13], v[58:59], v[30:31], v[12:13] op_sel:[0,1,0]
	s_waitcnt lgkmcnt(2)
	v_mov_b32_e32 v30, v63
	v_mov_b32_e32 v31, v62
	v_pk_fma_f32 v[10:11], v[46:47], v[34:35], v[10:11] op_sel_hi:[1,0,1]
	v_pk_fma_f32 v[8:9], v[56:57], v[34:35], v[8:9] op_sel_hi:[1,0,1]
	v_pk_fma_f32 v[6:7], v[48:49], v[38:39], v[6:7] op_sel:[0,1,0]
	v_pk_fma_f32 v[4:5], v[58:59], v[38:39], v[4:5] op_sel:[0,1,0]
	v_pk_fma_f32 v[2:3], v[46:47], v[42:43], v[2:3] op_sel_hi:[1,0,1]
	v_pk_fma_f32 v[0:1], v[56:57], v[42:43], v[0:1] op_sel_hi:[1,0,1]
	;; [unrolled: 1-line block ×3, first 2 shown]
	s_waitcnt lgkmcnt(1)
	v_mov_b32_e32 v52, v55
	v_mov_b32_e32 v53, v54
	;; [unrolled: 1-line block ×3, first 2 shown]
	v_pk_fma_f32 v[12:13], v[30:31], v[32:33], v[12:13] op_sel_hi:[1,0,1]
	s_waitcnt lgkmcnt(0)
	v_mov_b32_e32 v32, v65
	v_mov_b32_e32 v33, v64
	v_pk_fma_f32 v[10:11], v[48:49], v[34:35], v[10:11] op_sel:[0,1,0]
	v_pk_fma_f32 v[8:9], v[58:59], v[34:35], v[8:9] op_sel:[0,1,0]
	v_pk_fma_f32 v[6:7], v[50:51], v[40:41], v[6:7] op_sel_hi:[1,0,1]
	v_mov_b32_e32 v34, v41
	v_pk_fma_f32 v[4:5], v[30:31], v[40:41], v[4:5] op_sel_hi:[1,0,1]
	v_pk_fma_f32 v[2:3], v[48:49], v[42:43], v[2:3] op_sel:[0,1,0]
	v_pk_fma_f32 v[0:1], v[58:59], v[42:43], v[0:1] op_sel:[0,1,0]
	v_pk_fma_f32 v[18:19], v[52:53], v[54:55], v[18:19] op_sel_hi:[1,0,1]
	v_pk_fma_f32 v[12:13], v[32:33], v[54:55], v[12:13] op_sel_hi:[1,0,1]
	;; [unrolled: 1-line block ×3, first 2 shown]
	v_mov_b32_e32 v54, v37
	v_pk_fma_f32 v[8:9], v[30:31], v[36:37], v[8:9] op_sel_hi:[1,0,1]
	v_pk_fma_f32 v[6:7], v[52:53], v[34:35], v[6:7] op_sel_hi:[1,0,1]
	;; [unrolled: 1-line block ×4, first 2 shown]
	v_mov_b32_e32 v34, v45
	v_pk_fma_f32 v[0:1], v[30:31], v[44:45], v[0:1] op_sel_hi:[1,0,1]
	v_pk_fma_f32 v[10:11], v[52:53], v[54:55], v[10:11] op_sel_hi:[1,0,1]
	;; [unrolled: 1-line block ×5, first 2 shown]
	s_barrier
	s_cbranch_vccnz .LBB36_2
.LBB36_3:
	s_load_dwordx4 s[16:19], s[0:1], 0x78
	s_load_dword s5, s[0:1], 0x18
	s_load_dword s20, s[0:1], 0x50
	s_load_dwordx8 s[8:15], s[0:1], 0x58
	v_lshl_add_u64 v[20:21], s[6:7], 0, v[14:15]
	s_waitcnt lgkmcnt(0)
	s_mul_i32 s0, s19, s4
	s_mul_hi_u32 s1, s18, s4
	s_add_i32 s1, s1, s0
	s_mul_i32 s0, s18, s4
	s_lshl_b64 s[0:1], s[0:1], 2
	s_add_u32 s0, s14, s0
	v_cmp_neq_f32_e64 s[6:7], s20, 0
	v_lshl_add_u64 v[14:15], s[2:3], 0, v[16:17]
	s_addc_u32 s1, s15, s1
	s_and_b64 vcc, exec, s[6:7]
	v_mul_lo_u32 v16, v21, s16
	v_mul_lo_u32 v17, v20, s17
	v_lshlrev_b64 v[14:15], 2, v[14:15]
	s_cbranch_vccnz .LBB36_7
; %bb.4:
	v_mad_u64_u32 v[22:23], s[2:3], v20, s16, 0
	v_add3_u32 v23, v23, v17, v16
	v_lshl_add_u64 v[22:23], v[22:23], 2, s[0:1]
	v_mul_f32_e32 v26, s5, v19
	v_lshl_add_u64 v[24:25], v[22:23], 0, v[14:15]
	global_store_dword v[24:25], v26, off
	v_mul_f32_e32 v26, s5, v18
	global_store_dword v[24:25], v26, off offset:64
	v_mul_f32_e32 v26, s5, v13
	s_lshl_b64 s[2:3], s[16:17], 6
	global_store_dword v[24:25], v26, off offset:128
	v_mul_f32_e32 v26, s5, v12
	v_lshl_add_u64 v[22:23], v[22:23], 0, s[2:3]
	global_store_dword v[24:25], v26, off offset:192
	v_mul_f32_e32 v26, s5, v11
	v_lshl_add_u64 v[24:25], v[22:23], 0, v[14:15]
	global_store_dword v[24:25], v26, off
	v_mul_f32_e32 v26, s5, v10
	global_store_dword v[24:25], v26, off offset:64
	v_mul_f32_e32 v26, s5, v9
	global_store_dword v[24:25], v26, off offset:128
	v_mul_f32_e32 v26, s5, v8
	v_lshl_add_u64 v[22:23], v[22:23], 0, s[2:3]
	global_store_dword v[24:25], v26, off offset:192
	v_mul_f32_e32 v26, s5, v7
	v_lshl_add_u64 v[24:25], v[22:23], 0, v[14:15]
	global_store_dword v[24:25], v26, off
	v_mul_f32_e32 v26, s5, v6
	global_store_dword v[24:25], v26, off offset:64
	v_mul_f32_e32 v26, s5, v5
	;; [unrolled: 10-line block ×3, first 2 shown]
	global_store_dword v[22:23], v24, off offset:128
	v_mul_f32_e32 v24, s5, v0
	global_store_dword v[22:23], v24, off offset:192
	s_cbranch_execnz .LBB36_6
.LBB36_5:
	s_mul_i32 s2, s13, s4
	s_mul_hi_u32 s3, s12, s4
	s_add_i32 s3, s3, s2
	s_mul_i32 s2, s12, s4
	s_lshl_b64 s[2:3], s[2:3], 2
	s_add_u32 s2, s8, s2
	v_mul_lo_u32 v21, v21, s10
	v_mul_lo_u32 v24, v20, s11
	v_mad_u64_u32 v[22:23], s[6:7], v20, s10, 0
	s_addc_u32 s3, s9, s3
	v_add3_u32 v23, v23, v24, v21
	v_lshl_add_u64 v[22:23], v[22:23], 2, s[2:3]
	v_lshl_add_u64 v[24:25], v[22:23], 0, v[14:15]
	global_load_dword v26, v[24:25], off
	v_mad_u64_u32 v[20:21], s[2:3], v20, s16, 0
	v_add3_u32 v21, v21, v17, v16
	v_lshl_add_u64 v[16:17], v[20:21], 2, s[0:1]
	v_lshl_add_u64 v[20:21], v[16:17], 0, v[14:15]
	s_lshl_b64 s[0:1], s[10:11], 6
	s_lshl_b64 s[2:3], s[16:17], 6
	s_waitcnt vmcnt(0)
	v_mul_f32_e32 v26, s20, v26
	v_fmac_f32_e32 v26, s5, v19
	global_store_dword v[20:21], v26, off
	global_load_dword v19, v[24:25], off offset:64
	s_waitcnt vmcnt(0)
	v_mul_f32_e32 v19, s20, v19
	v_fmac_f32_e32 v19, s5, v18
	global_store_dword v[20:21], v19, off offset:64
	global_load_dword v18, v[24:25], off offset:128
	s_waitcnt vmcnt(0)
	v_mul_f32_e32 v18, s20, v18
	v_fmac_f32_e32 v18, s5, v13
	global_store_dword v[20:21], v18, off offset:128
	global_load_dword v13, v[24:25], off offset:192
	v_lshl_add_u64 v[18:19], v[22:23], 0, s[0:1]
	v_lshl_add_u64 v[22:23], v[18:19], 0, v[14:15]
	s_waitcnt vmcnt(0)
	v_mul_f32_e32 v13, s20, v13
	v_fmac_f32_e32 v13, s5, v12
	global_store_dword v[20:21], v13, off offset:192
	global_load_dword v20, v[22:23], off
	v_lshl_add_u64 v[12:13], v[16:17], 0, s[2:3]
	v_lshl_add_u64 v[16:17], v[12:13], 0, v[14:15]
	s_waitcnt vmcnt(0)
	v_mul_f32_e32 v20, s20, v20
	v_fmac_f32_e32 v20, s5, v11
	global_store_dword v[16:17], v20, off
	global_load_dword v11, v[22:23], off offset:64
	s_waitcnt vmcnt(0)
	v_mul_f32_e32 v11, s20, v11
	v_fmac_f32_e32 v11, s5, v10
	global_store_dword v[16:17], v11, off offset:64
	global_load_dword v10, v[22:23], off offset:128
	s_waitcnt vmcnt(0)
	v_mul_f32_e32 v10, s20, v10
	v_fmac_f32_e32 v10, s5, v9
	global_store_dword v[16:17], v10, off offset:128
	global_load_dword v9, v[22:23], off offset:192
	v_lshl_add_u64 v[10:11], v[18:19], 0, s[0:1]
	v_lshl_add_u64 v[18:19], v[10:11], 0, v[14:15]
	s_waitcnt vmcnt(0)
	v_mul_f32_e32 v9, s20, v9
	v_fmac_f32_e32 v9, s5, v8
	global_store_dword v[16:17], v9, off offset:192
	global_load_dword v16, v[18:19], off
	v_lshl_add_u64 v[8:9], v[12:13], 0, s[2:3]
	v_lshl_add_u64 v[12:13], v[8:9], 0, v[14:15]
	;; [unrolled: 24-line block ×3, first 2 shown]
	s_waitcnt vmcnt(0)
	v_mul_f32_e32 v8, s20, v10
	v_fmac_f32_e32 v8, s5, v3
	global_store_dword v[4:5], v8, off
	global_load_dword v3, v[6:7], off offset:64
	s_waitcnt vmcnt(0)
	v_mul_f32_e32 v3, s20, v3
	v_fmac_f32_e32 v3, s5, v2
	global_store_dword v[4:5], v3, off offset:64
	global_load_dword v2, v[6:7], off offset:128
	s_waitcnt vmcnt(0)
	v_mul_f32_e32 v2, s20, v2
	v_fmac_f32_e32 v2, s5, v1
	global_store_dword v[4:5], v2, off offset:128
	;; [unrolled: 5-line block ×3, first 2 shown]
.LBB36_6:
	s_endpgm
.LBB36_7:
	s_branch .LBB36_5
	.section	.rodata,"a",@progbits
	.p2align	6, 0x0
	.amdhsa_kernel _ZN12_GLOBAL__N_127rocblas_gemm_batched_kernelIfLi16ELi16ELi64ELi64ELi4ELi64ELi4ELi4ELi64ELc67ELc78EKfS1_fEEvlllT_PT11_llS4_llS2_PT12_llPT13_lli
		.amdhsa_group_segment_fixed_size 2048
		.amdhsa_private_segment_fixed_size 0
		.amdhsa_kernarg_size 140
		.amdhsa_user_sgpr_count 2
		.amdhsa_user_sgpr_dispatch_ptr 0
		.amdhsa_user_sgpr_queue_ptr 0
		.amdhsa_user_sgpr_kernarg_segment_ptr 1
		.amdhsa_user_sgpr_dispatch_id 0
		.amdhsa_user_sgpr_kernarg_preload_length 0
		.amdhsa_user_sgpr_kernarg_preload_offset 0
		.amdhsa_user_sgpr_private_segment_size 0
		.amdhsa_uses_dynamic_stack 0
		.amdhsa_enable_private_segment 0
		.amdhsa_system_sgpr_workgroup_id_x 1
		.amdhsa_system_sgpr_workgroup_id_y 1
		.amdhsa_system_sgpr_workgroup_id_z 1
		.amdhsa_system_sgpr_workgroup_info 0
		.amdhsa_system_vgpr_workitem_id 1
		.amdhsa_next_free_vgpr 66
		.amdhsa_next_free_sgpr 24
		.amdhsa_accum_offset 68
		.amdhsa_reserve_vcc 1
		.amdhsa_float_round_mode_32 0
		.amdhsa_float_round_mode_16_64 0
		.amdhsa_float_denorm_mode_32 3
		.amdhsa_float_denorm_mode_16_64 3
		.amdhsa_dx10_clamp 1
		.amdhsa_ieee_mode 1
		.amdhsa_fp16_overflow 0
		.amdhsa_tg_split 0
		.amdhsa_exception_fp_ieee_invalid_op 0
		.amdhsa_exception_fp_denorm_src 0
		.amdhsa_exception_fp_ieee_div_zero 0
		.amdhsa_exception_fp_ieee_overflow 0
		.amdhsa_exception_fp_ieee_underflow 0
		.amdhsa_exception_fp_ieee_inexact 0
		.amdhsa_exception_int_div_zero 0
	.end_amdhsa_kernel
	.section	.text._ZN12_GLOBAL__N_127rocblas_gemm_batched_kernelIfLi16ELi16ELi64ELi64ELi4ELi64ELi4ELi4ELi64ELc67ELc78EKfS1_fEEvlllT_PT11_llS4_llS2_PT12_llPT13_lli,"axG",@progbits,_ZN12_GLOBAL__N_127rocblas_gemm_batched_kernelIfLi16ELi16ELi64ELi64ELi4ELi64ELi4ELi4ELi64ELc67ELc78EKfS1_fEEvlllT_PT11_llS4_llS2_PT12_llPT13_lli,comdat
.Lfunc_end36:
	.size	_ZN12_GLOBAL__N_127rocblas_gemm_batched_kernelIfLi16ELi16ELi64ELi64ELi4ELi64ELi4ELi4ELi64ELc67ELc78EKfS1_fEEvlllT_PT11_llS4_llS2_PT12_llPT13_lli, .Lfunc_end36-_ZN12_GLOBAL__N_127rocblas_gemm_batched_kernelIfLi16ELi16ELi64ELi64ELi4ELi64ELi4ELi4ELi64ELc67ELc78EKfS1_fEEvlllT_PT11_llS4_llS2_PT12_llPT13_lli
                                        ; -- End function
	.set _ZN12_GLOBAL__N_127rocblas_gemm_batched_kernelIfLi16ELi16ELi64ELi64ELi4ELi64ELi4ELi4ELi64ELc67ELc78EKfS1_fEEvlllT_PT11_llS4_llS2_PT12_llPT13_lli.num_vgpr, 66
	.set _ZN12_GLOBAL__N_127rocblas_gemm_batched_kernelIfLi16ELi16ELi64ELi64ELi4ELi64ELi4ELi4ELi64ELc67ELc78EKfS1_fEEvlllT_PT11_llS4_llS2_PT12_llPT13_lli.num_agpr, 0
	.set _ZN12_GLOBAL__N_127rocblas_gemm_batched_kernelIfLi16ELi16ELi64ELi64ELi4ELi64ELi4ELi4ELi64ELc67ELc78EKfS1_fEEvlllT_PT11_llS4_llS2_PT12_llPT13_lli.numbered_sgpr, 24
	.set _ZN12_GLOBAL__N_127rocblas_gemm_batched_kernelIfLi16ELi16ELi64ELi64ELi4ELi64ELi4ELi4ELi64ELc67ELc78EKfS1_fEEvlllT_PT11_llS4_llS2_PT12_llPT13_lli.num_named_barrier, 0
	.set _ZN12_GLOBAL__N_127rocblas_gemm_batched_kernelIfLi16ELi16ELi64ELi64ELi4ELi64ELi4ELi4ELi64ELc67ELc78EKfS1_fEEvlllT_PT11_llS4_llS2_PT12_llPT13_lli.private_seg_size, 0
	.set _ZN12_GLOBAL__N_127rocblas_gemm_batched_kernelIfLi16ELi16ELi64ELi64ELi4ELi64ELi4ELi4ELi64ELc67ELc78EKfS1_fEEvlllT_PT11_llS4_llS2_PT12_llPT13_lli.uses_vcc, 1
	.set _ZN12_GLOBAL__N_127rocblas_gemm_batched_kernelIfLi16ELi16ELi64ELi64ELi4ELi64ELi4ELi4ELi64ELc67ELc78EKfS1_fEEvlllT_PT11_llS4_llS2_PT12_llPT13_lli.uses_flat_scratch, 0
	.set _ZN12_GLOBAL__N_127rocblas_gemm_batched_kernelIfLi16ELi16ELi64ELi64ELi4ELi64ELi4ELi4ELi64ELc67ELc78EKfS1_fEEvlllT_PT11_llS4_llS2_PT12_llPT13_lli.has_dyn_sized_stack, 0
	.set _ZN12_GLOBAL__N_127rocblas_gemm_batched_kernelIfLi16ELi16ELi64ELi64ELi4ELi64ELi4ELi4ELi64ELc67ELc78EKfS1_fEEvlllT_PT11_llS4_llS2_PT12_llPT13_lli.has_recursion, 0
	.set _ZN12_GLOBAL__N_127rocblas_gemm_batched_kernelIfLi16ELi16ELi64ELi64ELi4ELi64ELi4ELi4ELi64ELc67ELc78EKfS1_fEEvlllT_PT11_llS4_llS2_PT12_llPT13_lli.has_indirect_call, 0
	.section	.AMDGPU.csdata,"",@progbits
; Kernel info:
; codeLenInByte = 2088
; TotalNumSgprs: 30
; NumVgprs: 66
; NumAgprs: 0
; TotalNumVgprs: 66
; ScratchSize: 0
; MemoryBound: 0
; FloatMode: 240
; IeeeMode: 1
; LDSByteSize: 2048 bytes/workgroup (compile time only)
; SGPRBlocks: 3
; VGPRBlocks: 8
; NumSGPRsForWavesPerEU: 30
; NumVGPRsForWavesPerEU: 66
; AccumOffset: 68
; Occupancy: 7
; WaveLimiterHint : 0
; COMPUTE_PGM_RSRC2:SCRATCH_EN: 0
; COMPUTE_PGM_RSRC2:USER_SGPR: 2
; COMPUTE_PGM_RSRC2:TRAP_HANDLER: 0
; COMPUTE_PGM_RSRC2:TGID_X_EN: 1
; COMPUTE_PGM_RSRC2:TGID_Y_EN: 1
; COMPUTE_PGM_RSRC2:TGID_Z_EN: 1
; COMPUTE_PGM_RSRC2:TIDIG_COMP_CNT: 1
; COMPUTE_PGM_RSRC3_GFX90A:ACCUM_OFFSET: 16
; COMPUTE_PGM_RSRC3_GFX90A:TG_SPLIT: 0
	.section	.text._ZN12_GLOBAL__N_127rocblas_gemm_batched_kernelIfLi16ELi16ELi64ELi64ELi4ELi64ELi4ELi4ELi64ELc67ELc84EKfS1_fEEvlllT_PT11_llS4_llS2_PT12_llPT13_lli,"axG",@progbits,_ZN12_GLOBAL__N_127rocblas_gemm_batched_kernelIfLi16ELi16ELi64ELi64ELi4ELi64ELi4ELi4ELi64ELc67ELc84EKfS1_fEEvlllT_PT11_llS4_llS2_PT12_llPT13_lli,comdat
	.globl	_ZN12_GLOBAL__N_127rocblas_gemm_batched_kernelIfLi16ELi16ELi64ELi64ELi4ELi64ELi4ELi4ELi64ELc67ELc84EKfS1_fEEvlllT_PT11_llS4_llS2_PT12_llPT13_lli ; -- Begin function _ZN12_GLOBAL__N_127rocblas_gemm_batched_kernelIfLi16ELi16ELi64ELi64ELi4ELi64ELi4ELi4ELi64ELc67ELc84EKfS1_fEEvlllT_PT11_llS4_llS2_PT12_llPT13_lli
	.p2align	8
	.type	_ZN12_GLOBAL__N_127rocblas_gemm_batched_kernelIfLi16ELi16ELi64ELi64ELi4ELi64ELi4ELi4ELi64ELc67ELc84EKfS1_fEEvlllT_PT11_llS4_llS2_PT12_llPT13_lli,@function
_ZN12_GLOBAL__N_127rocblas_gemm_batched_kernelIfLi16ELi16ELi64ELi64ELi4ELi64ELi4ELi4ELi64ELc67ELc84EKfS1_fEEvlllT_PT11_llS4_llS2_PT12_llPT13_lli: ; @_ZN12_GLOBAL__N_127rocblas_gemm_batched_kernelIfLi16ELi16ELi64ELi64ELi4ELi64ELi4ELi4ELi64ELc67ELc84EKfS1_fEEvlllT_PT11_llS4_llS2_PT12_llPT13_lli
; %bb.0:
	s_load_dwordx2 s[16:17], s[0:1], 0x10
	s_mov_b32 s6, s3
	v_mov_b32_e32 v15, 0
	s_ashr_i32 s3, s2, 31
	s_ashr_i32 s7, s6, 31
	s_waitcnt lgkmcnt(0)
	v_cmp_lt_i64_e64 s[8:9], s[16:17], 1
	v_bfe_u32 v14, v0, 10, 10
	v_and_b32_e32 v16, 0x3ff, v0
	v_mov_b32_e32 v17, v15
	s_lshl_b64 s[2:3], s[2:3], 6
	s_lshl_b64 s[6:7], s[6:7], 6
	s_and_b64 vcc, exec, s[8:9]
	v_mov_b32_e32 v19, v15
	v_mov_b32_e32 v18, v15
	;; [unrolled: 1-line block ×16, first 2 shown]
	s_cbranch_vccnz .LBB37_3
; %bb.1:
	s_load_dwordx8 s[8:15], s[0:1], 0x20
	s_load_dwordx4 s[20:23], s[0:1], 0x40
	v_lshlrev_b32_e32 v4, 4, v14
	v_add_u32_e32 v5, v4, v16
	v_and_b32_e32 v2, 63, v5
	v_lshrrev_b32_e32 v0, 2, v5
	v_and_b32_e32 v6, 3, v16
	v_lshrrev_b32_e32 v8, 6, v5
	v_lshlrev_b32_e32 v5, 2, v2
	v_lshl_or_b32 v26, v8, 8, v5
	v_lshlrev_b32_e32 v5, 2, v6
	v_mov_b32_e32 v1, 0
	v_lshl_or_b32 v5, v0, 4, v5
	s_waitcnt lgkmcnt(0)
	s_mul_i32 s5, s23, s4
	s_mul_hi_u32 s18, s22, s4
	v_add_u32_e32 v27, 0x400, v5
	v_add_u32_e32 v29, 0x400, v4
	s_add_i32 s19, s18, s5
	s_mul_i32 s18, s22, s4
	v_mad_u64_u32 v[4:5], s[22:23], s20, v6, v[0:1]
	v_mov_b32_e32 v0, v5
	s_lshl_b64 s[18:19], s[18:19], 2
	v_mad_u64_u32 v[6:7], s[22:23], s21, v6, v[0:1]
	v_mov_b32_e32 v3, v1
	v_mov_b32_e32 v5, v6
	s_add_u32 s14, s14, s18
	v_lshl_add_u64 v[4:5], v[4:5], 0, s[6:7]
	s_addc_u32 s15, s15, s19
	v_lshl_add_u64 v[2:3], s[2:3], 0, v[2:3]
	v_lshl_add_u64 v[20:21], v[4:5], 2, s[14:15]
	v_mul_lo_u32 v0, s11, v2
	v_mul_lo_u32 v4, s10, v3
	v_mad_u64_u32 v[2:3], s[10:11], s10, v2, 0
	s_mul_i32 s5, s13, s4
	s_mul_hi_u32 s10, s12, s4
	s_add_i32 s11, s10, s5
	s_mul_i32 s10, s12, s4
	v_add3_u32 v3, v3, v4, v0
	s_lshl_b64 s[10:11], s[10:11], 2
	v_lshl_add_u64 v[2:3], v[2:3], 2, s[10:11]
	v_lshlrev_b32_e32 v0, 2, v8
	v_lshl_add_u64 v[2:3], v[2:3], 0, v[0:1]
	v_lshlrev_b32_e32 v28, 2, v16
	s_lshl_b64 s[14:15], s[20:21], 4
	v_lshl_add_u64 v[22:23], s[8:9], 0, v[2:3]
	s_mov_b64 s[8:9], 0
	v_mov_b64_e32 v[24:25], s[16:17]
	v_mov_b32_e32 v0, v1
	v_mov_b32_e32 v2, v1
	v_mov_b32_e32 v3, v1
	v_mov_b32_e32 v4, v1
	v_mov_b32_e32 v5, v1
	v_mov_b32_e32 v6, v1
	v_mov_b32_e32 v7, v1
	v_mov_b32_e32 v8, v1
	v_mov_b32_e32 v9, v1
	v_mov_b32_e32 v10, v1
	v_mov_b32_e32 v11, v1
	v_mov_b32_e32 v12, v1
	v_mov_b32_e32 v13, v1
	v_mov_b32_e32 v18, v1
	v_mov_b32_e32 v19, v1
.LBB37_2:                               ; =>This Inner Loop Header: Depth=1
	global_load_dword v30, v[22:23], off
	s_add_u32 s8, s8, 4
	s_addc_u32 s9, s9, 0
	v_cmp_lt_i64_e32 vcc, s[8:9], v[24:25]
	v_lshl_add_u64 v[22:23], v[22:23], 0, 16
	s_and_b64 vcc, exec, vcc
	s_waitcnt vmcnt(0)
	ds_write_b32 v26, v30
	global_load_dword v30, v[20:21], off
	v_lshl_add_u64 v[20:21], v[20:21], 0, s[14:15]
	s_waitcnt vmcnt(0)
	ds_write_b32 v27, v30
	s_waitcnt lgkmcnt(0)
	s_barrier
	ds_read_b128 v[30:33], v29
	ds_read2_b32 v[48:49], v28 offset1:16
	ds_read2_b32 v[58:59], v28 offset0:32 offset1:48
	ds_read_b128 v[34:37], v29 offset:256
	ds_read_b128 v[38:41], v29 offset:512
	;; [unrolled: 1-line block ×3, first 2 shown]
	ds_read2_b32 v[50:51], v28 offset0:64 offset1:80
	ds_read2_b32 v[60:61], v28 offset0:96 offset1:112
	;; [unrolled: 1-line block ×6, first 2 shown]
	s_waitcnt lgkmcnt(10)
	v_mov_b32_e32 v46, v49
	v_mov_b32_e32 v47, v48
	s_waitcnt lgkmcnt(9)
	v_mov_b32_e32 v56, v59
	v_mov_b32_e32 v57, v58
	v_pk_fma_f32 v[18:19], v[46:47], v[30:31], v[18:19] op_sel_hi:[1,0,1]
	s_waitcnt lgkmcnt(5)
	v_mov_b32_e32 v48, v51
	v_mov_b32_e32 v49, v50
	v_pk_fma_f32 v[12:13], v[56:57], v[30:31], v[12:13] op_sel_hi:[1,0,1]
	;; [unrolled: 4-line block ×3, first 2 shown]
	v_pk_fma_f32 v[4:5], v[56:57], v[38:39], v[4:5] op_sel_hi:[1,0,1]
	v_pk_fma_f32 v[18:19], v[48:49], v[30:31], v[18:19] op_sel:[0,1,0]
	s_waitcnt lgkmcnt(3)
	v_mov_b32_e32 v50, v53
	v_mov_b32_e32 v51, v52
	v_pk_fma_f32 v[12:13], v[58:59], v[30:31], v[12:13] op_sel:[0,1,0]
	s_waitcnt lgkmcnt(2)
	v_mov_b32_e32 v30, v63
	v_mov_b32_e32 v31, v62
	v_pk_fma_f32 v[10:11], v[46:47], v[34:35], v[10:11] op_sel_hi:[1,0,1]
	v_pk_fma_f32 v[8:9], v[56:57], v[34:35], v[8:9] op_sel_hi:[1,0,1]
	v_pk_fma_f32 v[6:7], v[48:49], v[38:39], v[6:7] op_sel:[0,1,0]
	v_pk_fma_f32 v[4:5], v[58:59], v[38:39], v[4:5] op_sel:[0,1,0]
	v_pk_fma_f32 v[2:3], v[46:47], v[42:43], v[2:3] op_sel_hi:[1,0,1]
	v_pk_fma_f32 v[0:1], v[56:57], v[42:43], v[0:1] op_sel_hi:[1,0,1]
	;; [unrolled: 1-line block ×3, first 2 shown]
	s_waitcnt lgkmcnt(1)
	v_mov_b32_e32 v52, v55
	v_mov_b32_e32 v53, v54
	;; [unrolled: 1-line block ×3, first 2 shown]
	v_pk_fma_f32 v[12:13], v[30:31], v[32:33], v[12:13] op_sel_hi:[1,0,1]
	s_waitcnt lgkmcnt(0)
	v_mov_b32_e32 v32, v65
	v_mov_b32_e32 v33, v64
	v_pk_fma_f32 v[10:11], v[48:49], v[34:35], v[10:11] op_sel:[0,1,0]
	v_pk_fma_f32 v[8:9], v[58:59], v[34:35], v[8:9] op_sel:[0,1,0]
	v_pk_fma_f32 v[6:7], v[50:51], v[40:41], v[6:7] op_sel_hi:[1,0,1]
	v_mov_b32_e32 v34, v41
	v_pk_fma_f32 v[4:5], v[30:31], v[40:41], v[4:5] op_sel_hi:[1,0,1]
	v_pk_fma_f32 v[2:3], v[48:49], v[42:43], v[2:3] op_sel:[0,1,0]
	v_pk_fma_f32 v[0:1], v[58:59], v[42:43], v[0:1] op_sel:[0,1,0]
	v_pk_fma_f32 v[18:19], v[52:53], v[54:55], v[18:19] op_sel_hi:[1,0,1]
	v_pk_fma_f32 v[12:13], v[32:33], v[54:55], v[12:13] op_sel_hi:[1,0,1]
	;; [unrolled: 1-line block ×3, first 2 shown]
	v_mov_b32_e32 v54, v37
	v_pk_fma_f32 v[8:9], v[30:31], v[36:37], v[8:9] op_sel_hi:[1,0,1]
	v_pk_fma_f32 v[6:7], v[52:53], v[34:35], v[6:7] op_sel_hi:[1,0,1]
	;; [unrolled: 1-line block ×4, first 2 shown]
	v_mov_b32_e32 v34, v45
	v_pk_fma_f32 v[0:1], v[30:31], v[44:45], v[0:1] op_sel_hi:[1,0,1]
	v_pk_fma_f32 v[10:11], v[52:53], v[54:55], v[10:11] op_sel_hi:[1,0,1]
	;; [unrolled: 1-line block ×5, first 2 shown]
	s_barrier
	s_cbranch_vccnz .LBB37_2
.LBB37_3:
	s_load_dwordx4 s[16:19], s[0:1], 0x78
	s_load_dword s5, s[0:1], 0x18
	s_load_dword s20, s[0:1], 0x50
	s_load_dwordx8 s[8:15], s[0:1], 0x58
	v_lshl_add_u64 v[20:21], s[6:7], 0, v[14:15]
	s_waitcnt lgkmcnt(0)
	s_mul_i32 s0, s19, s4
	s_mul_hi_u32 s1, s18, s4
	s_add_i32 s1, s1, s0
	s_mul_i32 s0, s18, s4
	s_lshl_b64 s[0:1], s[0:1], 2
	s_add_u32 s0, s14, s0
	v_cmp_neq_f32_e64 s[6:7], s20, 0
	v_lshl_add_u64 v[14:15], s[2:3], 0, v[16:17]
	s_addc_u32 s1, s15, s1
	s_and_b64 vcc, exec, s[6:7]
	v_mul_lo_u32 v16, v21, s16
	v_mul_lo_u32 v17, v20, s17
	v_lshlrev_b64 v[14:15], 2, v[14:15]
	s_cbranch_vccnz .LBB37_7
; %bb.4:
	v_mad_u64_u32 v[22:23], s[2:3], v20, s16, 0
	v_add3_u32 v23, v23, v17, v16
	v_lshl_add_u64 v[22:23], v[22:23], 2, s[0:1]
	v_mul_f32_e32 v26, s5, v19
	v_lshl_add_u64 v[24:25], v[22:23], 0, v[14:15]
	global_store_dword v[24:25], v26, off
	v_mul_f32_e32 v26, s5, v18
	global_store_dword v[24:25], v26, off offset:64
	v_mul_f32_e32 v26, s5, v13
	s_lshl_b64 s[2:3], s[16:17], 6
	global_store_dword v[24:25], v26, off offset:128
	v_mul_f32_e32 v26, s5, v12
	v_lshl_add_u64 v[22:23], v[22:23], 0, s[2:3]
	global_store_dword v[24:25], v26, off offset:192
	v_mul_f32_e32 v26, s5, v11
	v_lshl_add_u64 v[24:25], v[22:23], 0, v[14:15]
	global_store_dword v[24:25], v26, off
	v_mul_f32_e32 v26, s5, v10
	global_store_dword v[24:25], v26, off offset:64
	v_mul_f32_e32 v26, s5, v9
	global_store_dword v[24:25], v26, off offset:128
	v_mul_f32_e32 v26, s5, v8
	v_lshl_add_u64 v[22:23], v[22:23], 0, s[2:3]
	global_store_dword v[24:25], v26, off offset:192
	v_mul_f32_e32 v26, s5, v7
	v_lshl_add_u64 v[24:25], v[22:23], 0, v[14:15]
	global_store_dword v[24:25], v26, off
	v_mul_f32_e32 v26, s5, v6
	global_store_dword v[24:25], v26, off offset:64
	v_mul_f32_e32 v26, s5, v5
	;; [unrolled: 10-line block ×3, first 2 shown]
	global_store_dword v[22:23], v24, off offset:128
	v_mul_f32_e32 v24, s5, v0
	global_store_dword v[22:23], v24, off offset:192
	s_cbranch_execnz .LBB37_6
.LBB37_5:
	s_mul_i32 s2, s13, s4
	s_mul_hi_u32 s3, s12, s4
	s_add_i32 s3, s3, s2
	s_mul_i32 s2, s12, s4
	s_lshl_b64 s[2:3], s[2:3], 2
	s_add_u32 s2, s8, s2
	v_mul_lo_u32 v21, v21, s10
	v_mul_lo_u32 v24, v20, s11
	v_mad_u64_u32 v[22:23], s[6:7], v20, s10, 0
	s_addc_u32 s3, s9, s3
	v_add3_u32 v23, v23, v24, v21
	v_lshl_add_u64 v[22:23], v[22:23], 2, s[2:3]
	v_lshl_add_u64 v[24:25], v[22:23], 0, v[14:15]
	global_load_dword v26, v[24:25], off
	v_mad_u64_u32 v[20:21], s[2:3], v20, s16, 0
	v_add3_u32 v21, v21, v17, v16
	v_lshl_add_u64 v[16:17], v[20:21], 2, s[0:1]
	v_lshl_add_u64 v[20:21], v[16:17], 0, v[14:15]
	s_lshl_b64 s[0:1], s[10:11], 6
	s_lshl_b64 s[2:3], s[16:17], 6
	s_waitcnt vmcnt(0)
	v_mul_f32_e32 v26, s20, v26
	v_fmac_f32_e32 v26, s5, v19
	global_store_dword v[20:21], v26, off
	global_load_dword v19, v[24:25], off offset:64
	s_waitcnt vmcnt(0)
	v_mul_f32_e32 v19, s20, v19
	v_fmac_f32_e32 v19, s5, v18
	global_store_dword v[20:21], v19, off offset:64
	global_load_dword v18, v[24:25], off offset:128
	s_waitcnt vmcnt(0)
	v_mul_f32_e32 v18, s20, v18
	v_fmac_f32_e32 v18, s5, v13
	global_store_dword v[20:21], v18, off offset:128
	global_load_dword v13, v[24:25], off offset:192
	v_lshl_add_u64 v[18:19], v[22:23], 0, s[0:1]
	v_lshl_add_u64 v[22:23], v[18:19], 0, v[14:15]
	s_waitcnt vmcnt(0)
	v_mul_f32_e32 v13, s20, v13
	v_fmac_f32_e32 v13, s5, v12
	global_store_dword v[20:21], v13, off offset:192
	global_load_dword v20, v[22:23], off
	v_lshl_add_u64 v[12:13], v[16:17], 0, s[2:3]
	v_lshl_add_u64 v[16:17], v[12:13], 0, v[14:15]
	s_waitcnt vmcnt(0)
	v_mul_f32_e32 v20, s20, v20
	v_fmac_f32_e32 v20, s5, v11
	global_store_dword v[16:17], v20, off
	global_load_dword v11, v[22:23], off offset:64
	s_waitcnt vmcnt(0)
	v_mul_f32_e32 v11, s20, v11
	v_fmac_f32_e32 v11, s5, v10
	global_store_dword v[16:17], v11, off offset:64
	global_load_dword v10, v[22:23], off offset:128
	s_waitcnt vmcnt(0)
	v_mul_f32_e32 v10, s20, v10
	v_fmac_f32_e32 v10, s5, v9
	global_store_dword v[16:17], v10, off offset:128
	global_load_dword v9, v[22:23], off offset:192
	v_lshl_add_u64 v[10:11], v[18:19], 0, s[0:1]
	v_lshl_add_u64 v[18:19], v[10:11], 0, v[14:15]
	s_waitcnt vmcnt(0)
	v_mul_f32_e32 v9, s20, v9
	v_fmac_f32_e32 v9, s5, v8
	global_store_dword v[16:17], v9, off offset:192
	global_load_dword v16, v[18:19], off
	v_lshl_add_u64 v[8:9], v[12:13], 0, s[2:3]
	v_lshl_add_u64 v[12:13], v[8:9], 0, v[14:15]
	;; [unrolled: 24-line block ×3, first 2 shown]
	s_waitcnt vmcnt(0)
	v_mul_f32_e32 v8, s20, v10
	v_fmac_f32_e32 v8, s5, v3
	global_store_dword v[4:5], v8, off
	global_load_dword v3, v[6:7], off offset:64
	s_waitcnt vmcnt(0)
	v_mul_f32_e32 v3, s20, v3
	v_fmac_f32_e32 v3, s5, v2
	global_store_dword v[4:5], v3, off offset:64
	global_load_dword v2, v[6:7], off offset:128
	s_waitcnt vmcnt(0)
	v_mul_f32_e32 v2, s20, v2
	v_fmac_f32_e32 v2, s5, v1
	global_store_dword v[4:5], v2, off offset:128
	;; [unrolled: 5-line block ×3, first 2 shown]
.LBB37_6:
	s_endpgm
.LBB37_7:
	s_branch .LBB37_5
	.section	.rodata,"a",@progbits
	.p2align	6, 0x0
	.amdhsa_kernel _ZN12_GLOBAL__N_127rocblas_gemm_batched_kernelIfLi16ELi16ELi64ELi64ELi4ELi64ELi4ELi4ELi64ELc67ELc84EKfS1_fEEvlllT_PT11_llS4_llS2_PT12_llPT13_lli
		.amdhsa_group_segment_fixed_size 2048
		.amdhsa_private_segment_fixed_size 0
		.amdhsa_kernarg_size 140
		.amdhsa_user_sgpr_count 2
		.amdhsa_user_sgpr_dispatch_ptr 0
		.amdhsa_user_sgpr_queue_ptr 0
		.amdhsa_user_sgpr_kernarg_segment_ptr 1
		.amdhsa_user_sgpr_dispatch_id 0
		.amdhsa_user_sgpr_kernarg_preload_length 0
		.amdhsa_user_sgpr_kernarg_preload_offset 0
		.amdhsa_user_sgpr_private_segment_size 0
		.amdhsa_uses_dynamic_stack 0
		.amdhsa_enable_private_segment 0
		.amdhsa_system_sgpr_workgroup_id_x 1
		.amdhsa_system_sgpr_workgroup_id_y 1
		.amdhsa_system_sgpr_workgroup_id_z 1
		.amdhsa_system_sgpr_workgroup_info 0
		.amdhsa_system_vgpr_workitem_id 1
		.amdhsa_next_free_vgpr 66
		.amdhsa_next_free_sgpr 24
		.amdhsa_accum_offset 68
		.amdhsa_reserve_vcc 1
		.amdhsa_float_round_mode_32 0
		.amdhsa_float_round_mode_16_64 0
		.amdhsa_float_denorm_mode_32 3
		.amdhsa_float_denorm_mode_16_64 3
		.amdhsa_dx10_clamp 1
		.amdhsa_ieee_mode 1
		.amdhsa_fp16_overflow 0
		.amdhsa_tg_split 0
		.amdhsa_exception_fp_ieee_invalid_op 0
		.amdhsa_exception_fp_denorm_src 0
		.amdhsa_exception_fp_ieee_div_zero 0
		.amdhsa_exception_fp_ieee_overflow 0
		.amdhsa_exception_fp_ieee_underflow 0
		.amdhsa_exception_fp_ieee_inexact 0
		.amdhsa_exception_int_div_zero 0
	.end_amdhsa_kernel
	.section	.text._ZN12_GLOBAL__N_127rocblas_gemm_batched_kernelIfLi16ELi16ELi64ELi64ELi4ELi64ELi4ELi4ELi64ELc67ELc84EKfS1_fEEvlllT_PT11_llS4_llS2_PT12_llPT13_lli,"axG",@progbits,_ZN12_GLOBAL__N_127rocblas_gemm_batched_kernelIfLi16ELi16ELi64ELi64ELi4ELi64ELi4ELi4ELi64ELc67ELc84EKfS1_fEEvlllT_PT11_llS4_llS2_PT12_llPT13_lli,comdat
.Lfunc_end37:
	.size	_ZN12_GLOBAL__N_127rocblas_gemm_batched_kernelIfLi16ELi16ELi64ELi64ELi4ELi64ELi4ELi4ELi64ELc67ELc84EKfS1_fEEvlllT_PT11_llS4_llS2_PT12_llPT13_lli, .Lfunc_end37-_ZN12_GLOBAL__N_127rocblas_gemm_batched_kernelIfLi16ELi16ELi64ELi64ELi4ELi64ELi4ELi4ELi64ELc67ELc84EKfS1_fEEvlllT_PT11_llS4_llS2_PT12_llPT13_lli
                                        ; -- End function
	.set _ZN12_GLOBAL__N_127rocblas_gemm_batched_kernelIfLi16ELi16ELi64ELi64ELi4ELi64ELi4ELi4ELi64ELc67ELc84EKfS1_fEEvlllT_PT11_llS4_llS2_PT12_llPT13_lli.num_vgpr, 66
	.set _ZN12_GLOBAL__N_127rocblas_gemm_batched_kernelIfLi16ELi16ELi64ELi64ELi4ELi64ELi4ELi4ELi64ELc67ELc84EKfS1_fEEvlllT_PT11_llS4_llS2_PT12_llPT13_lli.num_agpr, 0
	.set _ZN12_GLOBAL__N_127rocblas_gemm_batched_kernelIfLi16ELi16ELi64ELi64ELi4ELi64ELi4ELi4ELi64ELc67ELc84EKfS1_fEEvlllT_PT11_llS4_llS2_PT12_llPT13_lli.numbered_sgpr, 24
	.set _ZN12_GLOBAL__N_127rocblas_gemm_batched_kernelIfLi16ELi16ELi64ELi64ELi4ELi64ELi4ELi4ELi64ELc67ELc84EKfS1_fEEvlllT_PT11_llS4_llS2_PT12_llPT13_lli.num_named_barrier, 0
	.set _ZN12_GLOBAL__N_127rocblas_gemm_batched_kernelIfLi16ELi16ELi64ELi64ELi4ELi64ELi4ELi4ELi64ELc67ELc84EKfS1_fEEvlllT_PT11_llS4_llS2_PT12_llPT13_lli.private_seg_size, 0
	.set _ZN12_GLOBAL__N_127rocblas_gemm_batched_kernelIfLi16ELi16ELi64ELi64ELi4ELi64ELi4ELi4ELi64ELc67ELc84EKfS1_fEEvlllT_PT11_llS4_llS2_PT12_llPT13_lli.uses_vcc, 1
	.set _ZN12_GLOBAL__N_127rocblas_gemm_batched_kernelIfLi16ELi16ELi64ELi64ELi4ELi64ELi4ELi4ELi64ELc67ELc84EKfS1_fEEvlllT_PT11_llS4_llS2_PT12_llPT13_lli.uses_flat_scratch, 0
	.set _ZN12_GLOBAL__N_127rocblas_gemm_batched_kernelIfLi16ELi16ELi64ELi64ELi4ELi64ELi4ELi4ELi64ELc67ELc84EKfS1_fEEvlllT_PT11_llS4_llS2_PT12_llPT13_lli.has_dyn_sized_stack, 0
	.set _ZN12_GLOBAL__N_127rocblas_gemm_batched_kernelIfLi16ELi16ELi64ELi64ELi4ELi64ELi4ELi4ELi64ELc67ELc84EKfS1_fEEvlllT_PT11_llS4_llS2_PT12_llPT13_lli.has_recursion, 0
	.set _ZN12_GLOBAL__N_127rocblas_gemm_batched_kernelIfLi16ELi16ELi64ELi64ELi4ELi64ELi4ELi4ELi64ELc67ELc84EKfS1_fEEvlllT_PT11_llS4_llS2_PT12_llPT13_lli.has_indirect_call, 0
	.section	.AMDGPU.csdata,"",@progbits
; Kernel info:
; codeLenInByte = 2080
; TotalNumSgprs: 30
; NumVgprs: 66
; NumAgprs: 0
; TotalNumVgprs: 66
; ScratchSize: 0
; MemoryBound: 0
; FloatMode: 240
; IeeeMode: 1
; LDSByteSize: 2048 bytes/workgroup (compile time only)
; SGPRBlocks: 3
; VGPRBlocks: 8
; NumSGPRsForWavesPerEU: 30
; NumVGPRsForWavesPerEU: 66
; AccumOffset: 68
; Occupancy: 7
; WaveLimiterHint : 0
; COMPUTE_PGM_RSRC2:SCRATCH_EN: 0
; COMPUTE_PGM_RSRC2:USER_SGPR: 2
; COMPUTE_PGM_RSRC2:TRAP_HANDLER: 0
; COMPUTE_PGM_RSRC2:TGID_X_EN: 1
; COMPUTE_PGM_RSRC2:TGID_Y_EN: 1
; COMPUTE_PGM_RSRC2:TGID_Z_EN: 1
; COMPUTE_PGM_RSRC2:TIDIG_COMP_CNT: 1
; COMPUTE_PGM_RSRC3_GFX90A:ACCUM_OFFSET: 16
; COMPUTE_PGM_RSRC3_GFX90A:TG_SPLIT: 0
	.section	.text._ZN12_GLOBAL__N_127rocblas_gemm_batched_kernelIfLi16ELi16ELi64ELi64ELi4ELi64ELi4ELi4ELi64ELc78ELc67EKfS1_fEEvlllT_PT11_llS4_llS2_PT12_llPT13_lli,"axG",@progbits,_ZN12_GLOBAL__N_127rocblas_gemm_batched_kernelIfLi16ELi16ELi64ELi64ELi4ELi64ELi4ELi4ELi64ELc78ELc67EKfS1_fEEvlllT_PT11_llS4_llS2_PT12_llPT13_lli,comdat
	.globl	_ZN12_GLOBAL__N_127rocblas_gemm_batched_kernelIfLi16ELi16ELi64ELi64ELi4ELi64ELi4ELi4ELi64ELc78ELc67EKfS1_fEEvlllT_PT11_llS4_llS2_PT12_llPT13_lli ; -- Begin function _ZN12_GLOBAL__N_127rocblas_gemm_batched_kernelIfLi16ELi16ELi64ELi64ELi4ELi64ELi4ELi4ELi64ELc78ELc67EKfS1_fEEvlllT_PT11_llS4_llS2_PT12_llPT13_lli
	.p2align	8
	.type	_ZN12_GLOBAL__N_127rocblas_gemm_batched_kernelIfLi16ELi16ELi64ELi64ELi4ELi64ELi4ELi4ELi64ELc78ELc67EKfS1_fEEvlllT_PT11_llS4_llS2_PT12_llPT13_lli,@function
_ZN12_GLOBAL__N_127rocblas_gemm_batched_kernelIfLi16ELi16ELi64ELi64ELi4ELi64ELi4ELi4ELi64ELc78ELc67EKfS1_fEEvlllT_PT11_llS4_llS2_PT12_llPT13_lli: ; @_ZN12_GLOBAL__N_127rocblas_gemm_batched_kernelIfLi16ELi16ELi64ELi64ELi4ELi64ELi4ELi4ELi64ELc78ELc67EKfS1_fEEvlllT_PT11_llS4_llS2_PT12_llPT13_lli
; %bb.0:
	s_load_dwordx2 s[16:17], s[0:1], 0x10
	s_mov_b32 s6, s3
	v_mov_b32_e32 v15, 0
	s_ashr_i32 s3, s2, 31
	s_ashr_i32 s7, s6, 31
	s_waitcnt lgkmcnt(0)
	v_cmp_lt_i64_e64 s[8:9], s[16:17], 1
	v_bfe_u32 v14, v0, 10, 10
	v_and_b32_e32 v16, 0x3ff, v0
	v_mov_b32_e32 v17, v15
	s_lshl_b64 s[2:3], s[2:3], 6
	s_lshl_b64 s[6:7], s[6:7], 6
	s_and_b64 vcc, exec, s[8:9]
	v_mov_b32_e32 v19, v15
	v_mov_b32_e32 v18, v15
	;; [unrolled: 1-line block ×16, first 2 shown]
	s_cbranch_vccnz .LBB38_3
; %bb.1:
	s_load_dwordx8 s[8:15], s[0:1], 0x20
	s_load_dwordx4 s[20:23], s[0:1], 0x40
	v_lshlrev_b32_e32 v4, 4, v14
	v_add_u32_e32 v5, v4, v16
	v_and_b32_e32 v2, 63, v5
	v_lshrrev_b32_e32 v0, 2, v5
	v_and_b32_e32 v6, 3, v16
	v_lshrrev_b32_e32 v8, 6, v5
	v_lshlrev_b32_e32 v5, 2, v2
	v_lshl_or_b32 v26, v8, 8, v5
	v_lshlrev_b32_e32 v5, 2, v6
	v_mov_b32_e32 v1, 0
	v_lshl_or_b32 v5, v0, 4, v5
	s_waitcnt lgkmcnt(0)
	s_mul_i32 s5, s23, s4
	s_mul_hi_u32 s18, s22, s4
	v_add_u32_e32 v27, 0x400, v5
	v_add_u32_e32 v29, 0x400, v4
	s_add_i32 s19, s18, s5
	s_mul_i32 s18, s22, s4
	v_mad_u64_u32 v[4:5], s[22:23], s20, v6, v[0:1]
	v_mov_b32_e32 v0, v5
	s_lshl_b64 s[18:19], s[18:19], 2
	v_mad_u64_u32 v[6:7], s[22:23], s21, v6, v[0:1]
	v_mov_b32_e32 v5, v6
	s_add_u32 s14, s14, s18
	v_lshl_add_u64 v[4:5], v[4:5], 0, s[6:7]
	s_addc_u32 s15, s15, s19
	v_lshl_add_u64 v[20:21], v[4:5], 2, s[14:15]
	v_mov_b64_e32 v[4:5], s[2:3]
	s_mul_i32 s5, s13, s4
	s_mul_hi_u32 s13, s12, s4
	v_mad_u64_u32 v[4:5], s[18:19], s10, v8, v[4:5]
	s_add_i32 s13, s13, s5
	s_mul_i32 s12, s12, s4
	v_mov_b32_e32 v0, v5
	s_lshl_b64 s[14:15], s[20:21], 4
	s_lshl_b64 s[12:13], s[12:13], 2
	v_mad_u64_u32 v[6:7], s[18:19], s11, v8, v[0:1]
	v_mov_b32_e32 v3, v1
	v_mov_b32_e32 v5, v6
	s_add_u32 s8, s8, s12
	v_lshl_add_u64 v[2:3], v[4:5], 0, v[2:3]
	s_addc_u32 s9, s9, s13
	v_lshlrev_b32_e32 v28, 2, v16
	v_lshl_add_u64 v[22:23], v[2:3], 2, s[8:9]
	s_lshl_b64 s[8:9], s[10:11], 4
	s_mov_b64 s[10:11], 0
	v_mov_b64_e32 v[24:25], s[16:17]
	v_mov_b32_e32 v0, v1
	v_mov_b32_e32 v2, v1
	;; [unrolled: 1-line block ×15, first 2 shown]
.LBB38_2:                               ; =>This Inner Loop Header: Depth=1
	global_load_dword v30, v[22:23], off
	s_add_u32 s10, s10, 4
	s_addc_u32 s11, s11, 0
	v_cmp_lt_i64_e32 vcc, s[10:11], v[24:25]
	v_lshl_add_u64 v[22:23], v[22:23], 0, s[8:9]
	s_and_b64 vcc, exec, vcc
	s_waitcnt vmcnt(0)
	ds_write_b32 v26, v30
	global_load_dword v30, v[20:21], off
	v_lshl_add_u64 v[20:21], v[20:21], 0, s[14:15]
	s_waitcnt vmcnt(0)
	ds_write_b32 v27, v30
	s_waitcnt lgkmcnt(0)
	s_barrier
	ds_read_b128 v[30:33], v29
	ds_read2_b32 v[48:49], v28 offset1:16
	ds_read2_b32 v[58:59], v28 offset0:32 offset1:48
	ds_read_b128 v[34:37], v29 offset:256
	ds_read_b128 v[38:41], v29 offset:512
	;; [unrolled: 1-line block ×3, first 2 shown]
	ds_read2_b32 v[50:51], v28 offset0:64 offset1:80
	ds_read2_b32 v[60:61], v28 offset0:96 offset1:112
	;; [unrolled: 1-line block ×6, first 2 shown]
	s_waitcnt lgkmcnt(10)
	v_mov_b32_e32 v46, v49
	v_mov_b32_e32 v47, v48
	s_waitcnt lgkmcnt(9)
	v_mov_b32_e32 v56, v59
	v_mov_b32_e32 v57, v58
	v_pk_fma_f32 v[18:19], v[46:47], v[30:31], v[18:19] op_sel_hi:[1,0,1]
	s_waitcnt lgkmcnt(5)
	v_mov_b32_e32 v48, v51
	v_mov_b32_e32 v49, v50
	v_pk_fma_f32 v[12:13], v[56:57], v[30:31], v[12:13] op_sel_hi:[1,0,1]
	;; [unrolled: 4-line block ×3, first 2 shown]
	v_pk_fma_f32 v[4:5], v[56:57], v[38:39], v[4:5] op_sel_hi:[1,0,1]
	v_pk_fma_f32 v[18:19], v[48:49], v[30:31], v[18:19] op_sel:[0,1,0]
	s_waitcnt lgkmcnt(3)
	v_mov_b32_e32 v50, v53
	v_mov_b32_e32 v51, v52
	v_pk_fma_f32 v[12:13], v[58:59], v[30:31], v[12:13] op_sel:[0,1,0]
	s_waitcnt lgkmcnt(2)
	v_mov_b32_e32 v30, v63
	v_mov_b32_e32 v31, v62
	v_pk_fma_f32 v[10:11], v[46:47], v[34:35], v[10:11] op_sel_hi:[1,0,1]
	v_pk_fma_f32 v[8:9], v[56:57], v[34:35], v[8:9] op_sel_hi:[1,0,1]
	v_pk_fma_f32 v[6:7], v[48:49], v[38:39], v[6:7] op_sel:[0,1,0]
	v_pk_fma_f32 v[4:5], v[58:59], v[38:39], v[4:5] op_sel:[0,1,0]
	v_pk_fma_f32 v[2:3], v[46:47], v[42:43], v[2:3] op_sel_hi:[1,0,1]
	v_pk_fma_f32 v[0:1], v[56:57], v[42:43], v[0:1] op_sel_hi:[1,0,1]
	;; [unrolled: 1-line block ×3, first 2 shown]
	s_waitcnt lgkmcnt(1)
	v_mov_b32_e32 v52, v55
	v_mov_b32_e32 v53, v54
	;; [unrolled: 1-line block ×3, first 2 shown]
	v_pk_fma_f32 v[12:13], v[30:31], v[32:33], v[12:13] op_sel_hi:[1,0,1]
	s_waitcnt lgkmcnt(0)
	v_mov_b32_e32 v32, v65
	v_mov_b32_e32 v33, v64
	v_pk_fma_f32 v[10:11], v[48:49], v[34:35], v[10:11] op_sel:[0,1,0]
	v_pk_fma_f32 v[8:9], v[58:59], v[34:35], v[8:9] op_sel:[0,1,0]
	v_pk_fma_f32 v[6:7], v[50:51], v[40:41], v[6:7] op_sel_hi:[1,0,1]
	v_mov_b32_e32 v34, v41
	v_pk_fma_f32 v[4:5], v[30:31], v[40:41], v[4:5] op_sel_hi:[1,0,1]
	v_pk_fma_f32 v[2:3], v[48:49], v[42:43], v[2:3] op_sel:[0,1,0]
	v_pk_fma_f32 v[0:1], v[58:59], v[42:43], v[0:1] op_sel:[0,1,0]
	v_pk_fma_f32 v[18:19], v[52:53], v[54:55], v[18:19] op_sel_hi:[1,0,1]
	v_pk_fma_f32 v[12:13], v[32:33], v[54:55], v[12:13] op_sel_hi:[1,0,1]
	;; [unrolled: 1-line block ×3, first 2 shown]
	v_mov_b32_e32 v54, v37
	v_pk_fma_f32 v[8:9], v[30:31], v[36:37], v[8:9] op_sel_hi:[1,0,1]
	v_pk_fma_f32 v[6:7], v[52:53], v[34:35], v[6:7] op_sel_hi:[1,0,1]
	;; [unrolled: 1-line block ×4, first 2 shown]
	v_mov_b32_e32 v34, v45
	v_pk_fma_f32 v[0:1], v[30:31], v[44:45], v[0:1] op_sel_hi:[1,0,1]
	v_pk_fma_f32 v[10:11], v[52:53], v[54:55], v[10:11] op_sel_hi:[1,0,1]
	;; [unrolled: 1-line block ×5, first 2 shown]
	s_barrier
	s_cbranch_vccnz .LBB38_2
.LBB38_3:
	s_load_dwordx4 s[16:19], s[0:1], 0x78
	s_load_dword s5, s[0:1], 0x18
	s_load_dword s20, s[0:1], 0x50
	s_load_dwordx8 s[8:15], s[0:1], 0x58
	v_lshl_add_u64 v[20:21], s[6:7], 0, v[14:15]
	s_waitcnt lgkmcnt(0)
	s_mul_i32 s0, s19, s4
	s_mul_hi_u32 s1, s18, s4
	s_add_i32 s1, s1, s0
	s_mul_i32 s0, s18, s4
	s_lshl_b64 s[0:1], s[0:1], 2
	s_add_u32 s0, s14, s0
	v_cmp_neq_f32_e64 s[6:7], s20, 0
	v_lshl_add_u64 v[14:15], s[2:3], 0, v[16:17]
	s_addc_u32 s1, s15, s1
	s_and_b64 vcc, exec, s[6:7]
	v_mul_lo_u32 v16, v21, s16
	v_mul_lo_u32 v17, v20, s17
	v_lshlrev_b64 v[14:15], 2, v[14:15]
	s_cbranch_vccnz .LBB38_7
; %bb.4:
	v_mad_u64_u32 v[22:23], s[2:3], v20, s16, 0
	v_add3_u32 v23, v23, v17, v16
	v_lshl_add_u64 v[22:23], v[22:23], 2, s[0:1]
	v_mul_f32_e32 v26, s5, v19
	v_lshl_add_u64 v[24:25], v[22:23], 0, v[14:15]
	global_store_dword v[24:25], v26, off
	v_mul_f32_e32 v26, s5, v18
	global_store_dword v[24:25], v26, off offset:64
	v_mul_f32_e32 v26, s5, v13
	s_lshl_b64 s[2:3], s[16:17], 6
	global_store_dword v[24:25], v26, off offset:128
	v_mul_f32_e32 v26, s5, v12
	v_lshl_add_u64 v[22:23], v[22:23], 0, s[2:3]
	global_store_dword v[24:25], v26, off offset:192
	v_mul_f32_e32 v26, s5, v11
	v_lshl_add_u64 v[24:25], v[22:23], 0, v[14:15]
	global_store_dword v[24:25], v26, off
	v_mul_f32_e32 v26, s5, v10
	global_store_dword v[24:25], v26, off offset:64
	v_mul_f32_e32 v26, s5, v9
	global_store_dword v[24:25], v26, off offset:128
	v_mul_f32_e32 v26, s5, v8
	v_lshl_add_u64 v[22:23], v[22:23], 0, s[2:3]
	global_store_dword v[24:25], v26, off offset:192
	v_mul_f32_e32 v26, s5, v7
	v_lshl_add_u64 v[24:25], v[22:23], 0, v[14:15]
	global_store_dword v[24:25], v26, off
	v_mul_f32_e32 v26, s5, v6
	global_store_dword v[24:25], v26, off offset:64
	v_mul_f32_e32 v26, s5, v5
	;; [unrolled: 10-line block ×3, first 2 shown]
	global_store_dword v[22:23], v24, off offset:128
	v_mul_f32_e32 v24, s5, v0
	global_store_dword v[22:23], v24, off offset:192
	s_cbranch_execnz .LBB38_6
.LBB38_5:
	s_mul_i32 s2, s13, s4
	s_mul_hi_u32 s3, s12, s4
	s_add_i32 s3, s3, s2
	s_mul_i32 s2, s12, s4
	s_lshl_b64 s[2:3], s[2:3], 2
	s_add_u32 s2, s8, s2
	v_mul_lo_u32 v21, v21, s10
	v_mul_lo_u32 v24, v20, s11
	v_mad_u64_u32 v[22:23], s[6:7], v20, s10, 0
	s_addc_u32 s3, s9, s3
	v_add3_u32 v23, v23, v24, v21
	v_lshl_add_u64 v[22:23], v[22:23], 2, s[2:3]
	v_lshl_add_u64 v[24:25], v[22:23], 0, v[14:15]
	global_load_dword v26, v[24:25], off
	v_mad_u64_u32 v[20:21], s[2:3], v20, s16, 0
	v_add3_u32 v21, v21, v17, v16
	v_lshl_add_u64 v[16:17], v[20:21], 2, s[0:1]
	v_lshl_add_u64 v[20:21], v[16:17], 0, v[14:15]
	s_lshl_b64 s[0:1], s[10:11], 6
	s_lshl_b64 s[2:3], s[16:17], 6
	s_waitcnt vmcnt(0)
	v_mul_f32_e32 v26, s20, v26
	v_fmac_f32_e32 v26, s5, v19
	global_store_dword v[20:21], v26, off
	global_load_dword v19, v[24:25], off offset:64
	s_waitcnt vmcnt(0)
	v_mul_f32_e32 v19, s20, v19
	v_fmac_f32_e32 v19, s5, v18
	global_store_dword v[20:21], v19, off offset:64
	global_load_dword v18, v[24:25], off offset:128
	s_waitcnt vmcnt(0)
	v_mul_f32_e32 v18, s20, v18
	v_fmac_f32_e32 v18, s5, v13
	global_store_dword v[20:21], v18, off offset:128
	global_load_dword v13, v[24:25], off offset:192
	v_lshl_add_u64 v[18:19], v[22:23], 0, s[0:1]
	v_lshl_add_u64 v[22:23], v[18:19], 0, v[14:15]
	s_waitcnt vmcnt(0)
	v_mul_f32_e32 v13, s20, v13
	v_fmac_f32_e32 v13, s5, v12
	global_store_dword v[20:21], v13, off offset:192
	global_load_dword v20, v[22:23], off
	v_lshl_add_u64 v[12:13], v[16:17], 0, s[2:3]
	v_lshl_add_u64 v[16:17], v[12:13], 0, v[14:15]
	s_waitcnt vmcnt(0)
	v_mul_f32_e32 v20, s20, v20
	v_fmac_f32_e32 v20, s5, v11
	global_store_dword v[16:17], v20, off
	global_load_dword v11, v[22:23], off offset:64
	s_waitcnt vmcnt(0)
	v_mul_f32_e32 v11, s20, v11
	v_fmac_f32_e32 v11, s5, v10
	global_store_dword v[16:17], v11, off offset:64
	global_load_dword v10, v[22:23], off offset:128
	s_waitcnt vmcnt(0)
	v_mul_f32_e32 v10, s20, v10
	v_fmac_f32_e32 v10, s5, v9
	global_store_dword v[16:17], v10, off offset:128
	global_load_dword v9, v[22:23], off offset:192
	v_lshl_add_u64 v[10:11], v[18:19], 0, s[0:1]
	v_lshl_add_u64 v[18:19], v[10:11], 0, v[14:15]
	s_waitcnt vmcnt(0)
	v_mul_f32_e32 v9, s20, v9
	v_fmac_f32_e32 v9, s5, v8
	global_store_dword v[16:17], v9, off offset:192
	global_load_dword v16, v[18:19], off
	v_lshl_add_u64 v[8:9], v[12:13], 0, s[2:3]
	v_lshl_add_u64 v[12:13], v[8:9], 0, v[14:15]
	;; [unrolled: 24-line block ×3, first 2 shown]
	s_waitcnt vmcnt(0)
	v_mul_f32_e32 v8, s20, v10
	v_fmac_f32_e32 v8, s5, v3
	global_store_dword v[4:5], v8, off
	global_load_dword v3, v[6:7], off offset:64
	s_waitcnt vmcnt(0)
	v_mul_f32_e32 v3, s20, v3
	v_fmac_f32_e32 v3, s5, v2
	global_store_dword v[4:5], v3, off offset:64
	global_load_dword v2, v[6:7], off offset:128
	s_waitcnt vmcnt(0)
	v_mul_f32_e32 v2, s20, v2
	v_fmac_f32_e32 v2, s5, v1
	global_store_dword v[4:5], v2, off offset:128
	;; [unrolled: 5-line block ×3, first 2 shown]
.LBB38_6:
	s_endpgm
.LBB38_7:
	s_branch .LBB38_5
	.section	.rodata,"a",@progbits
	.p2align	6, 0x0
	.amdhsa_kernel _ZN12_GLOBAL__N_127rocblas_gemm_batched_kernelIfLi16ELi16ELi64ELi64ELi4ELi64ELi4ELi4ELi64ELc78ELc67EKfS1_fEEvlllT_PT11_llS4_llS2_PT12_llPT13_lli
		.amdhsa_group_segment_fixed_size 2048
		.amdhsa_private_segment_fixed_size 0
		.amdhsa_kernarg_size 140
		.amdhsa_user_sgpr_count 2
		.amdhsa_user_sgpr_dispatch_ptr 0
		.amdhsa_user_sgpr_queue_ptr 0
		.amdhsa_user_sgpr_kernarg_segment_ptr 1
		.amdhsa_user_sgpr_dispatch_id 0
		.amdhsa_user_sgpr_kernarg_preload_length 0
		.amdhsa_user_sgpr_kernarg_preload_offset 0
		.amdhsa_user_sgpr_private_segment_size 0
		.amdhsa_uses_dynamic_stack 0
		.amdhsa_enable_private_segment 0
		.amdhsa_system_sgpr_workgroup_id_x 1
		.amdhsa_system_sgpr_workgroup_id_y 1
		.amdhsa_system_sgpr_workgroup_id_z 1
		.amdhsa_system_sgpr_workgroup_info 0
		.amdhsa_system_vgpr_workitem_id 1
		.amdhsa_next_free_vgpr 66
		.amdhsa_next_free_sgpr 24
		.amdhsa_accum_offset 68
		.amdhsa_reserve_vcc 1
		.amdhsa_float_round_mode_32 0
		.amdhsa_float_round_mode_16_64 0
		.amdhsa_float_denorm_mode_32 3
		.amdhsa_float_denorm_mode_16_64 3
		.amdhsa_dx10_clamp 1
		.amdhsa_ieee_mode 1
		.amdhsa_fp16_overflow 0
		.amdhsa_tg_split 0
		.amdhsa_exception_fp_ieee_invalid_op 0
		.amdhsa_exception_fp_denorm_src 0
		.amdhsa_exception_fp_ieee_div_zero 0
		.amdhsa_exception_fp_ieee_overflow 0
		.amdhsa_exception_fp_ieee_underflow 0
		.amdhsa_exception_fp_ieee_inexact 0
		.amdhsa_exception_int_div_zero 0
	.end_amdhsa_kernel
	.section	.text._ZN12_GLOBAL__N_127rocblas_gemm_batched_kernelIfLi16ELi16ELi64ELi64ELi4ELi64ELi4ELi4ELi64ELc78ELc67EKfS1_fEEvlllT_PT11_llS4_llS2_PT12_llPT13_lli,"axG",@progbits,_ZN12_GLOBAL__N_127rocblas_gemm_batched_kernelIfLi16ELi16ELi64ELi64ELi4ELi64ELi4ELi4ELi64ELc78ELc67EKfS1_fEEvlllT_PT11_llS4_llS2_PT12_llPT13_lli,comdat
.Lfunc_end38:
	.size	_ZN12_GLOBAL__N_127rocblas_gemm_batched_kernelIfLi16ELi16ELi64ELi64ELi4ELi64ELi4ELi4ELi64ELc78ELc67EKfS1_fEEvlllT_PT11_llS4_llS2_PT12_llPT13_lli, .Lfunc_end38-_ZN12_GLOBAL__N_127rocblas_gemm_batched_kernelIfLi16ELi16ELi64ELi64ELi4ELi64ELi4ELi4ELi64ELc78ELc67EKfS1_fEEvlllT_PT11_llS4_llS2_PT12_llPT13_lli
                                        ; -- End function
	.set _ZN12_GLOBAL__N_127rocblas_gemm_batched_kernelIfLi16ELi16ELi64ELi64ELi4ELi64ELi4ELi4ELi64ELc78ELc67EKfS1_fEEvlllT_PT11_llS4_llS2_PT12_llPT13_lli.num_vgpr, 66
	.set _ZN12_GLOBAL__N_127rocblas_gemm_batched_kernelIfLi16ELi16ELi64ELi64ELi4ELi64ELi4ELi4ELi64ELc78ELc67EKfS1_fEEvlllT_PT11_llS4_llS2_PT12_llPT13_lli.num_agpr, 0
	.set _ZN12_GLOBAL__N_127rocblas_gemm_batched_kernelIfLi16ELi16ELi64ELi64ELi4ELi64ELi4ELi4ELi64ELc78ELc67EKfS1_fEEvlllT_PT11_llS4_llS2_PT12_llPT13_lli.numbered_sgpr, 24
	.set _ZN12_GLOBAL__N_127rocblas_gemm_batched_kernelIfLi16ELi16ELi64ELi64ELi4ELi64ELi4ELi4ELi64ELc78ELc67EKfS1_fEEvlllT_PT11_llS4_llS2_PT12_llPT13_lli.num_named_barrier, 0
	.set _ZN12_GLOBAL__N_127rocblas_gemm_batched_kernelIfLi16ELi16ELi64ELi64ELi4ELi64ELi4ELi4ELi64ELc78ELc67EKfS1_fEEvlllT_PT11_llS4_llS2_PT12_llPT13_lli.private_seg_size, 0
	.set _ZN12_GLOBAL__N_127rocblas_gemm_batched_kernelIfLi16ELi16ELi64ELi64ELi4ELi64ELi4ELi4ELi64ELc78ELc67EKfS1_fEEvlllT_PT11_llS4_llS2_PT12_llPT13_lli.uses_vcc, 1
	.set _ZN12_GLOBAL__N_127rocblas_gemm_batched_kernelIfLi16ELi16ELi64ELi64ELi4ELi64ELi4ELi4ELi64ELc78ELc67EKfS1_fEEvlllT_PT11_llS4_llS2_PT12_llPT13_lli.uses_flat_scratch, 0
	.set _ZN12_GLOBAL__N_127rocblas_gemm_batched_kernelIfLi16ELi16ELi64ELi64ELi4ELi64ELi4ELi4ELi64ELc78ELc67EKfS1_fEEvlllT_PT11_llS4_llS2_PT12_llPT13_lli.has_dyn_sized_stack, 0
	.set _ZN12_GLOBAL__N_127rocblas_gemm_batched_kernelIfLi16ELi16ELi64ELi64ELi4ELi64ELi4ELi4ELi64ELc78ELc67EKfS1_fEEvlllT_PT11_llS4_llS2_PT12_llPT13_lli.has_recursion, 0
	.set _ZN12_GLOBAL__N_127rocblas_gemm_batched_kernelIfLi16ELi16ELi64ELi64ELi4ELi64ELi4ELi4ELi64ELc78ELc67EKfS1_fEEvlllT_PT11_llS4_llS2_PT12_llPT13_lli.has_indirect_call, 0
	.section	.AMDGPU.csdata,"",@progbits
; Kernel info:
; codeLenInByte = 2068
; TotalNumSgprs: 30
; NumVgprs: 66
; NumAgprs: 0
; TotalNumVgprs: 66
; ScratchSize: 0
; MemoryBound: 0
; FloatMode: 240
; IeeeMode: 1
; LDSByteSize: 2048 bytes/workgroup (compile time only)
; SGPRBlocks: 3
; VGPRBlocks: 8
; NumSGPRsForWavesPerEU: 30
; NumVGPRsForWavesPerEU: 66
; AccumOffset: 68
; Occupancy: 7
; WaveLimiterHint : 0
; COMPUTE_PGM_RSRC2:SCRATCH_EN: 0
; COMPUTE_PGM_RSRC2:USER_SGPR: 2
; COMPUTE_PGM_RSRC2:TRAP_HANDLER: 0
; COMPUTE_PGM_RSRC2:TGID_X_EN: 1
; COMPUTE_PGM_RSRC2:TGID_Y_EN: 1
; COMPUTE_PGM_RSRC2:TGID_Z_EN: 1
; COMPUTE_PGM_RSRC2:TIDIG_COMP_CNT: 1
; COMPUTE_PGM_RSRC3_GFX90A:ACCUM_OFFSET: 16
; COMPUTE_PGM_RSRC3_GFX90A:TG_SPLIT: 0
	.section	.text._ZN12_GLOBAL__N_127rocblas_gemm_batched_kernelIfLi16ELi16ELi64ELi64ELi4ELi64ELi4ELi4ELi64ELc84ELc67EKfS1_fEEvlllT_PT11_llS4_llS2_PT12_llPT13_lli,"axG",@progbits,_ZN12_GLOBAL__N_127rocblas_gemm_batched_kernelIfLi16ELi16ELi64ELi64ELi4ELi64ELi4ELi4ELi64ELc84ELc67EKfS1_fEEvlllT_PT11_llS4_llS2_PT12_llPT13_lli,comdat
	.globl	_ZN12_GLOBAL__N_127rocblas_gemm_batched_kernelIfLi16ELi16ELi64ELi64ELi4ELi64ELi4ELi4ELi64ELc84ELc67EKfS1_fEEvlllT_PT11_llS4_llS2_PT12_llPT13_lli ; -- Begin function _ZN12_GLOBAL__N_127rocblas_gemm_batched_kernelIfLi16ELi16ELi64ELi64ELi4ELi64ELi4ELi4ELi64ELc84ELc67EKfS1_fEEvlllT_PT11_llS4_llS2_PT12_llPT13_lli
	.p2align	8
	.type	_ZN12_GLOBAL__N_127rocblas_gemm_batched_kernelIfLi16ELi16ELi64ELi64ELi4ELi64ELi4ELi4ELi64ELc84ELc67EKfS1_fEEvlllT_PT11_llS4_llS2_PT12_llPT13_lli,@function
_ZN12_GLOBAL__N_127rocblas_gemm_batched_kernelIfLi16ELi16ELi64ELi64ELi4ELi64ELi4ELi4ELi64ELc84ELc67EKfS1_fEEvlllT_PT11_llS4_llS2_PT12_llPT13_lli: ; @_ZN12_GLOBAL__N_127rocblas_gemm_batched_kernelIfLi16ELi16ELi64ELi64ELi4ELi64ELi4ELi4ELi64ELc84ELc67EKfS1_fEEvlllT_PT11_llS4_llS2_PT12_llPT13_lli
; %bb.0:
	s_load_dwordx2 s[16:17], s[0:1], 0x10
	s_mov_b32 s6, s3
	v_mov_b32_e32 v15, 0
	s_ashr_i32 s3, s2, 31
	s_ashr_i32 s7, s6, 31
	s_waitcnt lgkmcnt(0)
	v_cmp_lt_i64_e64 s[8:9], s[16:17], 1
	v_bfe_u32 v14, v0, 10, 10
	v_and_b32_e32 v16, 0x3ff, v0
	v_mov_b32_e32 v17, v15
	s_lshl_b64 s[2:3], s[2:3], 6
	s_lshl_b64 s[6:7], s[6:7], 6
	s_and_b64 vcc, exec, s[8:9]
	v_mov_b32_e32 v19, v15
	v_mov_b32_e32 v18, v15
	;; [unrolled: 1-line block ×16, first 2 shown]
	s_cbranch_vccnz .LBB39_3
; %bb.1:
	s_load_dwordx8 s[8:15], s[0:1], 0x20
	s_load_dwordx4 s[20:23], s[0:1], 0x40
	v_lshlrev_b32_e32 v4, 4, v14
	v_add_u32_e32 v5, v4, v16
	v_and_b32_e32 v2, 63, v5
	v_lshrrev_b32_e32 v0, 2, v5
	v_and_b32_e32 v6, 3, v16
	v_lshrrev_b32_e32 v8, 6, v5
	v_lshlrev_b32_e32 v5, 2, v2
	v_lshl_or_b32 v26, v8, 8, v5
	v_lshlrev_b32_e32 v5, 2, v6
	v_mov_b32_e32 v1, 0
	v_lshl_or_b32 v5, v0, 4, v5
	s_waitcnt lgkmcnt(0)
	s_mul_i32 s5, s23, s4
	s_mul_hi_u32 s18, s22, s4
	v_add_u32_e32 v27, 0x400, v5
	v_add_u32_e32 v29, 0x400, v4
	s_add_i32 s19, s18, s5
	s_mul_i32 s18, s22, s4
	v_mad_u64_u32 v[4:5], s[22:23], s20, v6, v[0:1]
	v_mov_b32_e32 v0, v5
	s_lshl_b64 s[18:19], s[18:19], 2
	v_mad_u64_u32 v[6:7], s[22:23], s21, v6, v[0:1]
	v_mov_b32_e32 v3, v1
	v_mov_b32_e32 v5, v6
	s_add_u32 s14, s14, s18
	v_lshl_add_u64 v[4:5], v[4:5], 0, s[6:7]
	s_addc_u32 s15, s15, s19
	v_lshl_add_u64 v[2:3], s[2:3], 0, v[2:3]
	v_lshl_add_u64 v[20:21], v[4:5], 2, s[14:15]
	v_mul_lo_u32 v0, s11, v2
	v_mul_lo_u32 v4, s10, v3
	v_mad_u64_u32 v[2:3], s[10:11], s10, v2, 0
	s_mul_i32 s5, s13, s4
	s_mul_hi_u32 s10, s12, s4
	s_add_i32 s11, s10, s5
	s_mul_i32 s10, s12, s4
	v_add3_u32 v3, v3, v4, v0
	s_lshl_b64 s[10:11], s[10:11], 2
	v_lshl_add_u64 v[2:3], v[2:3], 2, s[10:11]
	v_lshlrev_b32_e32 v0, 2, v8
	v_lshl_add_u64 v[2:3], v[2:3], 0, v[0:1]
	v_lshlrev_b32_e32 v28, 2, v16
	s_lshl_b64 s[14:15], s[20:21], 4
	v_lshl_add_u64 v[22:23], s[8:9], 0, v[2:3]
	s_mov_b64 s[8:9], 0
	v_mov_b64_e32 v[24:25], s[16:17]
	v_mov_b32_e32 v0, v1
	v_mov_b32_e32 v2, v1
	;; [unrolled: 1-line block ×15, first 2 shown]
.LBB39_2:                               ; =>This Inner Loop Header: Depth=1
	global_load_dword v30, v[22:23], off
	s_add_u32 s8, s8, 4
	s_addc_u32 s9, s9, 0
	v_cmp_lt_i64_e32 vcc, s[8:9], v[24:25]
	v_lshl_add_u64 v[22:23], v[22:23], 0, 16
	s_and_b64 vcc, exec, vcc
	s_waitcnt vmcnt(0)
	ds_write_b32 v26, v30
	global_load_dword v30, v[20:21], off
	v_lshl_add_u64 v[20:21], v[20:21], 0, s[14:15]
	s_waitcnt vmcnt(0)
	ds_write_b32 v27, v30
	s_waitcnt lgkmcnt(0)
	s_barrier
	ds_read_b128 v[30:33], v29
	ds_read2_b32 v[48:49], v28 offset1:16
	ds_read2_b32 v[58:59], v28 offset0:32 offset1:48
	ds_read_b128 v[34:37], v29 offset:256
	ds_read_b128 v[38:41], v29 offset:512
	;; [unrolled: 1-line block ×3, first 2 shown]
	ds_read2_b32 v[50:51], v28 offset0:64 offset1:80
	ds_read2_b32 v[60:61], v28 offset0:96 offset1:112
	;; [unrolled: 1-line block ×6, first 2 shown]
	s_waitcnt lgkmcnt(10)
	v_mov_b32_e32 v46, v49
	v_mov_b32_e32 v47, v48
	s_waitcnt lgkmcnt(9)
	v_mov_b32_e32 v56, v59
	v_mov_b32_e32 v57, v58
	v_pk_fma_f32 v[18:19], v[46:47], v[30:31], v[18:19] op_sel_hi:[1,0,1]
	s_waitcnt lgkmcnt(5)
	v_mov_b32_e32 v48, v51
	v_mov_b32_e32 v49, v50
	v_pk_fma_f32 v[12:13], v[56:57], v[30:31], v[12:13] op_sel_hi:[1,0,1]
	;; [unrolled: 4-line block ×3, first 2 shown]
	v_pk_fma_f32 v[4:5], v[56:57], v[38:39], v[4:5] op_sel_hi:[1,0,1]
	v_pk_fma_f32 v[18:19], v[48:49], v[30:31], v[18:19] op_sel:[0,1,0]
	s_waitcnt lgkmcnt(3)
	v_mov_b32_e32 v50, v53
	v_mov_b32_e32 v51, v52
	v_pk_fma_f32 v[12:13], v[58:59], v[30:31], v[12:13] op_sel:[0,1,0]
	s_waitcnt lgkmcnt(2)
	v_mov_b32_e32 v30, v63
	v_mov_b32_e32 v31, v62
	v_pk_fma_f32 v[10:11], v[46:47], v[34:35], v[10:11] op_sel_hi:[1,0,1]
	v_pk_fma_f32 v[8:9], v[56:57], v[34:35], v[8:9] op_sel_hi:[1,0,1]
	v_pk_fma_f32 v[6:7], v[48:49], v[38:39], v[6:7] op_sel:[0,1,0]
	v_pk_fma_f32 v[4:5], v[58:59], v[38:39], v[4:5] op_sel:[0,1,0]
	v_pk_fma_f32 v[2:3], v[46:47], v[42:43], v[2:3] op_sel_hi:[1,0,1]
	v_pk_fma_f32 v[0:1], v[56:57], v[42:43], v[0:1] op_sel_hi:[1,0,1]
	;; [unrolled: 1-line block ×3, first 2 shown]
	s_waitcnt lgkmcnt(1)
	v_mov_b32_e32 v52, v55
	v_mov_b32_e32 v53, v54
	v_mov_b32_e32 v54, v33
	v_pk_fma_f32 v[12:13], v[30:31], v[32:33], v[12:13] op_sel_hi:[1,0,1]
	s_waitcnt lgkmcnt(0)
	v_mov_b32_e32 v32, v65
	v_mov_b32_e32 v33, v64
	v_pk_fma_f32 v[10:11], v[48:49], v[34:35], v[10:11] op_sel:[0,1,0]
	v_pk_fma_f32 v[8:9], v[58:59], v[34:35], v[8:9] op_sel:[0,1,0]
	v_pk_fma_f32 v[6:7], v[50:51], v[40:41], v[6:7] op_sel_hi:[1,0,1]
	v_mov_b32_e32 v34, v41
	v_pk_fma_f32 v[4:5], v[30:31], v[40:41], v[4:5] op_sel_hi:[1,0,1]
	v_pk_fma_f32 v[2:3], v[48:49], v[42:43], v[2:3] op_sel:[0,1,0]
	v_pk_fma_f32 v[0:1], v[58:59], v[42:43], v[0:1] op_sel:[0,1,0]
	v_pk_fma_f32 v[18:19], v[52:53], v[54:55], v[18:19] op_sel_hi:[1,0,1]
	v_pk_fma_f32 v[12:13], v[32:33], v[54:55], v[12:13] op_sel_hi:[1,0,1]
	;; [unrolled: 1-line block ×3, first 2 shown]
	v_mov_b32_e32 v54, v37
	v_pk_fma_f32 v[8:9], v[30:31], v[36:37], v[8:9] op_sel_hi:[1,0,1]
	v_pk_fma_f32 v[6:7], v[52:53], v[34:35], v[6:7] op_sel_hi:[1,0,1]
	;; [unrolled: 1-line block ×4, first 2 shown]
	v_mov_b32_e32 v34, v45
	v_pk_fma_f32 v[0:1], v[30:31], v[44:45], v[0:1] op_sel_hi:[1,0,1]
	v_pk_fma_f32 v[10:11], v[52:53], v[54:55], v[10:11] op_sel_hi:[1,0,1]
	;; [unrolled: 1-line block ×5, first 2 shown]
	s_barrier
	s_cbranch_vccnz .LBB39_2
.LBB39_3:
	s_load_dwordx4 s[16:19], s[0:1], 0x78
	s_load_dword s5, s[0:1], 0x18
	s_load_dword s20, s[0:1], 0x50
	s_load_dwordx8 s[8:15], s[0:1], 0x58
	v_lshl_add_u64 v[20:21], s[6:7], 0, v[14:15]
	s_waitcnt lgkmcnt(0)
	s_mul_i32 s0, s19, s4
	s_mul_hi_u32 s1, s18, s4
	s_add_i32 s1, s1, s0
	s_mul_i32 s0, s18, s4
	s_lshl_b64 s[0:1], s[0:1], 2
	s_add_u32 s0, s14, s0
	v_cmp_neq_f32_e64 s[6:7], s20, 0
	v_lshl_add_u64 v[14:15], s[2:3], 0, v[16:17]
	s_addc_u32 s1, s15, s1
	s_and_b64 vcc, exec, s[6:7]
	v_mul_lo_u32 v16, v21, s16
	v_mul_lo_u32 v17, v20, s17
	v_lshlrev_b64 v[14:15], 2, v[14:15]
	s_cbranch_vccnz .LBB39_7
; %bb.4:
	v_mad_u64_u32 v[22:23], s[2:3], v20, s16, 0
	v_add3_u32 v23, v23, v17, v16
	v_lshl_add_u64 v[22:23], v[22:23], 2, s[0:1]
	v_mul_f32_e32 v26, s5, v19
	v_lshl_add_u64 v[24:25], v[22:23], 0, v[14:15]
	global_store_dword v[24:25], v26, off
	v_mul_f32_e32 v26, s5, v18
	global_store_dword v[24:25], v26, off offset:64
	v_mul_f32_e32 v26, s5, v13
	s_lshl_b64 s[2:3], s[16:17], 6
	global_store_dword v[24:25], v26, off offset:128
	v_mul_f32_e32 v26, s5, v12
	v_lshl_add_u64 v[22:23], v[22:23], 0, s[2:3]
	global_store_dword v[24:25], v26, off offset:192
	v_mul_f32_e32 v26, s5, v11
	v_lshl_add_u64 v[24:25], v[22:23], 0, v[14:15]
	global_store_dword v[24:25], v26, off
	v_mul_f32_e32 v26, s5, v10
	global_store_dword v[24:25], v26, off offset:64
	v_mul_f32_e32 v26, s5, v9
	global_store_dword v[24:25], v26, off offset:128
	v_mul_f32_e32 v26, s5, v8
	v_lshl_add_u64 v[22:23], v[22:23], 0, s[2:3]
	global_store_dword v[24:25], v26, off offset:192
	v_mul_f32_e32 v26, s5, v7
	v_lshl_add_u64 v[24:25], v[22:23], 0, v[14:15]
	global_store_dword v[24:25], v26, off
	v_mul_f32_e32 v26, s5, v6
	global_store_dword v[24:25], v26, off offset:64
	v_mul_f32_e32 v26, s5, v5
	global_store_dword v[24:25], v26, off offset:128
	v_mul_f32_e32 v26, s5, v4
	v_lshl_add_u64 v[22:23], v[22:23], 0, s[2:3]
	global_store_dword v[24:25], v26, off offset:192
	v_mul_f32_e32 v24, s5, v3
	v_lshl_add_u64 v[22:23], v[22:23], 0, v[14:15]
	global_store_dword v[22:23], v24, off
	v_mul_f32_e32 v24, s5, v2
	global_store_dword v[22:23], v24, off offset:64
	v_mul_f32_e32 v24, s5, v1
	global_store_dword v[22:23], v24, off offset:128
	v_mul_f32_e32 v24, s5, v0
	global_store_dword v[22:23], v24, off offset:192
	s_cbranch_execnz .LBB39_6
.LBB39_5:
	s_mul_i32 s2, s13, s4
	s_mul_hi_u32 s3, s12, s4
	s_add_i32 s3, s3, s2
	s_mul_i32 s2, s12, s4
	s_lshl_b64 s[2:3], s[2:3], 2
	s_add_u32 s2, s8, s2
	v_mul_lo_u32 v21, v21, s10
	v_mul_lo_u32 v24, v20, s11
	v_mad_u64_u32 v[22:23], s[6:7], v20, s10, 0
	s_addc_u32 s3, s9, s3
	v_add3_u32 v23, v23, v24, v21
	v_lshl_add_u64 v[22:23], v[22:23], 2, s[2:3]
	v_lshl_add_u64 v[24:25], v[22:23], 0, v[14:15]
	global_load_dword v26, v[24:25], off
	v_mad_u64_u32 v[20:21], s[2:3], v20, s16, 0
	v_add3_u32 v21, v21, v17, v16
	v_lshl_add_u64 v[16:17], v[20:21], 2, s[0:1]
	v_lshl_add_u64 v[20:21], v[16:17], 0, v[14:15]
	s_lshl_b64 s[0:1], s[10:11], 6
	s_lshl_b64 s[2:3], s[16:17], 6
	s_waitcnt vmcnt(0)
	v_mul_f32_e32 v26, s20, v26
	v_fmac_f32_e32 v26, s5, v19
	global_store_dword v[20:21], v26, off
	global_load_dword v19, v[24:25], off offset:64
	s_waitcnt vmcnt(0)
	v_mul_f32_e32 v19, s20, v19
	v_fmac_f32_e32 v19, s5, v18
	global_store_dword v[20:21], v19, off offset:64
	global_load_dword v18, v[24:25], off offset:128
	s_waitcnt vmcnt(0)
	v_mul_f32_e32 v18, s20, v18
	v_fmac_f32_e32 v18, s5, v13
	global_store_dword v[20:21], v18, off offset:128
	global_load_dword v13, v[24:25], off offset:192
	v_lshl_add_u64 v[18:19], v[22:23], 0, s[0:1]
	v_lshl_add_u64 v[22:23], v[18:19], 0, v[14:15]
	s_waitcnt vmcnt(0)
	v_mul_f32_e32 v13, s20, v13
	v_fmac_f32_e32 v13, s5, v12
	global_store_dword v[20:21], v13, off offset:192
	global_load_dword v20, v[22:23], off
	v_lshl_add_u64 v[12:13], v[16:17], 0, s[2:3]
	v_lshl_add_u64 v[16:17], v[12:13], 0, v[14:15]
	s_waitcnt vmcnt(0)
	v_mul_f32_e32 v20, s20, v20
	v_fmac_f32_e32 v20, s5, v11
	global_store_dword v[16:17], v20, off
	global_load_dword v11, v[22:23], off offset:64
	s_waitcnt vmcnt(0)
	v_mul_f32_e32 v11, s20, v11
	v_fmac_f32_e32 v11, s5, v10
	global_store_dword v[16:17], v11, off offset:64
	global_load_dword v10, v[22:23], off offset:128
	s_waitcnt vmcnt(0)
	v_mul_f32_e32 v10, s20, v10
	v_fmac_f32_e32 v10, s5, v9
	global_store_dword v[16:17], v10, off offset:128
	global_load_dword v9, v[22:23], off offset:192
	v_lshl_add_u64 v[10:11], v[18:19], 0, s[0:1]
	v_lshl_add_u64 v[18:19], v[10:11], 0, v[14:15]
	s_waitcnt vmcnt(0)
	v_mul_f32_e32 v9, s20, v9
	v_fmac_f32_e32 v9, s5, v8
	global_store_dword v[16:17], v9, off offset:192
	global_load_dword v16, v[18:19], off
	v_lshl_add_u64 v[8:9], v[12:13], 0, s[2:3]
	v_lshl_add_u64 v[12:13], v[8:9], 0, v[14:15]
	;; [unrolled: 24-line block ×3, first 2 shown]
	s_waitcnt vmcnt(0)
	v_mul_f32_e32 v8, s20, v10
	v_fmac_f32_e32 v8, s5, v3
	global_store_dword v[4:5], v8, off
	global_load_dword v3, v[6:7], off offset:64
	s_waitcnt vmcnt(0)
	v_mul_f32_e32 v3, s20, v3
	v_fmac_f32_e32 v3, s5, v2
	global_store_dword v[4:5], v3, off offset:64
	global_load_dword v2, v[6:7], off offset:128
	s_waitcnt vmcnt(0)
	v_mul_f32_e32 v2, s20, v2
	v_fmac_f32_e32 v2, s5, v1
	global_store_dword v[4:5], v2, off offset:128
	;; [unrolled: 5-line block ×3, first 2 shown]
.LBB39_6:
	s_endpgm
.LBB39_7:
	s_branch .LBB39_5
	.section	.rodata,"a",@progbits
	.p2align	6, 0x0
	.amdhsa_kernel _ZN12_GLOBAL__N_127rocblas_gemm_batched_kernelIfLi16ELi16ELi64ELi64ELi4ELi64ELi4ELi4ELi64ELc84ELc67EKfS1_fEEvlllT_PT11_llS4_llS2_PT12_llPT13_lli
		.amdhsa_group_segment_fixed_size 2048
		.amdhsa_private_segment_fixed_size 0
		.amdhsa_kernarg_size 140
		.amdhsa_user_sgpr_count 2
		.amdhsa_user_sgpr_dispatch_ptr 0
		.amdhsa_user_sgpr_queue_ptr 0
		.amdhsa_user_sgpr_kernarg_segment_ptr 1
		.amdhsa_user_sgpr_dispatch_id 0
		.amdhsa_user_sgpr_kernarg_preload_length 0
		.amdhsa_user_sgpr_kernarg_preload_offset 0
		.amdhsa_user_sgpr_private_segment_size 0
		.amdhsa_uses_dynamic_stack 0
		.amdhsa_enable_private_segment 0
		.amdhsa_system_sgpr_workgroup_id_x 1
		.amdhsa_system_sgpr_workgroup_id_y 1
		.amdhsa_system_sgpr_workgroup_id_z 1
		.amdhsa_system_sgpr_workgroup_info 0
		.amdhsa_system_vgpr_workitem_id 1
		.amdhsa_next_free_vgpr 66
		.amdhsa_next_free_sgpr 24
		.amdhsa_accum_offset 68
		.amdhsa_reserve_vcc 1
		.amdhsa_float_round_mode_32 0
		.amdhsa_float_round_mode_16_64 0
		.amdhsa_float_denorm_mode_32 3
		.amdhsa_float_denorm_mode_16_64 3
		.amdhsa_dx10_clamp 1
		.amdhsa_ieee_mode 1
		.amdhsa_fp16_overflow 0
		.amdhsa_tg_split 0
		.amdhsa_exception_fp_ieee_invalid_op 0
		.amdhsa_exception_fp_denorm_src 0
		.amdhsa_exception_fp_ieee_div_zero 0
		.amdhsa_exception_fp_ieee_overflow 0
		.amdhsa_exception_fp_ieee_underflow 0
		.amdhsa_exception_fp_ieee_inexact 0
		.amdhsa_exception_int_div_zero 0
	.end_amdhsa_kernel
	.section	.text._ZN12_GLOBAL__N_127rocblas_gemm_batched_kernelIfLi16ELi16ELi64ELi64ELi4ELi64ELi4ELi4ELi64ELc84ELc67EKfS1_fEEvlllT_PT11_llS4_llS2_PT12_llPT13_lli,"axG",@progbits,_ZN12_GLOBAL__N_127rocblas_gemm_batched_kernelIfLi16ELi16ELi64ELi64ELi4ELi64ELi4ELi4ELi64ELc84ELc67EKfS1_fEEvlllT_PT11_llS4_llS2_PT12_llPT13_lli,comdat
.Lfunc_end39:
	.size	_ZN12_GLOBAL__N_127rocblas_gemm_batched_kernelIfLi16ELi16ELi64ELi64ELi4ELi64ELi4ELi4ELi64ELc84ELc67EKfS1_fEEvlllT_PT11_llS4_llS2_PT12_llPT13_lli, .Lfunc_end39-_ZN12_GLOBAL__N_127rocblas_gemm_batched_kernelIfLi16ELi16ELi64ELi64ELi4ELi64ELi4ELi4ELi64ELc84ELc67EKfS1_fEEvlllT_PT11_llS4_llS2_PT12_llPT13_lli
                                        ; -- End function
	.set _ZN12_GLOBAL__N_127rocblas_gemm_batched_kernelIfLi16ELi16ELi64ELi64ELi4ELi64ELi4ELi4ELi64ELc84ELc67EKfS1_fEEvlllT_PT11_llS4_llS2_PT12_llPT13_lli.num_vgpr, 66
	.set _ZN12_GLOBAL__N_127rocblas_gemm_batched_kernelIfLi16ELi16ELi64ELi64ELi4ELi64ELi4ELi4ELi64ELc84ELc67EKfS1_fEEvlllT_PT11_llS4_llS2_PT12_llPT13_lli.num_agpr, 0
	.set _ZN12_GLOBAL__N_127rocblas_gemm_batched_kernelIfLi16ELi16ELi64ELi64ELi4ELi64ELi4ELi4ELi64ELc84ELc67EKfS1_fEEvlllT_PT11_llS4_llS2_PT12_llPT13_lli.numbered_sgpr, 24
	.set _ZN12_GLOBAL__N_127rocblas_gemm_batched_kernelIfLi16ELi16ELi64ELi64ELi4ELi64ELi4ELi4ELi64ELc84ELc67EKfS1_fEEvlllT_PT11_llS4_llS2_PT12_llPT13_lli.num_named_barrier, 0
	.set _ZN12_GLOBAL__N_127rocblas_gemm_batched_kernelIfLi16ELi16ELi64ELi64ELi4ELi64ELi4ELi4ELi64ELc84ELc67EKfS1_fEEvlllT_PT11_llS4_llS2_PT12_llPT13_lli.private_seg_size, 0
	.set _ZN12_GLOBAL__N_127rocblas_gemm_batched_kernelIfLi16ELi16ELi64ELi64ELi4ELi64ELi4ELi4ELi64ELc84ELc67EKfS1_fEEvlllT_PT11_llS4_llS2_PT12_llPT13_lli.uses_vcc, 1
	.set _ZN12_GLOBAL__N_127rocblas_gemm_batched_kernelIfLi16ELi16ELi64ELi64ELi4ELi64ELi4ELi4ELi64ELc84ELc67EKfS1_fEEvlllT_PT11_llS4_llS2_PT12_llPT13_lli.uses_flat_scratch, 0
	.set _ZN12_GLOBAL__N_127rocblas_gemm_batched_kernelIfLi16ELi16ELi64ELi64ELi4ELi64ELi4ELi4ELi64ELc84ELc67EKfS1_fEEvlllT_PT11_llS4_llS2_PT12_llPT13_lli.has_dyn_sized_stack, 0
	.set _ZN12_GLOBAL__N_127rocblas_gemm_batched_kernelIfLi16ELi16ELi64ELi64ELi4ELi64ELi4ELi4ELi64ELc84ELc67EKfS1_fEEvlllT_PT11_llS4_llS2_PT12_llPT13_lli.has_recursion, 0
	.set _ZN12_GLOBAL__N_127rocblas_gemm_batched_kernelIfLi16ELi16ELi64ELi64ELi4ELi64ELi4ELi4ELi64ELc84ELc67EKfS1_fEEvlllT_PT11_llS4_llS2_PT12_llPT13_lli.has_indirect_call, 0
	.section	.AMDGPU.csdata,"",@progbits
; Kernel info:
; codeLenInByte = 2080
; TotalNumSgprs: 30
; NumVgprs: 66
; NumAgprs: 0
; TotalNumVgprs: 66
; ScratchSize: 0
; MemoryBound: 0
; FloatMode: 240
; IeeeMode: 1
; LDSByteSize: 2048 bytes/workgroup (compile time only)
; SGPRBlocks: 3
; VGPRBlocks: 8
; NumSGPRsForWavesPerEU: 30
; NumVGPRsForWavesPerEU: 66
; AccumOffset: 68
; Occupancy: 7
; WaveLimiterHint : 0
; COMPUTE_PGM_RSRC2:SCRATCH_EN: 0
; COMPUTE_PGM_RSRC2:USER_SGPR: 2
; COMPUTE_PGM_RSRC2:TRAP_HANDLER: 0
; COMPUTE_PGM_RSRC2:TGID_X_EN: 1
; COMPUTE_PGM_RSRC2:TGID_Y_EN: 1
; COMPUTE_PGM_RSRC2:TGID_Z_EN: 1
; COMPUTE_PGM_RSRC2:TIDIG_COMP_CNT: 1
; COMPUTE_PGM_RSRC3_GFX90A:ACCUM_OFFSET: 16
; COMPUTE_PGM_RSRC3_GFX90A:TG_SPLIT: 0
	.section	.text._ZN12_GLOBAL__N_127rocblas_gemm_batched_kernelIfLi16ELi16ELi32ELi32ELi8ELi32ELi8ELi8ELi32ELc78ELc78EKfS1_fEEvlllT_PT11_llS4_llS2_PT12_llPT13_lli,"axG",@progbits,_ZN12_GLOBAL__N_127rocblas_gemm_batched_kernelIfLi16ELi16ELi32ELi32ELi8ELi32ELi8ELi8ELi32ELc78ELc78EKfS1_fEEvlllT_PT11_llS4_llS2_PT12_llPT13_lli,comdat
	.globl	_ZN12_GLOBAL__N_127rocblas_gemm_batched_kernelIfLi16ELi16ELi32ELi32ELi8ELi32ELi8ELi8ELi32ELc78ELc78EKfS1_fEEvlllT_PT11_llS4_llS2_PT12_llPT13_lli ; -- Begin function _ZN12_GLOBAL__N_127rocblas_gemm_batched_kernelIfLi16ELi16ELi32ELi32ELi8ELi32ELi8ELi8ELi32ELc78ELc78EKfS1_fEEvlllT_PT11_llS4_llS2_PT12_llPT13_lli
	.p2align	8
	.type	_ZN12_GLOBAL__N_127rocblas_gemm_batched_kernelIfLi16ELi16ELi32ELi32ELi8ELi32ELi8ELi8ELi32ELc78ELc78EKfS1_fEEvlllT_PT11_llS4_llS2_PT12_llPT13_lli,@function
_ZN12_GLOBAL__N_127rocblas_gemm_batched_kernelIfLi16ELi16ELi32ELi32ELi8ELi32ELi8ELi8ELi32ELc78ELc78EKfS1_fEEvlllT_PT11_llS4_llS2_PT12_llPT13_lli: ; @_ZN12_GLOBAL__N_127rocblas_gemm_batched_kernelIfLi16ELi16ELi32ELi32ELi8ELi32ELi8ELi8ELi32ELc78ELc78EKfS1_fEEvlllT_PT11_llS4_llS2_PT12_llPT13_lli
; %bb.0:
	s_load_dwordx2 s[16:17], s[0:1], 0x10
	s_mov_b32 s6, s3
	v_mov_b32_e32 v3, 0
	s_ashr_i32 s3, s2, 31
	s_ashr_i32 s7, s6, 31
	s_waitcnt lgkmcnt(0)
	v_cmp_lt_i64_e64 s[8:9], s[16:17], 1
	v_bfe_u32 v2, v0, 10, 10
	v_and_b32_e32 v4, 0x3ff, v0
	v_mov_b32_e32 v5, v3
	s_lshl_b64 s[2:3], s[2:3], 5
	s_lshl_b64 s[6:7], s[6:7], 5
	s_and_b64 vcc, exec, s[8:9]
	v_mov_b32_e32 v7, v3
	v_mov_b32_e32 v6, v3
	;; [unrolled: 1-line block ×4, first 2 shown]
	s_cbranch_vccnz .LBB40_3
; %bb.1:
	v_lshl_add_u32 v8, v2, 4, v4
	s_load_dwordx8 s[8:15], s[0:1], 0x20
	s_load_dwordx4 s[20:23], s[0:1], 0x40
	v_and_b32_e32 v10, 31, v8
	v_lshrrev_b32_e32 v0, 3, v8
	v_and_b32_e32 v9, 7, v4
	v_lshrrev_b32_e32 v12, 5, v8
	v_lshlrev_b32_e32 v8, 2, v10
	v_mov_b32_e32 v1, 0
	v_lshl_or_b32 v14, v12, 7, v8
	v_lshlrev_b32_e32 v8, 2, v9
	v_lshl_add_u64 v[6:7], v[0:1], 0, s[6:7]
	v_lshl_or_b32 v0, v0, 5, v8
	v_add_u32_e32 v15, 0x400, v0
	v_mov_b32_e32 v0, 0x400
	v_lshl_add_u32 v17, v2, 5, v0
	s_waitcnt lgkmcnt(0)
	v_mul_lo_u32 v0, s21, v6
	v_mul_lo_u32 v9, s20, v7
	v_mad_u64_u32 v[6:7], s[18:19], s20, v6, 0
	s_mul_i32 s5, s23, s4
	s_mul_hi_u32 s18, s22, s4
	s_add_i32 s19, s18, s5
	s_mul_i32 s18, s22, s4
	v_add3_u32 v7, v7, v9, v0
	s_lshl_b64 s[18:19], s[18:19], 2
	v_lshl_add_u64 v[6:7], v[6:7], 2, s[18:19]
	v_mov_b32_e32 v9, v1
	v_lshl_add_u64 v[6:7], v[6:7], 0, v[8:9]
	v_lshl_add_u64 v[8:9], s[14:15], 0, v[6:7]
	v_mov_b64_e32 v[6:7], s[2:3]
	s_mul_i32 s5, s13, s4
	s_mul_hi_u32 s13, s12, s4
	v_mad_u64_u32 v[6:7], s[14:15], s10, v12, v[6:7]
	s_add_i32 s13, s13, s5
	s_mul_i32 s12, s12, s4
	v_mov_b32_e32 v0, v7
	s_lshl_b64 s[12:13], s[12:13], 2
	v_mad_u64_u32 v[12:13], s[14:15], s11, v12, v[0:1]
	v_mov_b32_e32 v11, v1
	v_mov_b32_e32 v7, v12
	s_add_u32 s8, s8, s12
	v_lshl_add_u64 v[6:7], v[6:7], 0, v[10:11]
	s_addc_u32 s9, s9, s13
	v_lshlrev_b32_e32 v16, 2, v4
	v_lshl_add_u64 v[10:11], v[6:7], 2, s[8:9]
	s_lshl_b64 s[8:9], s[10:11], 5
	s_mov_b64 s[10:11], 0
	v_mov_b64_e32 v[12:13], s[16:17]
	v_mov_b32_e32 v0, v1
	v_mov_b32_e32 v6, v1
	;; [unrolled: 1-line block ×3, first 2 shown]
.LBB40_2:                               ; =>This Inner Loop Header: Depth=1
	global_load_dword v18, v[10:11], off
	s_add_u32 s10, s10, 8
	s_addc_u32 s11, s11, 0
	v_cmp_lt_i64_e32 vcc, s[10:11], v[12:13]
	v_lshl_add_u64 v[10:11], v[10:11], 0, s[8:9]
	s_and_b64 vcc, exec, vcc
	s_waitcnt vmcnt(0)
	ds_write_b32 v14, v18
	global_load_dword v18, v[8:9], off
	v_lshl_add_u64 v[8:9], v[8:9], 0, 32
	s_waitcnt vmcnt(0)
	ds_write_b32 v15, v18
	s_waitcnt lgkmcnt(0)
	s_barrier
	ds_read_b128 v[18:21], v17
	ds_read_b128 v[22:25], v17 offset:16
	ds_read2_b32 v[36:37], v16 offset1:16
	ds_read_b128 v[26:29], v17 offset:512
	ds_read2_b32 v[38:39], v16 offset0:32 offset1:48
	ds_read2_b32 v[40:41], v16 offset0:64 offset1:80
	;; [unrolled: 1-line block ×4, first 2 shown]
	ds_read_b128 v[30:33], v17 offset:528
	ds_read2_b32 v[46:47], v16 offset0:160 offset1:176
	ds_read2_b32 v[48:49], v16 offset0:192 offset1:208
	;; [unrolled: 1-line block ×3, first 2 shown]
	s_waitcnt lgkmcnt(9)
	v_mov_b32_e32 v34, v37
	v_mov_b32_e32 v35, v36
	v_pk_fma_f32 v[6:7], v[34:35], v[18:19], v[6:7] op_sel_hi:[1,0,1]
	s_waitcnt lgkmcnt(7)
	v_mov_b32_e32 v36, v39
	v_mov_b32_e32 v37, v38
	v_pk_fma_f32 v[0:1], v[34:35], v[26:27], v[0:1] op_sel_hi:[1,0,1]
	v_pk_fma_f32 v[6:7], v[36:37], v[18:19], v[6:7] op_sel:[0,1,0]
	s_waitcnt lgkmcnt(6)
	v_mov_b32_e32 v18, v41
	v_mov_b32_e32 v19, v40
	v_pk_fma_f32 v[0:1], v[36:37], v[26:27], v[0:1] op_sel:[0,1,0]
	v_pk_fma_f32 v[6:7], v[18:19], v[20:21], v[6:7] op_sel_hi:[1,0,1]
	s_waitcnt lgkmcnt(5)
	v_mov_b32_e32 v38, v43
	v_mov_b32_e32 v39, v42
	;; [unrolled: 1-line block ×3, first 2 shown]
	v_pk_fma_f32 v[0:1], v[18:19], v[28:29], v[0:1] op_sel_hi:[1,0,1]
	v_mov_b32_e32 v18, v29
	v_pk_fma_f32 v[6:7], v[38:39], v[20:21], v[6:7] op_sel_hi:[1,0,1]
	s_waitcnt lgkmcnt(4)
	v_mov_b32_e32 v20, v45
	v_mov_b32_e32 v21, v44
	v_pk_fma_f32 v[0:1], v[38:39], v[18:19], v[0:1] op_sel_hi:[1,0,1]
	v_pk_fma_f32 v[6:7], v[20:21], v[22:23], v[6:7] op_sel_hi:[1,0,1]
	s_waitcnt lgkmcnt(2)
	v_mov_b32_e32 v40, v47
	v_mov_b32_e32 v41, v46
	v_pk_fma_f32 v[0:1], v[20:21], v[30:31], v[0:1] op_sel_hi:[1,0,1]
	v_pk_fma_f32 v[6:7], v[40:41], v[22:23], v[6:7] op_sel:[0,1,0]
	s_waitcnt lgkmcnt(1)
	v_mov_b32_e32 v22, v49
	v_mov_b32_e32 v23, v48
	v_pk_fma_f32 v[0:1], v[40:41], v[30:31], v[0:1] op_sel:[0,1,0]
	v_pk_fma_f32 v[6:7], v[22:23], v[24:25], v[6:7] op_sel_hi:[1,0,1]
	s_waitcnt lgkmcnt(0)
	v_mov_b32_e32 v42, v51
	v_mov_b32_e32 v43, v50
	v_mov_b32_e32 v24, v25
	v_pk_fma_f32 v[0:1], v[22:23], v[32:33], v[0:1] op_sel_hi:[1,0,1]
	v_mov_b32_e32 v18, v33
	v_pk_fma_f32 v[6:7], v[42:43], v[24:25], v[6:7] op_sel_hi:[1,0,1]
	v_pk_fma_f32 v[0:1], v[42:43], v[18:19], v[0:1] op_sel_hi:[1,0,1]
	s_barrier
	s_cbranch_vccnz .LBB40_2
.LBB40_3:
	s_load_dwordx4 s[16:19], s[0:1], 0x78
	s_load_dword s5, s[0:1], 0x18
	s_load_dword s20, s[0:1], 0x50
	s_load_dwordx8 s[8:15], s[0:1], 0x58
	v_lshl_add_u64 v[8:9], s[6:7], 0, v[2:3]
	s_waitcnt lgkmcnt(0)
	s_mul_i32 s0, s19, s4
	s_mul_hi_u32 s1, s18, s4
	s_add_i32 s1, s1, s0
	s_mul_i32 s0, s18, s4
	s_lshl_b64 s[0:1], s[0:1], 2
	s_add_u32 s0, s14, s0
	v_cmp_neq_f32_e64 s[6:7], s20, 0
	v_lshl_add_u64 v[2:3], s[2:3], 0, v[4:5]
	s_addc_u32 s1, s15, s1
	s_and_b64 vcc, exec, s[6:7]
	v_mul_lo_u32 v4, v9, s16
	v_mul_lo_u32 v5, v8, s17
	v_lshlrev_b64 v[2:3], 2, v[2:3]
	s_cbranch_vccnz .LBB40_7
; %bb.4:
	v_mad_u64_u32 v[10:11], s[2:3], v8, s16, 0
	v_add3_u32 v11, v11, v5, v4
	v_lshl_add_u64 v[10:11], v[10:11], 2, s[0:1]
	v_mul_f32_e32 v14, s5, v7
	v_lshl_add_u64 v[12:13], v[10:11], 0, v[2:3]
	s_lshl_b64 s[2:3], s[16:17], 6
	global_store_dword v[12:13], v14, off
	v_mul_f32_e32 v14, s5, v6
	v_lshl_add_u64 v[10:11], v[10:11], 0, s[2:3]
	global_store_dword v[12:13], v14, off offset:64
	v_mul_f32_e32 v12, s5, v1
	v_lshl_add_u64 v[10:11], v[10:11], 0, v[2:3]
	global_store_dword v[10:11], v12, off
	v_mul_f32_e32 v12, s5, v0
	global_store_dword v[10:11], v12, off offset:64
	s_cbranch_execnz .LBB40_6
.LBB40_5:
	s_mul_i32 s2, s13, s4
	s_mul_hi_u32 s3, s12, s4
	s_add_i32 s3, s3, s2
	s_mul_i32 s2, s12, s4
	s_lshl_b64 s[2:3], s[2:3], 2
	s_add_u32 s2, s8, s2
	v_mul_lo_u32 v9, v9, s10
	v_mul_lo_u32 v12, v8, s11
	v_mad_u64_u32 v[10:11], s[6:7], v8, s10, 0
	s_addc_u32 s3, s9, s3
	v_add3_u32 v11, v11, v12, v9
	v_lshl_add_u64 v[10:11], v[10:11], 2, s[2:3]
	v_lshl_add_u64 v[12:13], v[10:11], 0, v[2:3]
	global_load_dword v14, v[12:13], off
	v_mad_u64_u32 v[8:9], s[2:3], v8, s16, 0
	v_add3_u32 v9, v9, v5, v4
	v_lshl_add_u64 v[4:5], v[8:9], 2, s[0:1]
	v_lshl_add_u64 v[8:9], v[4:5], 0, v[2:3]
	s_lshl_b64 s[0:1], s[10:11], 6
	v_lshl_add_u64 v[10:11], v[10:11], 0, s[0:1]
	v_lshl_add_u64 v[10:11], v[10:11], 0, v[2:3]
	s_lshl_b64 s[0:1], s[16:17], 6
	v_lshl_add_u64 v[4:5], v[4:5], 0, s[0:1]
	v_lshl_add_u64 v[2:3], v[4:5], 0, v[2:3]
	s_waitcnt vmcnt(0)
	v_mul_f32_e32 v14, s20, v14
	v_fmac_f32_e32 v14, s5, v7
	global_store_dword v[8:9], v14, off
	global_load_dword v7, v[12:13], off offset:64
	s_waitcnt vmcnt(0)
	v_mul_f32_e32 v7, s20, v7
	v_fmac_f32_e32 v7, s5, v6
	global_store_dword v[8:9], v7, off offset:64
	global_load_dword v6, v[10:11], off
	s_waitcnt vmcnt(0)
	v_mul_f32_e32 v6, s20, v6
	v_fmac_f32_e32 v6, s5, v1
	global_store_dword v[2:3], v6, off
	global_load_dword v1, v[10:11], off offset:64
	s_waitcnt vmcnt(0)
	v_mul_f32_e32 v1, s20, v1
	v_fmac_f32_e32 v1, s5, v0
	global_store_dword v[2:3], v1, off offset:64
.LBB40_6:
	s_endpgm
.LBB40_7:
	s_branch .LBB40_5
	.section	.rodata,"a",@progbits
	.p2align	6, 0x0
	.amdhsa_kernel _ZN12_GLOBAL__N_127rocblas_gemm_batched_kernelIfLi16ELi16ELi32ELi32ELi8ELi32ELi8ELi8ELi32ELc78ELc78EKfS1_fEEvlllT_PT11_llS4_llS2_PT12_llPT13_lli
		.amdhsa_group_segment_fixed_size 2048
		.amdhsa_private_segment_fixed_size 0
		.amdhsa_kernarg_size 140
		.amdhsa_user_sgpr_count 2
		.amdhsa_user_sgpr_dispatch_ptr 0
		.amdhsa_user_sgpr_queue_ptr 0
		.amdhsa_user_sgpr_kernarg_segment_ptr 1
		.amdhsa_user_sgpr_dispatch_id 0
		.amdhsa_user_sgpr_kernarg_preload_length 0
		.amdhsa_user_sgpr_kernarg_preload_offset 0
		.amdhsa_user_sgpr_private_segment_size 0
		.amdhsa_uses_dynamic_stack 0
		.amdhsa_enable_private_segment 0
		.amdhsa_system_sgpr_workgroup_id_x 1
		.amdhsa_system_sgpr_workgroup_id_y 1
		.amdhsa_system_sgpr_workgroup_id_z 1
		.amdhsa_system_sgpr_workgroup_info 0
		.amdhsa_system_vgpr_workitem_id 1
		.amdhsa_next_free_vgpr 52
		.amdhsa_next_free_sgpr 24
		.amdhsa_accum_offset 52
		.amdhsa_reserve_vcc 1
		.amdhsa_float_round_mode_32 0
		.amdhsa_float_round_mode_16_64 0
		.amdhsa_float_denorm_mode_32 3
		.amdhsa_float_denorm_mode_16_64 3
		.amdhsa_dx10_clamp 1
		.amdhsa_ieee_mode 1
		.amdhsa_fp16_overflow 0
		.amdhsa_tg_split 0
		.amdhsa_exception_fp_ieee_invalid_op 0
		.amdhsa_exception_fp_denorm_src 0
		.amdhsa_exception_fp_ieee_div_zero 0
		.amdhsa_exception_fp_ieee_overflow 0
		.amdhsa_exception_fp_ieee_underflow 0
		.amdhsa_exception_fp_ieee_inexact 0
		.amdhsa_exception_int_div_zero 0
	.end_amdhsa_kernel
	.section	.text._ZN12_GLOBAL__N_127rocblas_gemm_batched_kernelIfLi16ELi16ELi32ELi32ELi8ELi32ELi8ELi8ELi32ELc78ELc78EKfS1_fEEvlllT_PT11_llS4_llS2_PT12_llPT13_lli,"axG",@progbits,_ZN12_GLOBAL__N_127rocblas_gemm_batched_kernelIfLi16ELi16ELi32ELi32ELi8ELi32ELi8ELi8ELi32ELc78ELc78EKfS1_fEEvlllT_PT11_llS4_llS2_PT12_llPT13_lli,comdat
.Lfunc_end40:
	.size	_ZN12_GLOBAL__N_127rocblas_gemm_batched_kernelIfLi16ELi16ELi32ELi32ELi8ELi32ELi8ELi8ELi32ELc78ELc78EKfS1_fEEvlllT_PT11_llS4_llS2_PT12_llPT13_lli, .Lfunc_end40-_ZN12_GLOBAL__N_127rocblas_gemm_batched_kernelIfLi16ELi16ELi32ELi32ELi8ELi32ELi8ELi8ELi32ELc78ELc78EKfS1_fEEvlllT_PT11_llS4_llS2_PT12_llPT13_lli
                                        ; -- End function
	.set _ZN12_GLOBAL__N_127rocblas_gemm_batched_kernelIfLi16ELi16ELi32ELi32ELi8ELi32ELi8ELi8ELi32ELc78ELc78EKfS1_fEEvlllT_PT11_llS4_llS2_PT12_llPT13_lli.num_vgpr, 52
	.set _ZN12_GLOBAL__N_127rocblas_gemm_batched_kernelIfLi16ELi16ELi32ELi32ELi8ELi32ELi8ELi8ELi32ELc78ELc78EKfS1_fEEvlllT_PT11_llS4_llS2_PT12_llPT13_lli.num_agpr, 0
	.set _ZN12_GLOBAL__N_127rocblas_gemm_batched_kernelIfLi16ELi16ELi32ELi32ELi8ELi32ELi8ELi8ELi32ELc78ELc78EKfS1_fEEvlllT_PT11_llS4_llS2_PT12_llPT13_lli.numbered_sgpr, 24
	.set _ZN12_GLOBAL__N_127rocblas_gemm_batched_kernelIfLi16ELi16ELi32ELi32ELi8ELi32ELi8ELi8ELi32ELc78ELc78EKfS1_fEEvlllT_PT11_llS4_llS2_PT12_llPT13_lli.num_named_barrier, 0
	.set _ZN12_GLOBAL__N_127rocblas_gemm_batched_kernelIfLi16ELi16ELi32ELi32ELi8ELi32ELi8ELi8ELi32ELc78ELc78EKfS1_fEEvlllT_PT11_llS4_llS2_PT12_llPT13_lli.private_seg_size, 0
	.set _ZN12_GLOBAL__N_127rocblas_gemm_batched_kernelIfLi16ELi16ELi32ELi32ELi8ELi32ELi8ELi8ELi32ELc78ELc78EKfS1_fEEvlllT_PT11_llS4_llS2_PT12_llPT13_lli.uses_vcc, 1
	.set _ZN12_GLOBAL__N_127rocblas_gemm_batched_kernelIfLi16ELi16ELi32ELi32ELi8ELi32ELi8ELi8ELi32ELc78ELc78EKfS1_fEEvlllT_PT11_llS4_llS2_PT12_llPT13_lli.uses_flat_scratch, 0
	.set _ZN12_GLOBAL__N_127rocblas_gemm_batched_kernelIfLi16ELi16ELi32ELi32ELi8ELi32ELi8ELi8ELi32ELc78ELc78EKfS1_fEEvlllT_PT11_llS4_llS2_PT12_llPT13_lli.has_dyn_sized_stack, 0
	.set _ZN12_GLOBAL__N_127rocblas_gemm_batched_kernelIfLi16ELi16ELi32ELi32ELi8ELi32ELi8ELi8ELi32ELc78ELc78EKfS1_fEEvlllT_PT11_llS4_llS2_PT12_llPT13_lli.has_recursion, 0
	.set _ZN12_GLOBAL__N_127rocblas_gemm_batched_kernelIfLi16ELi16ELi32ELi32ELi8ELi32ELi8ELi8ELi32ELc78ELc78EKfS1_fEEvlllT_PT11_llS4_llS2_PT12_llPT13_lli.has_indirect_call, 0
	.section	.AMDGPU.csdata,"",@progbits
; Kernel info:
; codeLenInByte = 1292
; TotalNumSgprs: 30
; NumVgprs: 52
; NumAgprs: 0
; TotalNumVgprs: 52
; ScratchSize: 0
; MemoryBound: 0
; FloatMode: 240
; IeeeMode: 1
; LDSByteSize: 2048 bytes/workgroup (compile time only)
; SGPRBlocks: 3
; VGPRBlocks: 6
; NumSGPRsForWavesPerEU: 30
; NumVGPRsForWavesPerEU: 52
; AccumOffset: 52
; Occupancy: 8
; WaveLimiterHint : 0
; COMPUTE_PGM_RSRC2:SCRATCH_EN: 0
; COMPUTE_PGM_RSRC2:USER_SGPR: 2
; COMPUTE_PGM_RSRC2:TRAP_HANDLER: 0
; COMPUTE_PGM_RSRC2:TGID_X_EN: 1
; COMPUTE_PGM_RSRC2:TGID_Y_EN: 1
; COMPUTE_PGM_RSRC2:TGID_Z_EN: 1
; COMPUTE_PGM_RSRC2:TIDIG_COMP_CNT: 1
; COMPUTE_PGM_RSRC3_GFX90A:ACCUM_OFFSET: 12
; COMPUTE_PGM_RSRC3_GFX90A:TG_SPLIT: 0
	.section	.text._ZN12_GLOBAL__N_127rocblas_gemm_batched_kernelIfLi16ELi16ELi32ELi32ELi8ELi32ELi8ELi8ELi32ELc84ELc78EKfS1_fEEvlllT_PT11_llS4_llS2_PT12_llPT13_lli,"axG",@progbits,_ZN12_GLOBAL__N_127rocblas_gemm_batched_kernelIfLi16ELi16ELi32ELi32ELi8ELi32ELi8ELi8ELi32ELc84ELc78EKfS1_fEEvlllT_PT11_llS4_llS2_PT12_llPT13_lli,comdat
	.globl	_ZN12_GLOBAL__N_127rocblas_gemm_batched_kernelIfLi16ELi16ELi32ELi32ELi8ELi32ELi8ELi8ELi32ELc84ELc78EKfS1_fEEvlllT_PT11_llS4_llS2_PT12_llPT13_lli ; -- Begin function _ZN12_GLOBAL__N_127rocblas_gemm_batched_kernelIfLi16ELi16ELi32ELi32ELi8ELi32ELi8ELi8ELi32ELc84ELc78EKfS1_fEEvlllT_PT11_llS4_llS2_PT12_llPT13_lli
	.p2align	8
	.type	_ZN12_GLOBAL__N_127rocblas_gemm_batched_kernelIfLi16ELi16ELi32ELi32ELi8ELi32ELi8ELi8ELi32ELc84ELc78EKfS1_fEEvlllT_PT11_llS4_llS2_PT12_llPT13_lli,@function
_ZN12_GLOBAL__N_127rocblas_gemm_batched_kernelIfLi16ELi16ELi32ELi32ELi8ELi32ELi8ELi8ELi32ELc84ELc78EKfS1_fEEvlllT_PT11_llS4_llS2_PT12_llPT13_lli: ; @_ZN12_GLOBAL__N_127rocblas_gemm_batched_kernelIfLi16ELi16ELi32ELi32ELi8ELi32ELi8ELi8ELi32ELc84ELc78EKfS1_fEEvlllT_PT11_llS4_llS2_PT12_llPT13_lli
; %bb.0:
	s_load_dwordx2 s[16:17], s[0:1], 0x10
	s_mov_b32 s6, s3
	v_mov_b32_e32 v3, 0
	s_ashr_i32 s3, s2, 31
	s_ashr_i32 s7, s6, 31
	s_waitcnt lgkmcnt(0)
	v_cmp_lt_i64_e64 s[8:9], s[16:17], 1
	v_bfe_u32 v2, v0, 10, 10
	v_and_b32_e32 v4, 0x3ff, v0
	v_mov_b32_e32 v5, v3
	s_lshl_b64 s[2:3], s[2:3], 5
	s_lshl_b64 s[6:7], s[6:7], 5
	s_and_b64 vcc, exec, s[8:9]
	v_mov_b32_e32 v7, v3
	v_mov_b32_e32 v6, v3
	;; [unrolled: 1-line block ×4, first 2 shown]
	s_cbranch_vccnz .LBB41_3
; %bb.1:
	v_lshl_add_u32 v8, v2, 4, v4
	s_load_dwordx8 s[8:15], s[0:1], 0x20
	s_load_dwordx4 s[20:23], s[0:1], 0x40
	v_and_b32_e32 v10, 31, v8
	v_lshrrev_b32_e32 v0, 3, v8
	v_and_b32_e32 v9, 7, v4
	v_lshrrev_b32_e32 v12, 5, v8
	v_lshlrev_b32_e32 v8, 2, v10
	v_mov_b32_e32 v1, 0
	v_lshl_or_b32 v14, v12, 7, v8
	v_lshlrev_b32_e32 v8, 2, v9
	v_lshl_add_u64 v[6:7], v[0:1], 0, s[6:7]
	v_lshl_or_b32 v0, v0, 5, v8
	v_add_u32_e32 v15, 0x400, v0
	v_mov_b32_e32 v0, 0x400
	v_lshl_add_u32 v17, v2, 5, v0
	s_waitcnt lgkmcnt(0)
	v_mul_lo_u32 v0, s21, v6
	v_mul_lo_u32 v9, s20, v7
	v_mad_u64_u32 v[6:7], s[18:19], s20, v6, 0
	s_mul_i32 s5, s23, s4
	s_mul_hi_u32 s18, s22, s4
	s_add_i32 s19, s18, s5
	s_mul_i32 s18, s22, s4
	v_add3_u32 v7, v7, v9, v0
	s_lshl_b64 s[18:19], s[18:19], 2
	v_lshl_add_u64 v[6:7], v[6:7], 2, s[18:19]
	v_mov_b32_e32 v9, v1
	v_mov_b32_e32 v11, v1
	v_lshl_add_u64 v[6:7], v[6:7], 0, v[8:9]
	v_lshl_add_u64 v[8:9], s[14:15], 0, v[6:7]
	;; [unrolled: 1-line block ×3, first 2 shown]
	v_mul_lo_u32 v0, s11, v6
	v_mul_lo_u32 v10, s10, v7
	v_mad_u64_u32 v[6:7], s[10:11], s10, v6, 0
	s_mul_i32 s5, s13, s4
	s_mul_hi_u32 s10, s12, s4
	s_add_i32 s11, s10, s5
	s_mul_i32 s10, s12, s4
	v_add3_u32 v7, v7, v10, v0
	s_lshl_b64 s[10:11], s[10:11], 2
	v_lshl_add_u64 v[6:7], v[6:7], 2, s[10:11]
	v_lshlrev_b32_e32 v0, 2, v12
	v_lshl_add_u64 v[6:7], v[6:7], 0, v[0:1]
	v_lshlrev_b32_e32 v16, 2, v4
	v_lshl_add_u64 v[10:11], s[8:9], 0, v[6:7]
	s_mov_b64 s[8:9], 0
	v_mov_b64_e32 v[12:13], s[16:17]
	v_mov_b32_e32 v0, v1
	v_mov_b32_e32 v6, v1
	v_mov_b32_e32 v7, v1
.LBB41_2:                               ; =>This Inner Loop Header: Depth=1
	global_load_dword v18, v[10:11], off
	s_add_u32 s8, s8, 8
	s_addc_u32 s9, s9, 0
	v_cmp_lt_i64_e32 vcc, s[8:9], v[12:13]
	v_lshl_add_u64 v[10:11], v[10:11], 0, 32
	s_and_b64 vcc, exec, vcc
	s_waitcnt vmcnt(0)
	ds_write_b32 v14, v18
	global_load_dword v18, v[8:9], off
	v_lshl_add_u64 v[8:9], v[8:9], 0, 32
	s_waitcnt vmcnt(0)
	ds_write_b32 v15, v18
	s_waitcnt lgkmcnt(0)
	s_barrier
	ds_read_b128 v[18:21], v17
	ds_read_b128 v[22:25], v17 offset:16
	ds_read2_b32 v[36:37], v16 offset1:16
	ds_read_b128 v[26:29], v17 offset:512
	ds_read2_b32 v[38:39], v16 offset0:32 offset1:48
	ds_read2_b32 v[40:41], v16 offset0:64 offset1:80
	;; [unrolled: 1-line block ×4, first 2 shown]
	ds_read_b128 v[30:33], v17 offset:528
	ds_read2_b32 v[46:47], v16 offset0:160 offset1:176
	ds_read2_b32 v[48:49], v16 offset0:192 offset1:208
	;; [unrolled: 1-line block ×3, first 2 shown]
	s_waitcnt lgkmcnt(9)
	v_mov_b32_e32 v34, v37
	v_mov_b32_e32 v35, v36
	v_pk_fma_f32 v[6:7], v[34:35], v[18:19], v[6:7] op_sel_hi:[1,0,1]
	s_waitcnt lgkmcnt(7)
	v_mov_b32_e32 v36, v39
	v_mov_b32_e32 v37, v38
	v_pk_fma_f32 v[0:1], v[34:35], v[26:27], v[0:1] op_sel_hi:[1,0,1]
	v_pk_fma_f32 v[6:7], v[36:37], v[18:19], v[6:7] op_sel:[0,1,0]
	s_waitcnt lgkmcnt(6)
	v_mov_b32_e32 v18, v41
	v_mov_b32_e32 v19, v40
	v_pk_fma_f32 v[0:1], v[36:37], v[26:27], v[0:1] op_sel:[0,1,0]
	v_pk_fma_f32 v[6:7], v[18:19], v[20:21], v[6:7] op_sel_hi:[1,0,1]
	s_waitcnt lgkmcnt(5)
	v_mov_b32_e32 v38, v43
	v_mov_b32_e32 v39, v42
	;; [unrolled: 1-line block ×3, first 2 shown]
	v_pk_fma_f32 v[0:1], v[18:19], v[28:29], v[0:1] op_sel_hi:[1,0,1]
	v_mov_b32_e32 v18, v29
	v_pk_fma_f32 v[6:7], v[38:39], v[20:21], v[6:7] op_sel_hi:[1,0,1]
	s_waitcnt lgkmcnt(4)
	v_mov_b32_e32 v20, v45
	v_mov_b32_e32 v21, v44
	v_pk_fma_f32 v[0:1], v[38:39], v[18:19], v[0:1] op_sel_hi:[1,0,1]
	v_pk_fma_f32 v[6:7], v[20:21], v[22:23], v[6:7] op_sel_hi:[1,0,1]
	s_waitcnt lgkmcnt(2)
	v_mov_b32_e32 v40, v47
	v_mov_b32_e32 v41, v46
	v_pk_fma_f32 v[0:1], v[20:21], v[30:31], v[0:1] op_sel_hi:[1,0,1]
	v_pk_fma_f32 v[6:7], v[40:41], v[22:23], v[6:7] op_sel:[0,1,0]
	s_waitcnt lgkmcnt(1)
	v_mov_b32_e32 v22, v49
	v_mov_b32_e32 v23, v48
	v_pk_fma_f32 v[0:1], v[40:41], v[30:31], v[0:1] op_sel:[0,1,0]
	v_pk_fma_f32 v[6:7], v[22:23], v[24:25], v[6:7] op_sel_hi:[1,0,1]
	s_waitcnt lgkmcnt(0)
	v_mov_b32_e32 v42, v51
	v_mov_b32_e32 v43, v50
	;; [unrolled: 1-line block ×3, first 2 shown]
	v_pk_fma_f32 v[0:1], v[22:23], v[32:33], v[0:1] op_sel_hi:[1,0,1]
	v_mov_b32_e32 v18, v33
	v_pk_fma_f32 v[6:7], v[42:43], v[24:25], v[6:7] op_sel_hi:[1,0,1]
	v_pk_fma_f32 v[0:1], v[42:43], v[18:19], v[0:1] op_sel_hi:[1,0,1]
	s_barrier
	s_cbranch_vccnz .LBB41_2
.LBB41_3:
	s_load_dwordx4 s[16:19], s[0:1], 0x78
	s_load_dword s5, s[0:1], 0x18
	s_load_dword s20, s[0:1], 0x50
	s_load_dwordx8 s[8:15], s[0:1], 0x58
	v_lshl_add_u64 v[8:9], s[6:7], 0, v[2:3]
	s_waitcnt lgkmcnt(0)
	s_mul_i32 s0, s19, s4
	s_mul_hi_u32 s1, s18, s4
	s_add_i32 s1, s1, s0
	s_mul_i32 s0, s18, s4
	s_lshl_b64 s[0:1], s[0:1], 2
	s_add_u32 s0, s14, s0
	v_cmp_neq_f32_e64 s[6:7], s20, 0
	v_lshl_add_u64 v[2:3], s[2:3], 0, v[4:5]
	s_addc_u32 s1, s15, s1
	s_and_b64 vcc, exec, s[6:7]
	v_mul_lo_u32 v4, v9, s16
	v_mul_lo_u32 v5, v8, s17
	v_lshlrev_b64 v[2:3], 2, v[2:3]
	s_cbranch_vccnz .LBB41_7
; %bb.4:
	v_mad_u64_u32 v[10:11], s[2:3], v8, s16, 0
	v_add3_u32 v11, v11, v5, v4
	v_lshl_add_u64 v[10:11], v[10:11], 2, s[0:1]
	v_mul_f32_e32 v14, s5, v7
	v_lshl_add_u64 v[12:13], v[10:11], 0, v[2:3]
	s_lshl_b64 s[2:3], s[16:17], 6
	global_store_dword v[12:13], v14, off
	v_mul_f32_e32 v14, s5, v6
	v_lshl_add_u64 v[10:11], v[10:11], 0, s[2:3]
	global_store_dword v[12:13], v14, off offset:64
	v_mul_f32_e32 v12, s5, v1
	v_lshl_add_u64 v[10:11], v[10:11], 0, v[2:3]
	global_store_dword v[10:11], v12, off
	v_mul_f32_e32 v12, s5, v0
	global_store_dword v[10:11], v12, off offset:64
	s_cbranch_execnz .LBB41_6
.LBB41_5:
	s_mul_i32 s2, s13, s4
	s_mul_hi_u32 s3, s12, s4
	s_add_i32 s3, s3, s2
	s_mul_i32 s2, s12, s4
	s_lshl_b64 s[2:3], s[2:3], 2
	s_add_u32 s2, s8, s2
	v_mul_lo_u32 v9, v9, s10
	v_mul_lo_u32 v12, v8, s11
	v_mad_u64_u32 v[10:11], s[6:7], v8, s10, 0
	s_addc_u32 s3, s9, s3
	v_add3_u32 v11, v11, v12, v9
	v_lshl_add_u64 v[10:11], v[10:11], 2, s[2:3]
	v_lshl_add_u64 v[12:13], v[10:11], 0, v[2:3]
	global_load_dword v14, v[12:13], off
	v_mad_u64_u32 v[8:9], s[2:3], v8, s16, 0
	v_add3_u32 v9, v9, v5, v4
	v_lshl_add_u64 v[4:5], v[8:9], 2, s[0:1]
	v_lshl_add_u64 v[8:9], v[4:5], 0, v[2:3]
	s_lshl_b64 s[0:1], s[10:11], 6
	v_lshl_add_u64 v[10:11], v[10:11], 0, s[0:1]
	v_lshl_add_u64 v[10:11], v[10:11], 0, v[2:3]
	s_lshl_b64 s[0:1], s[16:17], 6
	v_lshl_add_u64 v[4:5], v[4:5], 0, s[0:1]
	v_lshl_add_u64 v[2:3], v[4:5], 0, v[2:3]
	s_waitcnt vmcnt(0)
	v_mul_f32_e32 v14, s20, v14
	v_fmac_f32_e32 v14, s5, v7
	global_store_dword v[8:9], v14, off
	global_load_dword v7, v[12:13], off offset:64
	s_waitcnt vmcnt(0)
	v_mul_f32_e32 v7, s20, v7
	v_fmac_f32_e32 v7, s5, v6
	global_store_dword v[8:9], v7, off offset:64
	global_load_dword v6, v[10:11], off
	s_waitcnt vmcnt(0)
	v_mul_f32_e32 v6, s20, v6
	v_fmac_f32_e32 v6, s5, v1
	global_store_dword v[2:3], v6, off
	global_load_dword v1, v[10:11], off offset:64
	s_waitcnt vmcnt(0)
	v_mul_f32_e32 v1, s20, v1
	v_fmac_f32_e32 v1, s5, v0
	global_store_dword v[2:3], v1, off offset:64
.LBB41_6:
	s_endpgm
.LBB41_7:
	s_branch .LBB41_5
	.section	.rodata,"a",@progbits
	.p2align	6, 0x0
	.amdhsa_kernel _ZN12_GLOBAL__N_127rocblas_gemm_batched_kernelIfLi16ELi16ELi32ELi32ELi8ELi32ELi8ELi8ELi32ELc84ELc78EKfS1_fEEvlllT_PT11_llS4_llS2_PT12_llPT13_lli
		.amdhsa_group_segment_fixed_size 2048
		.amdhsa_private_segment_fixed_size 0
		.amdhsa_kernarg_size 140
		.amdhsa_user_sgpr_count 2
		.amdhsa_user_sgpr_dispatch_ptr 0
		.amdhsa_user_sgpr_queue_ptr 0
		.amdhsa_user_sgpr_kernarg_segment_ptr 1
		.amdhsa_user_sgpr_dispatch_id 0
		.amdhsa_user_sgpr_kernarg_preload_length 0
		.amdhsa_user_sgpr_kernarg_preload_offset 0
		.amdhsa_user_sgpr_private_segment_size 0
		.amdhsa_uses_dynamic_stack 0
		.amdhsa_enable_private_segment 0
		.amdhsa_system_sgpr_workgroup_id_x 1
		.amdhsa_system_sgpr_workgroup_id_y 1
		.amdhsa_system_sgpr_workgroup_id_z 1
		.amdhsa_system_sgpr_workgroup_info 0
		.amdhsa_system_vgpr_workitem_id 1
		.amdhsa_next_free_vgpr 52
		.amdhsa_next_free_sgpr 24
		.amdhsa_accum_offset 52
		.amdhsa_reserve_vcc 1
		.amdhsa_float_round_mode_32 0
		.amdhsa_float_round_mode_16_64 0
		.amdhsa_float_denorm_mode_32 3
		.amdhsa_float_denorm_mode_16_64 3
		.amdhsa_dx10_clamp 1
		.amdhsa_ieee_mode 1
		.amdhsa_fp16_overflow 0
		.amdhsa_tg_split 0
		.amdhsa_exception_fp_ieee_invalid_op 0
		.amdhsa_exception_fp_denorm_src 0
		.amdhsa_exception_fp_ieee_div_zero 0
		.amdhsa_exception_fp_ieee_overflow 0
		.amdhsa_exception_fp_ieee_underflow 0
		.amdhsa_exception_fp_ieee_inexact 0
		.amdhsa_exception_int_div_zero 0
	.end_amdhsa_kernel
	.section	.text._ZN12_GLOBAL__N_127rocblas_gemm_batched_kernelIfLi16ELi16ELi32ELi32ELi8ELi32ELi8ELi8ELi32ELc84ELc78EKfS1_fEEvlllT_PT11_llS4_llS2_PT12_llPT13_lli,"axG",@progbits,_ZN12_GLOBAL__N_127rocblas_gemm_batched_kernelIfLi16ELi16ELi32ELi32ELi8ELi32ELi8ELi8ELi32ELc84ELc78EKfS1_fEEvlllT_PT11_llS4_llS2_PT12_llPT13_lli,comdat
.Lfunc_end41:
	.size	_ZN12_GLOBAL__N_127rocblas_gemm_batched_kernelIfLi16ELi16ELi32ELi32ELi8ELi32ELi8ELi8ELi32ELc84ELc78EKfS1_fEEvlllT_PT11_llS4_llS2_PT12_llPT13_lli, .Lfunc_end41-_ZN12_GLOBAL__N_127rocblas_gemm_batched_kernelIfLi16ELi16ELi32ELi32ELi8ELi32ELi8ELi8ELi32ELc84ELc78EKfS1_fEEvlllT_PT11_llS4_llS2_PT12_llPT13_lli
                                        ; -- End function
	.set _ZN12_GLOBAL__N_127rocblas_gemm_batched_kernelIfLi16ELi16ELi32ELi32ELi8ELi32ELi8ELi8ELi32ELc84ELc78EKfS1_fEEvlllT_PT11_llS4_llS2_PT12_llPT13_lli.num_vgpr, 52
	.set _ZN12_GLOBAL__N_127rocblas_gemm_batched_kernelIfLi16ELi16ELi32ELi32ELi8ELi32ELi8ELi8ELi32ELc84ELc78EKfS1_fEEvlllT_PT11_llS4_llS2_PT12_llPT13_lli.num_agpr, 0
	.set _ZN12_GLOBAL__N_127rocblas_gemm_batched_kernelIfLi16ELi16ELi32ELi32ELi8ELi32ELi8ELi8ELi32ELc84ELc78EKfS1_fEEvlllT_PT11_llS4_llS2_PT12_llPT13_lli.numbered_sgpr, 24
	.set _ZN12_GLOBAL__N_127rocblas_gemm_batched_kernelIfLi16ELi16ELi32ELi32ELi8ELi32ELi8ELi8ELi32ELc84ELc78EKfS1_fEEvlllT_PT11_llS4_llS2_PT12_llPT13_lli.num_named_barrier, 0
	.set _ZN12_GLOBAL__N_127rocblas_gemm_batched_kernelIfLi16ELi16ELi32ELi32ELi8ELi32ELi8ELi8ELi32ELc84ELc78EKfS1_fEEvlllT_PT11_llS4_llS2_PT12_llPT13_lli.private_seg_size, 0
	.set _ZN12_GLOBAL__N_127rocblas_gemm_batched_kernelIfLi16ELi16ELi32ELi32ELi8ELi32ELi8ELi8ELi32ELc84ELc78EKfS1_fEEvlllT_PT11_llS4_llS2_PT12_llPT13_lli.uses_vcc, 1
	.set _ZN12_GLOBAL__N_127rocblas_gemm_batched_kernelIfLi16ELi16ELi32ELi32ELi8ELi32ELi8ELi8ELi32ELc84ELc78EKfS1_fEEvlllT_PT11_llS4_llS2_PT12_llPT13_lli.uses_flat_scratch, 0
	.set _ZN12_GLOBAL__N_127rocblas_gemm_batched_kernelIfLi16ELi16ELi32ELi32ELi8ELi32ELi8ELi8ELi32ELc84ELc78EKfS1_fEEvlllT_PT11_llS4_llS2_PT12_llPT13_lli.has_dyn_sized_stack, 0
	.set _ZN12_GLOBAL__N_127rocblas_gemm_batched_kernelIfLi16ELi16ELi32ELi32ELi8ELi32ELi8ELi8ELi32ELc84ELc78EKfS1_fEEvlllT_PT11_llS4_llS2_PT12_llPT13_lli.has_recursion, 0
	.set _ZN12_GLOBAL__N_127rocblas_gemm_batched_kernelIfLi16ELi16ELi32ELi32ELi8ELi32ELi8ELi8ELi32ELc84ELc78EKfS1_fEEvlllT_PT11_llS4_llS2_PT12_llPT13_lli.has_indirect_call, 0
	.section	.AMDGPU.csdata,"",@progbits
; Kernel info:
; codeLenInByte = 1304
; TotalNumSgprs: 30
; NumVgprs: 52
; NumAgprs: 0
; TotalNumVgprs: 52
; ScratchSize: 0
; MemoryBound: 0
; FloatMode: 240
; IeeeMode: 1
; LDSByteSize: 2048 bytes/workgroup (compile time only)
; SGPRBlocks: 3
; VGPRBlocks: 6
; NumSGPRsForWavesPerEU: 30
; NumVGPRsForWavesPerEU: 52
; AccumOffset: 52
; Occupancy: 8
; WaveLimiterHint : 0
; COMPUTE_PGM_RSRC2:SCRATCH_EN: 0
; COMPUTE_PGM_RSRC2:USER_SGPR: 2
; COMPUTE_PGM_RSRC2:TRAP_HANDLER: 0
; COMPUTE_PGM_RSRC2:TGID_X_EN: 1
; COMPUTE_PGM_RSRC2:TGID_Y_EN: 1
; COMPUTE_PGM_RSRC2:TGID_Z_EN: 1
; COMPUTE_PGM_RSRC2:TIDIG_COMP_CNT: 1
; COMPUTE_PGM_RSRC3_GFX90A:ACCUM_OFFSET: 12
; COMPUTE_PGM_RSRC3_GFX90A:TG_SPLIT: 0
	.section	.text._ZN12_GLOBAL__N_127rocblas_gemm_batched_kernelIfLi16ELi16ELi32ELi32ELi8ELi32ELi8ELi8ELi32ELc78ELc84EKfS1_fEEvlllT_PT11_llS4_llS2_PT12_llPT13_lli,"axG",@progbits,_ZN12_GLOBAL__N_127rocblas_gemm_batched_kernelIfLi16ELi16ELi32ELi32ELi8ELi32ELi8ELi8ELi32ELc78ELc84EKfS1_fEEvlllT_PT11_llS4_llS2_PT12_llPT13_lli,comdat
	.globl	_ZN12_GLOBAL__N_127rocblas_gemm_batched_kernelIfLi16ELi16ELi32ELi32ELi8ELi32ELi8ELi8ELi32ELc78ELc84EKfS1_fEEvlllT_PT11_llS4_llS2_PT12_llPT13_lli ; -- Begin function _ZN12_GLOBAL__N_127rocblas_gemm_batched_kernelIfLi16ELi16ELi32ELi32ELi8ELi32ELi8ELi8ELi32ELc78ELc84EKfS1_fEEvlllT_PT11_llS4_llS2_PT12_llPT13_lli
	.p2align	8
	.type	_ZN12_GLOBAL__N_127rocblas_gemm_batched_kernelIfLi16ELi16ELi32ELi32ELi8ELi32ELi8ELi8ELi32ELc78ELc84EKfS1_fEEvlllT_PT11_llS4_llS2_PT12_llPT13_lli,@function
_ZN12_GLOBAL__N_127rocblas_gemm_batched_kernelIfLi16ELi16ELi32ELi32ELi8ELi32ELi8ELi8ELi32ELc78ELc84EKfS1_fEEvlllT_PT11_llS4_llS2_PT12_llPT13_lli: ; @_ZN12_GLOBAL__N_127rocblas_gemm_batched_kernelIfLi16ELi16ELi32ELi32ELi8ELi32ELi8ELi8ELi32ELc78ELc84EKfS1_fEEvlllT_PT11_llS4_llS2_PT12_llPT13_lli
; %bb.0:
	s_load_dwordx2 s[16:17], s[0:1], 0x10
	s_mov_b32 s6, s3
	v_mov_b32_e32 v3, 0
	s_ashr_i32 s3, s2, 31
	s_ashr_i32 s7, s6, 31
	s_waitcnt lgkmcnt(0)
	v_cmp_lt_i64_e64 s[8:9], s[16:17], 1
	v_bfe_u32 v2, v0, 10, 10
	v_and_b32_e32 v4, 0x3ff, v0
	v_mov_b32_e32 v5, v3
	s_lshl_b64 s[2:3], s[2:3], 5
	s_lshl_b64 s[6:7], s[6:7], 5
	s_and_b64 vcc, exec, s[8:9]
	v_mov_b32_e32 v7, v3
	v_mov_b32_e32 v6, v3
	;; [unrolled: 1-line block ×4, first 2 shown]
	s_cbranch_vccnz .LBB42_3
; %bb.1:
	s_load_dwordx8 s[8:15], s[0:1], 0x20
	s_load_dwordx4 s[20:23], s[0:1], 0x40
	v_lshl_add_u32 v8, v2, 4, v4
	v_and_b32_e32 v6, 31, v8
	v_lshrrev_b32_e32 v0, 3, v8
	v_and_b32_e32 v10, 7, v4
	v_lshrrev_b32_e32 v12, 5, v8
	v_lshlrev_b32_e32 v8, 2, v6
	v_lshl_or_b32 v14, v12, 7, v8
	v_lshlrev_b32_e32 v8, 2, v10
	v_lshl_or_b32 v8, v0, 5, v8
	v_mov_b32_e32 v1, 0
	v_add_u32_e32 v15, 0x400, v8
	v_mov_b32_e32 v8, 0x400
	s_waitcnt lgkmcnt(0)
	s_mul_i32 s5, s23, s4
	s_mul_hi_u32 s18, s22, s4
	v_lshl_add_u32 v17, v2, 5, v8
	s_add_i32 s19, s18, s5
	s_mul_i32 s18, s22, s4
	v_mad_u64_u32 v[8:9], s[22:23], s20, v10, v[0:1]
	v_mov_b32_e32 v0, v9
	s_lshl_b64 s[18:19], s[18:19], 2
	v_mad_u64_u32 v[10:11], s[22:23], s21, v10, v[0:1]
	v_mov_b32_e32 v9, v10
	s_add_u32 s14, s14, s18
	v_mov_b64_e32 v[10:11], s[2:3]
	s_addc_u32 s15, s15, s19
	s_mul_i32 s5, s13, s4
	s_mul_hi_u32 s13, s12, s4
	v_mad_u64_u32 v[10:11], s[18:19], s10, v12, v[10:11]
	v_lshl_add_u64 v[8:9], v[8:9], 0, s[6:7]
	s_add_i32 s13, s13, s5
	s_mul_i32 s12, s12, s4
	v_mov_b32_e32 v0, v11
	v_lshl_add_u64 v[8:9], v[8:9], 2, s[14:15]
	s_lshl_b64 s[14:15], s[20:21], 5
	s_lshl_b64 s[12:13], s[12:13], 2
	v_mad_u64_u32 v[12:13], s[18:19], s11, v12, v[0:1]
	v_mov_b32_e32 v7, v1
	v_mov_b32_e32 v11, v12
	s_add_u32 s8, s8, s12
	v_lshl_add_u64 v[6:7], v[10:11], 0, v[6:7]
	s_addc_u32 s9, s9, s13
	v_lshlrev_b32_e32 v16, 2, v4
	v_lshl_add_u64 v[10:11], v[6:7], 2, s[8:9]
	s_lshl_b64 s[8:9], s[10:11], 5
	s_mov_b64 s[10:11], 0
	v_mov_b64_e32 v[12:13], s[16:17]
	v_mov_b32_e32 v0, v1
	v_mov_b32_e32 v6, v1
	;; [unrolled: 1-line block ×3, first 2 shown]
.LBB42_2:                               ; =>This Inner Loop Header: Depth=1
	global_load_dword v18, v[10:11], off
	s_add_u32 s10, s10, 8
	s_addc_u32 s11, s11, 0
	v_cmp_lt_i64_e32 vcc, s[10:11], v[12:13]
	v_lshl_add_u64 v[10:11], v[10:11], 0, s[8:9]
	s_and_b64 vcc, exec, vcc
	s_waitcnt vmcnt(0)
	ds_write_b32 v14, v18
	global_load_dword v18, v[8:9], off
	v_lshl_add_u64 v[8:9], v[8:9], 0, s[14:15]
	s_waitcnt vmcnt(0)
	ds_write_b32 v15, v18
	s_waitcnt lgkmcnt(0)
	s_barrier
	ds_read_b128 v[18:21], v17
	ds_read_b128 v[22:25], v17 offset:16
	ds_read2_b32 v[36:37], v16 offset1:16
	ds_read_b128 v[26:29], v17 offset:512
	ds_read2_b32 v[38:39], v16 offset0:32 offset1:48
	ds_read2_b32 v[40:41], v16 offset0:64 offset1:80
	;; [unrolled: 1-line block ×4, first 2 shown]
	ds_read_b128 v[30:33], v17 offset:528
	ds_read2_b32 v[46:47], v16 offset0:160 offset1:176
	ds_read2_b32 v[48:49], v16 offset0:192 offset1:208
	;; [unrolled: 1-line block ×3, first 2 shown]
	s_waitcnt lgkmcnt(9)
	v_mov_b32_e32 v34, v37
	v_mov_b32_e32 v35, v36
	v_pk_fma_f32 v[6:7], v[34:35], v[18:19], v[6:7] op_sel_hi:[1,0,1]
	s_waitcnt lgkmcnt(7)
	v_mov_b32_e32 v36, v39
	v_mov_b32_e32 v37, v38
	v_pk_fma_f32 v[0:1], v[34:35], v[26:27], v[0:1] op_sel_hi:[1,0,1]
	v_pk_fma_f32 v[6:7], v[36:37], v[18:19], v[6:7] op_sel:[0,1,0]
	s_waitcnt lgkmcnt(6)
	v_mov_b32_e32 v18, v41
	v_mov_b32_e32 v19, v40
	v_pk_fma_f32 v[0:1], v[36:37], v[26:27], v[0:1] op_sel:[0,1,0]
	v_pk_fma_f32 v[6:7], v[18:19], v[20:21], v[6:7] op_sel_hi:[1,0,1]
	s_waitcnt lgkmcnt(5)
	v_mov_b32_e32 v38, v43
	v_mov_b32_e32 v39, v42
	;; [unrolled: 1-line block ×3, first 2 shown]
	v_pk_fma_f32 v[0:1], v[18:19], v[28:29], v[0:1] op_sel_hi:[1,0,1]
	v_mov_b32_e32 v18, v29
	v_pk_fma_f32 v[6:7], v[38:39], v[20:21], v[6:7] op_sel_hi:[1,0,1]
	s_waitcnt lgkmcnt(4)
	v_mov_b32_e32 v20, v45
	v_mov_b32_e32 v21, v44
	v_pk_fma_f32 v[0:1], v[38:39], v[18:19], v[0:1] op_sel_hi:[1,0,1]
	v_pk_fma_f32 v[6:7], v[20:21], v[22:23], v[6:7] op_sel_hi:[1,0,1]
	s_waitcnt lgkmcnt(2)
	v_mov_b32_e32 v40, v47
	v_mov_b32_e32 v41, v46
	v_pk_fma_f32 v[0:1], v[20:21], v[30:31], v[0:1] op_sel_hi:[1,0,1]
	v_pk_fma_f32 v[6:7], v[40:41], v[22:23], v[6:7] op_sel:[0,1,0]
	s_waitcnt lgkmcnt(1)
	v_mov_b32_e32 v22, v49
	v_mov_b32_e32 v23, v48
	v_pk_fma_f32 v[0:1], v[40:41], v[30:31], v[0:1] op_sel:[0,1,0]
	v_pk_fma_f32 v[6:7], v[22:23], v[24:25], v[6:7] op_sel_hi:[1,0,1]
	s_waitcnt lgkmcnt(0)
	v_mov_b32_e32 v42, v51
	v_mov_b32_e32 v43, v50
	;; [unrolled: 1-line block ×3, first 2 shown]
	v_pk_fma_f32 v[0:1], v[22:23], v[32:33], v[0:1] op_sel_hi:[1,0,1]
	v_mov_b32_e32 v18, v33
	v_pk_fma_f32 v[6:7], v[42:43], v[24:25], v[6:7] op_sel_hi:[1,0,1]
	v_pk_fma_f32 v[0:1], v[42:43], v[18:19], v[0:1] op_sel_hi:[1,0,1]
	s_barrier
	s_cbranch_vccnz .LBB42_2
.LBB42_3:
	s_load_dwordx4 s[16:19], s[0:1], 0x78
	s_load_dword s5, s[0:1], 0x18
	s_load_dword s20, s[0:1], 0x50
	s_load_dwordx8 s[8:15], s[0:1], 0x58
	v_lshl_add_u64 v[8:9], s[6:7], 0, v[2:3]
	s_waitcnt lgkmcnt(0)
	s_mul_i32 s0, s19, s4
	s_mul_hi_u32 s1, s18, s4
	s_add_i32 s1, s1, s0
	s_mul_i32 s0, s18, s4
	s_lshl_b64 s[0:1], s[0:1], 2
	s_add_u32 s0, s14, s0
	v_cmp_neq_f32_e64 s[6:7], s20, 0
	v_lshl_add_u64 v[2:3], s[2:3], 0, v[4:5]
	s_addc_u32 s1, s15, s1
	s_and_b64 vcc, exec, s[6:7]
	v_mul_lo_u32 v4, v9, s16
	v_mul_lo_u32 v5, v8, s17
	v_lshlrev_b64 v[2:3], 2, v[2:3]
	s_cbranch_vccnz .LBB42_7
; %bb.4:
	v_mad_u64_u32 v[10:11], s[2:3], v8, s16, 0
	v_add3_u32 v11, v11, v5, v4
	v_lshl_add_u64 v[10:11], v[10:11], 2, s[0:1]
	v_mul_f32_e32 v14, s5, v7
	v_lshl_add_u64 v[12:13], v[10:11], 0, v[2:3]
	s_lshl_b64 s[2:3], s[16:17], 6
	global_store_dword v[12:13], v14, off
	v_mul_f32_e32 v14, s5, v6
	v_lshl_add_u64 v[10:11], v[10:11], 0, s[2:3]
	global_store_dword v[12:13], v14, off offset:64
	v_mul_f32_e32 v12, s5, v1
	v_lshl_add_u64 v[10:11], v[10:11], 0, v[2:3]
	global_store_dword v[10:11], v12, off
	v_mul_f32_e32 v12, s5, v0
	global_store_dword v[10:11], v12, off offset:64
	s_cbranch_execnz .LBB42_6
.LBB42_5:
	s_mul_i32 s2, s13, s4
	s_mul_hi_u32 s3, s12, s4
	s_add_i32 s3, s3, s2
	s_mul_i32 s2, s12, s4
	s_lshl_b64 s[2:3], s[2:3], 2
	s_add_u32 s2, s8, s2
	v_mul_lo_u32 v9, v9, s10
	v_mul_lo_u32 v12, v8, s11
	v_mad_u64_u32 v[10:11], s[6:7], v8, s10, 0
	s_addc_u32 s3, s9, s3
	v_add3_u32 v11, v11, v12, v9
	v_lshl_add_u64 v[10:11], v[10:11], 2, s[2:3]
	v_lshl_add_u64 v[12:13], v[10:11], 0, v[2:3]
	global_load_dword v14, v[12:13], off
	v_mad_u64_u32 v[8:9], s[2:3], v8, s16, 0
	v_add3_u32 v9, v9, v5, v4
	v_lshl_add_u64 v[4:5], v[8:9], 2, s[0:1]
	v_lshl_add_u64 v[8:9], v[4:5], 0, v[2:3]
	s_lshl_b64 s[0:1], s[10:11], 6
	v_lshl_add_u64 v[10:11], v[10:11], 0, s[0:1]
	v_lshl_add_u64 v[10:11], v[10:11], 0, v[2:3]
	s_lshl_b64 s[0:1], s[16:17], 6
	v_lshl_add_u64 v[4:5], v[4:5], 0, s[0:1]
	v_lshl_add_u64 v[2:3], v[4:5], 0, v[2:3]
	s_waitcnt vmcnt(0)
	v_mul_f32_e32 v14, s20, v14
	v_fmac_f32_e32 v14, s5, v7
	global_store_dword v[8:9], v14, off
	global_load_dword v7, v[12:13], off offset:64
	s_waitcnt vmcnt(0)
	v_mul_f32_e32 v7, s20, v7
	v_fmac_f32_e32 v7, s5, v6
	global_store_dword v[8:9], v7, off offset:64
	global_load_dword v6, v[10:11], off
	s_waitcnt vmcnt(0)
	v_mul_f32_e32 v6, s20, v6
	v_fmac_f32_e32 v6, s5, v1
	global_store_dword v[2:3], v6, off
	global_load_dword v1, v[10:11], off offset:64
	s_waitcnt vmcnt(0)
	v_mul_f32_e32 v1, s20, v1
	v_fmac_f32_e32 v1, s5, v0
	global_store_dword v[2:3], v1, off offset:64
.LBB42_6:
	s_endpgm
.LBB42_7:
	s_branch .LBB42_5
	.section	.rodata,"a",@progbits
	.p2align	6, 0x0
	.amdhsa_kernel _ZN12_GLOBAL__N_127rocblas_gemm_batched_kernelIfLi16ELi16ELi32ELi32ELi8ELi32ELi8ELi8ELi32ELc78ELc84EKfS1_fEEvlllT_PT11_llS4_llS2_PT12_llPT13_lli
		.amdhsa_group_segment_fixed_size 2048
		.amdhsa_private_segment_fixed_size 0
		.amdhsa_kernarg_size 140
		.amdhsa_user_sgpr_count 2
		.amdhsa_user_sgpr_dispatch_ptr 0
		.amdhsa_user_sgpr_queue_ptr 0
		.amdhsa_user_sgpr_kernarg_segment_ptr 1
		.amdhsa_user_sgpr_dispatch_id 0
		.amdhsa_user_sgpr_kernarg_preload_length 0
		.amdhsa_user_sgpr_kernarg_preload_offset 0
		.amdhsa_user_sgpr_private_segment_size 0
		.amdhsa_uses_dynamic_stack 0
		.amdhsa_enable_private_segment 0
		.amdhsa_system_sgpr_workgroup_id_x 1
		.amdhsa_system_sgpr_workgroup_id_y 1
		.amdhsa_system_sgpr_workgroup_id_z 1
		.amdhsa_system_sgpr_workgroup_info 0
		.amdhsa_system_vgpr_workitem_id 1
		.amdhsa_next_free_vgpr 52
		.amdhsa_next_free_sgpr 24
		.amdhsa_accum_offset 52
		.amdhsa_reserve_vcc 1
		.amdhsa_float_round_mode_32 0
		.amdhsa_float_round_mode_16_64 0
		.amdhsa_float_denorm_mode_32 3
		.amdhsa_float_denorm_mode_16_64 3
		.amdhsa_dx10_clamp 1
		.amdhsa_ieee_mode 1
		.amdhsa_fp16_overflow 0
		.amdhsa_tg_split 0
		.amdhsa_exception_fp_ieee_invalid_op 0
		.amdhsa_exception_fp_denorm_src 0
		.amdhsa_exception_fp_ieee_div_zero 0
		.amdhsa_exception_fp_ieee_overflow 0
		.amdhsa_exception_fp_ieee_underflow 0
		.amdhsa_exception_fp_ieee_inexact 0
		.amdhsa_exception_int_div_zero 0
	.end_amdhsa_kernel
	.section	.text._ZN12_GLOBAL__N_127rocblas_gemm_batched_kernelIfLi16ELi16ELi32ELi32ELi8ELi32ELi8ELi8ELi32ELc78ELc84EKfS1_fEEvlllT_PT11_llS4_llS2_PT12_llPT13_lli,"axG",@progbits,_ZN12_GLOBAL__N_127rocblas_gemm_batched_kernelIfLi16ELi16ELi32ELi32ELi8ELi32ELi8ELi8ELi32ELc78ELc84EKfS1_fEEvlllT_PT11_llS4_llS2_PT12_llPT13_lli,comdat
.Lfunc_end42:
	.size	_ZN12_GLOBAL__N_127rocblas_gemm_batched_kernelIfLi16ELi16ELi32ELi32ELi8ELi32ELi8ELi8ELi32ELc78ELc84EKfS1_fEEvlllT_PT11_llS4_llS2_PT12_llPT13_lli, .Lfunc_end42-_ZN12_GLOBAL__N_127rocblas_gemm_batched_kernelIfLi16ELi16ELi32ELi32ELi8ELi32ELi8ELi8ELi32ELc78ELc84EKfS1_fEEvlllT_PT11_llS4_llS2_PT12_llPT13_lli
                                        ; -- End function
	.set _ZN12_GLOBAL__N_127rocblas_gemm_batched_kernelIfLi16ELi16ELi32ELi32ELi8ELi32ELi8ELi8ELi32ELc78ELc84EKfS1_fEEvlllT_PT11_llS4_llS2_PT12_llPT13_lli.num_vgpr, 52
	.set _ZN12_GLOBAL__N_127rocblas_gemm_batched_kernelIfLi16ELi16ELi32ELi32ELi8ELi32ELi8ELi8ELi32ELc78ELc84EKfS1_fEEvlllT_PT11_llS4_llS2_PT12_llPT13_lli.num_agpr, 0
	.set _ZN12_GLOBAL__N_127rocblas_gemm_batched_kernelIfLi16ELi16ELi32ELi32ELi8ELi32ELi8ELi8ELi32ELc78ELc84EKfS1_fEEvlllT_PT11_llS4_llS2_PT12_llPT13_lli.numbered_sgpr, 24
	.set _ZN12_GLOBAL__N_127rocblas_gemm_batched_kernelIfLi16ELi16ELi32ELi32ELi8ELi32ELi8ELi8ELi32ELc78ELc84EKfS1_fEEvlllT_PT11_llS4_llS2_PT12_llPT13_lli.num_named_barrier, 0
	.set _ZN12_GLOBAL__N_127rocblas_gemm_batched_kernelIfLi16ELi16ELi32ELi32ELi8ELi32ELi8ELi8ELi32ELc78ELc84EKfS1_fEEvlllT_PT11_llS4_llS2_PT12_llPT13_lli.private_seg_size, 0
	.set _ZN12_GLOBAL__N_127rocblas_gemm_batched_kernelIfLi16ELi16ELi32ELi32ELi8ELi32ELi8ELi8ELi32ELc78ELc84EKfS1_fEEvlllT_PT11_llS4_llS2_PT12_llPT13_lli.uses_vcc, 1
	.set _ZN12_GLOBAL__N_127rocblas_gemm_batched_kernelIfLi16ELi16ELi32ELi32ELi8ELi32ELi8ELi8ELi32ELc78ELc84EKfS1_fEEvlllT_PT11_llS4_llS2_PT12_llPT13_lli.uses_flat_scratch, 0
	.set _ZN12_GLOBAL__N_127rocblas_gemm_batched_kernelIfLi16ELi16ELi32ELi32ELi8ELi32ELi8ELi8ELi32ELc78ELc84EKfS1_fEEvlllT_PT11_llS4_llS2_PT12_llPT13_lli.has_dyn_sized_stack, 0
	.set _ZN12_GLOBAL__N_127rocblas_gemm_batched_kernelIfLi16ELi16ELi32ELi32ELi8ELi32ELi8ELi8ELi32ELc78ELc84EKfS1_fEEvlllT_PT11_llS4_llS2_PT12_llPT13_lli.has_recursion, 0
	.set _ZN12_GLOBAL__N_127rocblas_gemm_batched_kernelIfLi16ELi16ELi32ELi32ELi8ELi32ELi8ELi8ELi32ELc78ELc84EKfS1_fEEvlllT_PT11_llS4_llS2_PT12_llPT13_lli.has_indirect_call, 0
	.section	.AMDGPU.csdata,"",@progbits
; Kernel info:
; codeLenInByte = 1276
; TotalNumSgprs: 30
; NumVgprs: 52
; NumAgprs: 0
; TotalNumVgprs: 52
; ScratchSize: 0
; MemoryBound: 0
; FloatMode: 240
; IeeeMode: 1
; LDSByteSize: 2048 bytes/workgroup (compile time only)
; SGPRBlocks: 3
; VGPRBlocks: 6
; NumSGPRsForWavesPerEU: 30
; NumVGPRsForWavesPerEU: 52
; AccumOffset: 52
; Occupancy: 8
; WaveLimiterHint : 0
; COMPUTE_PGM_RSRC2:SCRATCH_EN: 0
; COMPUTE_PGM_RSRC2:USER_SGPR: 2
; COMPUTE_PGM_RSRC2:TRAP_HANDLER: 0
; COMPUTE_PGM_RSRC2:TGID_X_EN: 1
; COMPUTE_PGM_RSRC2:TGID_Y_EN: 1
; COMPUTE_PGM_RSRC2:TGID_Z_EN: 1
; COMPUTE_PGM_RSRC2:TIDIG_COMP_CNT: 1
; COMPUTE_PGM_RSRC3_GFX90A:ACCUM_OFFSET: 12
; COMPUTE_PGM_RSRC3_GFX90A:TG_SPLIT: 0
	.section	.text._ZN12_GLOBAL__N_127rocblas_gemm_batched_kernelIfLi16ELi16ELi32ELi32ELi8ELi32ELi8ELi8ELi32ELc84ELc84EKfS1_fEEvlllT_PT11_llS4_llS2_PT12_llPT13_lli,"axG",@progbits,_ZN12_GLOBAL__N_127rocblas_gemm_batched_kernelIfLi16ELi16ELi32ELi32ELi8ELi32ELi8ELi8ELi32ELc84ELc84EKfS1_fEEvlllT_PT11_llS4_llS2_PT12_llPT13_lli,comdat
	.globl	_ZN12_GLOBAL__N_127rocblas_gemm_batched_kernelIfLi16ELi16ELi32ELi32ELi8ELi32ELi8ELi8ELi32ELc84ELc84EKfS1_fEEvlllT_PT11_llS4_llS2_PT12_llPT13_lli ; -- Begin function _ZN12_GLOBAL__N_127rocblas_gemm_batched_kernelIfLi16ELi16ELi32ELi32ELi8ELi32ELi8ELi8ELi32ELc84ELc84EKfS1_fEEvlllT_PT11_llS4_llS2_PT12_llPT13_lli
	.p2align	8
	.type	_ZN12_GLOBAL__N_127rocblas_gemm_batched_kernelIfLi16ELi16ELi32ELi32ELi8ELi32ELi8ELi8ELi32ELc84ELc84EKfS1_fEEvlllT_PT11_llS4_llS2_PT12_llPT13_lli,@function
_ZN12_GLOBAL__N_127rocblas_gemm_batched_kernelIfLi16ELi16ELi32ELi32ELi8ELi32ELi8ELi8ELi32ELc84ELc84EKfS1_fEEvlllT_PT11_llS4_llS2_PT12_llPT13_lli: ; @_ZN12_GLOBAL__N_127rocblas_gemm_batched_kernelIfLi16ELi16ELi32ELi32ELi8ELi32ELi8ELi8ELi32ELc84ELc84EKfS1_fEEvlllT_PT11_llS4_llS2_PT12_llPT13_lli
; %bb.0:
	s_load_dwordx2 s[16:17], s[0:1], 0x10
	s_mov_b32 s6, s3
	v_mov_b32_e32 v3, 0
	s_ashr_i32 s3, s2, 31
	s_ashr_i32 s7, s6, 31
	s_waitcnt lgkmcnt(0)
	v_cmp_lt_i64_e64 s[8:9], s[16:17], 1
	v_bfe_u32 v2, v0, 10, 10
	v_and_b32_e32 v4, 0x3ff, v0
	v_mov_b32_e32 v5, v3
	s_lshl_b64 s[2:3], s[2:3], 5
	s_lshl_b64 s[6:7], s[6:7], 5
	s_and_b64 vcc, exec, s[8:9]
	v_mov_b32_e32 v7, v3
	v_mov_b32_e32 v6, v3
	;; [unrolled: 1-line block ×4, first 2 shown]
	s_cbranch_vccnz .LBB43_3
; %bb.1:
	s_load_dwordx8 s[8:15], s[0:1], 0x20
	s_load_dwordx4 s[20:23], s[0:1], 0x40
	v_lshl_add_u32 v8, v2, 4, v4
	v_and_b32_e32 v6, 31, v8
	v_lshrrev_b32_e32 v0, 3, v8
	v_and_b32_e32 v10, 7, v4
	v_lshrrev_b32_e32 v12, 5, v8
	v_lshlrev_b32_e32 v8, 2, v6
	v_lshl_or_b32 v14, v12, 7, v8
	v_lshlrev_b32_e32 v8, 2, v10
	v_lshl_or_b32 v8, v0, 5, v8
	v_mov_b32_e32 v1, 0
	v_add_u32_e32 v15, 0x400, v8
	v_mov_b32_e32 v8, 0x400
	s_waitcnt lgkmcnt(0)
	s_mul_i32 s5, s23, s4
	s_mul_hi_u32 s18, s22, s4
	v_lshl_add_u32 v17, v2, 5, v8
	s_add_i32 s19, s18, s5
	s_mul_i32 s18, s22, s4
	v_mad_u64_u32 v[8:9], s[22:23], s20, v10, v[0:1]
	v_mov_b32_e32 v7, v1
	v_mov_b32_e32 v0, v9
	v_mad_u64_u32 v[10:11], s[22:23], s21, v10, v[0:1]
	v_lshl_add_u64 v[6:7], s[2:3], 0, v[6:7]
	s_lshl_b64 s[18:19], s[18:19], 2
	v_mov_b32_e32 v9, v10
	v_mul_lo_u32 v0, s11, v6
	v_mul_lo_u32 v10, s10, v7
	v_mad_u64_u32 v[6:7], s[10:11], s10, v6, 0
	s_add_u32 s14, s14, s18
	s_mul_i32 s5, s13, s4
	s_mul_hi_u32 s10, s12, s4
	s_addc_u32 s15, s15, s19
	s_add_i32 s11, s10, s5
	s_mul_i32 s10, s12, s4
	v_add3_u32 v7, v7, v10, v0
	s_lshl_b64 s[10:11], s[10:11], 2
	v_lshl_add_u64 v[6:7], v[6:7], 2, s[10:11]
	v_lshlrev_b32_e32 v0, 2, v12
	v_lshl_add_u64 v[8:9], v[8:9], 0, s[6:7]
	v_lshl_add_u64 v[6:7], v[6:7], 0, v[0:1]
	v_lshlrev_b32_e32 v16, 2, v4
	v_lshl_add_u64 v[8:9], v[8:9], 2, s[14:15]
	s_lshl_b64 s[14:15], s[20:21], 5
	v_lshl_add_u64 v[10:11], s[8:9], 0, v[6:7]
	s_mov_b64 s[8:9], 0
	v_mov_b64_e32 v[12:13], s[16:17]
	v_mov_b32_e32 v0, v1
	v_mov_b32_e32 v6, v1
	;; [unrolled: 1-line block ×3, first 2 shown]
.LBB43_2:                               ; =>This Inner Loop Header: Depth=1
	global_load_dword v18, v[10:11], off
	s_add_u32 s8, s8, 8
	s_addc_u32 s9, s9, 0
	v_cmp_lt_i64_e32 vcc, s[8:9], v[12:13]
	v_lshl_add_u64 v[10:11], v[10:11], 0, 32
	s_and_b64 vcc, exec, vcc
	s_waitcnt vmcnt(0)
	ds_write_b32 v14, v18
	global_load_dword v18, v[8:9], off
	v_lshl_add_u64 v[8:9], v[8:9], 0, s[14:15]
	s_waitcnt vmcnt(0)
	ds_write_b32 v15, v18
	s_waitcnt lgkmcnt(0)
	s_barrier
	ds_read_b128 v[18:21], v17
	ds_read_b128 v[22:25], v17 offset:16
	ds_read2_b32 v[36:37], v16 offset1:16
	ds_read_b128 v[26:29], v17 offset:512
	ds_read2_b32 v[38:39], v16 offset0:32 offset1:48
	ds_read2_b32 v[40:41], v16 offset0:64 offset1:80
	;; [unrolled: 1-line block ×4, first 2 shown]
	ds_read_b128 v[30:33], v17 offset:528
	ds_read2_b32 v[46:47], v16 offset0:160 offset1:176
	ds_read2_b32 v[48:49], v16 offset0:192 offset1:208
	;; [unrolled: 1-line block ×3, first 2 shown]
	s_waitcnt lgkmcnt(9)
	v_mov_b32_e32 v34, v37
	v_mov_b32_e32 v35, v36
	v_pk_fma_f32 v[6:7], v[34:35], v[18:19], v[6:7] op_sel_hi:[1,0,1]
	s_waitcnt lgkmcnt(7)
	v_mov_b32_e32 v36, v39
	v_mov_b32_e32 v37, v38
	v_pk_fma_f32 v[0:1], v[34:35], v[26:27], v[0:1] op_sel_hi:[1,0,1]
	v_pk_fma_f32 v[6:7], v[36:37], v[18:19], v[6:7] op_sel:[0,1,0]
	s_waitcnt lgkmcnt(6)
	v_mov_b32_e32 v18, v41
	v_mov_b32_e32 v19, v40
	v_pk_fma_f32 v[0:1], v[36:37], v[26:27], v[0:1] op_sel:[0,1,0]
	v_pk_fma_f32 v[6:7], v[18:19], v[20:21], v[6:7] op_sel_hi:[1,0,1]
	s_waitcnt lgkmcnt(5)
	v_mov_b32_e32 v38, v43
	v_mov_b32_e32 v39, v42
	;; [unrolled: 1-line block ×3, first 2 shown]
	v_pk_fma_f32 v[0:1], v[18:19], v[28:29], v[0:1] op_sel_hi:[1,0,1]
	v_mov_b32_e32 v18, v29
	v_pk_fma_f32 v[6:7], v[38:39], v[20:21], v[6:7] op_sel_hi:[1,0,1]
	s_waitcnt lgkmcnt(4)
	v_mov_b32_e32 v20, v45
	v_mov_b32_e32 v21, v44
	v_pk_fma_f32 v[0:1], v[38:39], v[18:19], v[0:1] op_sel_hi:[1,0,1]
	v_pk_fma_f32 v[6:7], v[20:21], v[22:23], v[6:7] op_sel_hi:[1,0,1]
	s_waitcnt lgkmcnt(2)
	v_mov_b32_e32 v40, v47
	v_mov_b32_e32 v41, v46
	v_pk_fma_f32 v[0:1], v[20:21], v[30:31], v[0:1] op_sel_hi:[1,0,1]
	v_pk_fma_f32 v[6:7], v[40:41], v[22:23], v[6:7] op_sel:[0,1,0]
	s_waitcnt lgkmcnt(1)
	v_mov_b32_e32 v22, v49
	v_mov_b32_e32 v23, v48
	v_pk_fma_f32 v[0:1], v[40:41], v[30:31], v[0:1] op_sel:[0,1,0]
	v_pk_fma_f32 v[6:7], v[22:23], v[24:25], v[6:7] op_sel_hi:[1,0,1]
	s_waitcnt lgkmcnt(0)
	v_mov_b32_e32 v42, v51
	v_mov_b32_e32 v43, v50
	;; [unrolled: 1-line block ×3, first 2 shown]
	v_pk_fma_f32 v[0:1], v[22:23], v[32:33], v[0:1] op_sel_hi:[1,0,1]
	v_mov_b32_e32 v18, v33
	v_pk_fma_f32 v[6:7], v[42:43], v[24:25], v[6:7] op_sel_hi:[1,0,1]
	v_pk_fma_f32 v[0:1], v[42:43], v[18:19], v[0:1] op_sel_hi:[1,0,1]
	s_barrier
	s_cbranch_vccnz .LBB43_2
.LBB43_3:
	s_load_dwordx4 s[16:19], s[0:1], 0x78
	s_load_dword s5, s[0:1], 0x18
	s_load_dword s20, s[0:1], 0x50
	s_load_dwordx8 s[8:15], s[0:1], 0x58
	v_lshl_add_u64 v[8:9], s[6:7], 0, v[2:3]
	s_waitcnt lgkmcnt(0)
	s_mul_i32 s0, s19, s4
	s_mul_hi_u32 s1, s18, s4
	s_add_i32 s1, s1, s0
	s_mul_i32 s0, s18, s4
	s_lshl_b64 s[0:1], s[0:1], 2
	s_add_u32 s0, s14, s0
	v_cmp_neq_f32_e64 s[6:7], s20, 0
	v_lshl_add_u64 v[2:3], s[2:3], 0, v[4:5]
	s_addc_u32 s1, s15, s1
	s_and_b64 vcc, exec, s[6:7]
	v_mul_lo_u32 v4, v9, s16
	v_mul_lo_u32 v5, v8, s17
	v_lshlrev_b64 v[2:3], 2, v[2:3]
	s_cbranch_vccnz .LBB43_7
; %bb.4:
	v_mad_u64_u32 v[10:11], s[2:3], v8, s16, 0
	v_add3_u32 v11, v11, v5, v4
	v_lshl_add_u64 v[10:11], v[10:11], 2, s[0:1]
	v_mul_f32_e32 v14, s5, v7
	v_lshl_add_u64 v[12:13], v[10:11], 0, v[2:3]
	s_lshl_b64 s[2:3], s[16:17], 6
	global_store_dword v[12:13], v14, off
	v_mul_f32_e32 v14, s5, v6
	v_lshl_add_u64 v[10:11], v[10:11], 0, s[2:3]
	global_store_dword v[12:13], v14, off offset:64
	v_mul_f32_e32 v12, s5, v1
	v_lshl_add_u64 v[10:11], v[10:11], 0, v[2:3]
	global_store_dword v[10:11], v12, off
	v_mul_f32_e32 v12, s5, v0
	global_store_dword v[10:11], v12, off offset:64
	s_cbranch_execnz .LBB43_6
.LBB43_5:
	s_mul_i32 s2, s13, s4
	s_mul_hi_u32 s3, s12, s4
	s_add_i32 s3, s3, s2
	s_mul_i32 s2, s12, s4
	s_lshl_b64 s[2:3], s[2:3], 2
	s_add_u32 s2, s8, s2
	v_mul_lo_u32 v9, v9, s10
	v_mul_lo_u32 v12, v8, s11
	v_mad_u64_u32 v[10:11], s[6:7], v8, s10, 0
	s_addc_u32 s3, s9, s3
	v_add3_u32 v11, v11, v12, v9
	v_lshl_add_u64 v[10:11], v[10:11], 2, s[2:3]
	v_lshl_add_u64 v[12:13], v[10:11], 0, v[2:3]
	global_load_dword v14, v[12:13], off
	v_mad_u64_u32 v[8:9], s[2:3], v8, s16, 0
	v_add3_u32 v9, v9, v5, v4
	v_lshl_add_u64 v[4:5], v[8:9], 2, s[0:1]
	v_lshl_add_u64 v[8:9], v[4:5], 0, v[2:3]
	s_lshl_b64 s[0:1], s[10:11], 6
	v_lshl_add_u64 v[10:11], v[10:11], 0, s[0:1]
	v_lshl_add_u64 v[10:11], v[10:11], 0, v[2:3]
	s_lshl_b64 s[0:1], s[16:17], 6
	v_lshl_add_u64 v[4:5], v[4:5], 0, s[0:1]
	v_lshl_add_u64 v[2:3], v[4:5], 0, v[2:3]
	s_waitcnt vmcnt(0)
	v_mul_f32_e32 v14, s20, v14
	v_fmac_f32_e32 v14, s5, v7
	global_store_dword v[8:9], v14, off
	global_load_dword v7, v[12:13], off offset:64
	s_waitcnt vmcnt(0)
	v_mul_f32_e32 v7, s20, v7
	v_fmac_f32_e32 v7, s5, v6
	global_store_dword v[8:9], v7, off offset:64
	global_load_dword v6, v[10:11], off
	s_waitcnt vmcnt(0)
	v_mul_f32_e32 v6, s20, v6
	v_fmac_f32_e32 v6, s5, v1
	global_store_dword v[2:3], v6, off
	global_load_dword v1, v[10:11], off offset:64
	s_waitcnt vmcnt(0)
	v_mul_f32_e32 v1, s20, v1
	v_fmac_f32_e32 v1, s5, v0
	global_store_dword v[2:3], v1, off offset:64
.LBB43_6:
	s_endpgm
.LBB43_7:
	s_branch .LBB43_5
	.section	.rodata,"a",@progbits
	.p2align	6, 0x0
	.amdhsa_kernel _ZN12_GLOBAL__N_127rocblas_gemm_batched_kernelIfLi16ELi16ELi32ELi32ELi8ELi32ELi8ELi8ELi32ELc84ELc84EKfS1_fEEvlllT_PT11_llS4_llS2_PT12_llPT13_lli
		.amdhsa_group_segment_fixed_size 2048
		.amdhsa_private_segment_fixed_size 0
		.amdhsa_kernarg_size 140
		.amdhsa_user_sgpr_count 2
		.amdhsa_user_sgpr_dispatch_ptr 0
		.amdhsa_user_sgpr_queue_ptr 0
		.amdhsa_user_sgpr_kernarg_segment_ptr 1
		.amdhsa_user_sgpr_dispatch_id 0
		.amdhsa_user_sgpr_kernarg_preload_length 0
		.amdhsa_user_sgpr_kernarg_preload_offset 0
		.amdhsa_user_sgpr_private_segment_size 0
		.amdhsa_uses_dynamic_stack 0
		.amdhsa_enable_private_segment 0
		.amdhsa_system_sgpr_workgroup_id_x 1
		.amdhsa_system_sgpr_workgroup_id_y 1
		.amdhsa_system_sgpr_workgroup_id_z 1
		.amdhsa_system_sgpr_workgroup_info 0
		.amdhsa_system_vgpr_workitem_id 1
		.amdhsa_next_free_vgpr 52
		.amdhsa_next_free_sgpr 24
		.amdhsa_accum_offset 52
		.amdhsa_reserve_vcc 1
		.amdhsa_float_round_mode_32 0
		.amdhsa_float_round_mode_16_64 0
		.amdhsa_float_denorm_mode_32 3
		.amdhsa_float_denorm_mode_16_64 3
		.amdhsa_dx10_clamp 1
		.amdhsa_ieee_mode 1
		.amdhsa_fp16_overflow 0
		.amdhsa_tg_split 0
		.amdhsa_exception_fp_ieee_invalid_op 0
		.amdhsa_exception_fp_denorm_src 0
		.amdhsa_exception_fp_ieee_div_zero 0
		.amdhsa_exception_fp_ieee_overflow 0
		.amdhsa_exception_fp_ieee_underflow 0
		.amdhsa_exception_fp_ieee_inexact 0
		.amdhsa_exception_int_div_zero 0
	.end_amdhsa_kernel
	.section	.text._ZN12_GLOBAL__N_127rocblas_gemm_batched_kernelIfLi16ELi16ELi32ELi32ELi8ELi32ELi8ELi8ELi32ELc84ELc84EKfS1_fEEvlllT_PT11_llS4_llS2_PT12_llPT13_lli,"axG",@progbits,_ZN12_GLOBAL__N_127rocblas_gemm_batched_kernelIfLi16ELi16ELi32ELi32ELi8ELi32ELi8ELi8ELi32ELc84ELc84EKfS1_fEEvlllT_PT11_llS4_llS2_PT12_llPT13_lli,comdat
.Lfunc_end43:
	.size	_ZN12_GLOBAL__N_127rocblas_gemm_batched_kernelIfLi16ELi16ELi32ELi32ELi8ELi32ELi8ELi8ELi32ELc84ELc84EKfS1_fEEvlllT_PT11_llS4_llS2_PT12_llPT13_lli, .Lfunc_end43-_ZN12_GLOBAL__N_127rocblas_gemm_batched_kernelIfLi16ELi16ELi32ELi32ELi8ELi32ELi8ELi8ELi32ELc84ELc84EKfS1_fEEvlllT_PT11_llS4_llS2_PT12_llPT13_lli
                                        ; -- End function
	.set _ZN12_GLOBAL__N_127rocblas_gemm_batched_kernelIfLi16ELi16ELi32ELi32ELi8ELi32ELi8ELi8ELi32ELc84ELc84EKfS1_fEEvlllT_PT11_llS4_llS2_PT12_llPT13_lli.num_vgpr, 52
	.set _ZN12_GLOBAL__N_127rocblas_gemm_batched_kernelIfLi16ELi16ELi32ELi32ELi8ELi32ELi8ELi8ELi32ELc84ELc84EKfS1_fEEvlllT_PT11_llS4_llS2_PT12_llPT13_lli.num_agpr, 0
	.set _ZN12_GLOBAL__N_127rocblas_gemm_batched_kernelIfLi16ELi16ELi32ELi32ELi8ELi32ELi8ELi8ELi32ELc84ELc84EKfS1_fEEvlllT_PT11_llS4_llS2_PT12_llPT13_lli.numbered_sgpr, 24
	.set _ZN12_GLOBAL__N_127rocblas_gemm_batched_kernelIfLi16ELi16ELi32ELi32ELi8ELi32ELi8ELi8ELi32ELc84ELc84EKfS1_fEEvlllT_PT11_llS4_llS2_PT12_llPT13_lli.num_named_barrier, 0
	.set _ZN12_GLOBAL__N_127rocblas_gemm_batched_kernelIfLi16ELi16ELi32ELi32ELi8ELi32ELi8ELi8ELi32ELc84ELc84EKfS1_fEEvlllT_PT11_llS4_llS2_PT12_llPT13_lli.private_seg_size, 0
	.set _ZN12_GLOBAL__N_127rocblas_gemm_batched_kernelIfLi16ELi16ELi32ELi32ELi8ELi32ELi8ELi8ELi32ELc84ELc84EKfS1_fEEvlllT_PT11_llS4_llS2_PT12_llPT13_lli.uses_vcc, 1
	.set _ZN12_GLOBAL__N_127rocblas_gemm_batched_kernelIfLi16ELi16ELi32ELi32ELi8ELi32ELi8ELi8ELi32ELc84ELc84EKfS1_fEEvlllT_PT11_llS4_llS2_PT12_llPT13_lli.uses_flat_scratch, 0
	.set _ZN12_GLOBAL__N_127rocblas_gemm_batched_kernelIfLi16ELi16ELi32ELi32ELi8ELi32ELi8ELi8ELi32ELc84ELc84EKfS1_fEEvlllT_PT11_llS4_llS2_PT12_llPT13_lli.has_dyn_sized_stack, 0
	.set _ZN12_GLOBAL__N_127rocblas_gemm_batched_kernelIfLi16ELi16ELi32ELi32ELi8ELi32ELi8ELi8ELi32ELc84ELc84EKfS1_fEEvlllT_PT11_llS4_llS2_PT12_llPT13_lli.has_recursion, 0
	.set _ZN12_GLOBAL__N_127rocblas_gemm_batched_kernelIfLi16ELi16ELi32ELi32ELi8ELi32ELi8ELi8ELi32ELc84ELc84EKfS1_fEEvlllT_PT11_llS4_llS2_PT12_llPT13_lli.has_indirect_call, 0
	.section	.AMDGPU.csdata,"",@progbits
; Kernel info:
; codeLenInByte = 1288
; TotalNumSgprs: 30
; NumVgprs: 52
; NumAgprs: 0
; TotalNumVgprs: 52
; ScratchSize: 0
; MemoryBound: 0
; FloatMode: 240
; IeeeMode: 1
; LDSByteSize: 2048 bytes/workgroup (compile time only)
; SGPRBlocks: 3
; VGPRBlocks: 6
; NumSGPRsForWavesPerEU: 30
; NumVGPRsForWavesPerEU: 52
; AccumOffset: 52
; Occupancy: 8
; WaveLimiterHint : 0
; COMPUTE_PGM_RSRC2:SCRATCH_EN: 0
; COMPUTE_PGM_RSRC2:USER_SGPR: 2
; COMPUTE_PGM_RSRC2:TRAP_HANDLER: 0
; COMPUTE_PGM_RSRC2:TGID_X_EN: 1
; COMPUTE_PGM_RSRC2:TGID_Y_EN: 1
; COMPUTE_PGM_RSRC2:TGID_Z_EN: 1
; COMPUTE_PGM_RSRC2:TIDIG_COMP_CNT: 1
; COMPUTE_PGM_RSRC3_GFX90A:ACCUM_OFFSET: 12
; COMPUTE_PGM_RSRC3_GFX90A:TG_SPLIT: 0
	.section	.text._ZN12_GLOBAL__N_127rocblas_gemm_batched_kernelIfLi16ELi16ELi32ELi32ELi8ELi32ELi8ELi8ELi32ELc67ELc67EKfS1_fEEvlllT_PT11_llS4_llS2_PT12_llPT13_lli,"axG",@progbits,_ZN12_GLOBAL__N_127rocblas_gemm_batched_kernelIfLi16ELi16ELi32ELi32ELi8ELi32ELi8ELi8ELi32ELc67ELc67EKfS1_fEEvlllT_PT11_llS4_llS2_PT12_llPT13_lli,comdat
	.globl	_ZN12_GLOBAL__N_127rocblas_gemm_batched_kernelIfLi16ELi16ELi32ELi32ELi8ELi32ELi8ELi8ELi32ELc67ELc67EKfS1_fEEvlllT_PT11_llS4_llS2_PT12_llPT13_lli ; -- Begin function _ZN12_GLOBAL__N_127rocblas_gemm_batched_kernelIfLi16ELi16ELi32ELi32ELi8ELi32ELi8ELi8ELi32ELc67ELc67EKfS1_fEEvlllT_PT11_llS4_llS2_PT12_llPT13_lli
	.p2align	8
	.type	_ZN12_GLOBAL__N_127rocblas_gemm_batched_kernelIfLi16ELi16ELi32ELi32ELi8ELi32ELi8ELi8ELi32ELc67ELc67EKfS1_fEEvlllT_PT11_llS4_llS2_PT12_llPT13_lli,@function
_ZN12_GLOBAL__N_127rocblas_gemm_batched_kernelIfLi16ELi16ELi32ELi32ELi8ELi32ELi8ELi8ELi32ELc67ELc67EKfS1_fEEvlllT_PT11_llS4_llS2_PT12_llPT13_lli: ; @_ZN12_GLOBAL__N_127rocblas_gemm_batched_kernelIfLi16ELi16ELi32ELi32ELi8ELi32ELi8ELi8ELi32ELc67ELc67EKfS1_fEEvlllT_PT11_llS4_llS2_PT12_llPT13_lli
; %bb.0:
	s_load_dwordx2 s[16:17], s[0:1], 0x10
	s_mov_b32 s6, s3
	v_mov_b32_e32 v3, 0
	s_ashr_i32 s3, s2, 31
	s_ashr_i32 s7, s6, 31
	s_waitcnt lgkmcnt(0)
	v_cmp_lt_i64_e64 s[8:9], s[16:17], 1
	v_bfe_u32 v2, v0, 10, 10
	v_and_b32_e32 v4, 0x3ff, v0
	v_mov_b32_e32 v5, v3
	s_lshl_b64 s[2:3], s[2:3], 5
	s_lshl_b64 s[6:7], s[6:7], 5
	s_and_b64 vcc, exec, s[8:9]
	v_mov_b32_e32 v7, v3
	v_mov_b32_e32 v6, v3
	;; [unrolled: 1-line block ×4, first 2 shown]
	s_cbranch_vccnz .LBB44_3
; %bb.1:
	s_load_dwordx8 s[8:15], s[0:1], 0x20
	s_load_dwordx4 s[20:23], s[0:1], 0x40
	v_lshl_add_u32 v8, v2, 4, v4
	v_and_b32_e32 v6, 31, v8
	v_lshrrev_b32_e32 v0, 3, v8
	v_and_b32_e32 v10, 7, v4
	v_lshrrev_b32_e32 v12, 5, v8
	v_lshlrev_b32_e32 v8, 2, v6
	v_lshl_or_b32 v14, v12, 7, v8
	v_lshlrev_b32_e32 v8, 2, v10
	v_lshl_or_b32 v8, v0, 5, v8
	v_mov_b32_e32 v1, 0
	v_add_u32_e32 v15, 0x400, v8
	v_mov_b32_e32 v8, 0x400
	s_waitcnt lgkmcnt(0)
	s_mul_i32 s5, s23, s4
	s_mul_hi_u32 s18, s22, s4
	v_lshl_add_u32 v17, v2, 5, v8
	s_add_i32 s19, s18, s5
	s_mul_i32 s18, s22, s4
	v_mad_u64_u32 v[8:9], s[22:23], s20, v10, v[0:1]
	v_mov_b32_e32 v7, v1
	v_mov_b32_e32 v0, v9
	v_mad_u64_u32 v[10:11], s[22:23], s21, v10, v[0:1]
	v_lshl_add_u64 v[6:7], s[2:3], 0, v[6:7]
	s_lshl_b64 s[18:19], s[18:19], 2
	v_mov_b32_e32 v9, v10
	v_mul_lo_u32 v0, s11, v6
	v_mul_lo_u32 v10, s10, v7
	v_mad_u64_u32 v[6:7], s[10:11], s10, v6, 0
	s_add_u32 s14, s14, s18
	s_mul_i32 s5, s13, s4
	s_mul_hi_u32 s10, s12, s4
	s_addc_u32 s15, s15, s19
	s_add_i32 s11, s10, s5
	s_mul_i32 s10, s12, s4
	v_add3_u32 v7, v7, v10, v0
	s_lshl_b64 s[10:11], s[10:11], 2
	v_lshl_add_u64 v[6:7], v[6:7], 2, s[10:11]
	v_lshlrev_b32_e32 v0, 2, v12
	v_lshl_add_u64 v[8:9], v[8:9], 0, s[6:7]
	v_lshl_add_u64 v[6:7], v[6:7], 0, v[0:1]
	v_lshlrev_b32_e32 v16, 2, v4
	v_lshl_add_u64 v[8:9], v[8:9], 2, s[14:15]
	s_lshl_b64 s[14:15], s[20:21], 5
	v_lshl_add_u64 v[10:11], s[8:9], 0, v[6:7]
	s_mov_b64 s[8:9], 0
	v_mov_b64_e32 v[12:13], s[16:17]
	v_mov_b32_e32 v0, v1
	v_mov_b32_e32 v6, v1
	;; [unrolled: 1-line block ×3, first 2 shown]
.LBB44_2:                               ; =>This Inner Loop Header: Depth=1
	global_load_dword v18, v[10:11], off
	s_add_u32 s8, s8, 8
	s_addc_u32 s9, s9, 0
	v_cmp_lt_i64_e32 vcc, s[8:9], v[12:13]
	v_lshl_add_u64 v[10:11], v[10:11], 0, 32
	s_and_b64 vcc, exec, vcc
	s_waitcnt vmcnt(0)
	ds_write_b32 v14, v18
	global_load_dword v18, v[8:9], off
	v_lshl_add_u64 v[8:9], v[8:9], 0, s[14:15]
	s_waitcnt vmcnt(0)
	ds_write_b32 v15, v18
	s_waitcnt lgkmcnt(0)
	s_barrier
	ds_read_b128 v[18:21], v17
	ds_read_b128 v[22:25], v17 offset:16
	ds_read2_b32 v[36:37], v16 offset1:16
	ds_read_b128 v[26:29], v17 offset:512
	ds_read2_b32 v[38:39], v16 offset0:32 offset1:48
	ds_read2_b32 v[40:41], v16 offset0:64 offset1:80
	;; [unrolled: 1-line block ×4, first 2 shown]
	ds_read_b128 v[30:33], v17 offset:528
	ds_read2_b32 v[46:47], v16 offset0:160 offset1:176
	ds_read2_b32 v[48:49], v16 offset0:192 offset1:208
	;; [unrolled: 1-line block ×3, first 2 shown]
	s_waitcnt lgkmcnt(9)
	v_mov_b32_e32 v34, v37
	v_mov_b32_e32 v35, v36
	v_pk_fma_f32 v[6:7], v[34:35], v[18:19], v[6:7] op_sel_hi:[1,0,1]
	s_waitcnt lgkmcnt(7)
	v_mov_b32_e32 v36, v39
	v_mov_b32_e32 v37, v38
	v_pk_fma_f32 v[0:1], v[34:35], v[26:27], v[0:1] op_sel_hi:[1,0,1]
	v_pk_fma_f32 v[6:7], v[36:37], v[18:19], v[6:7] op_sel:[0,1,0]
	s_waitcnt lgkmcnt(6)
	v_mov_b32_e32 v18, v41
	v_mov_b32_e32 v19, v40
	v_pk_fma_f32 v[0:1], v[36:37], v[26:27], v[0:1] op_sel:[0,1,0]
	v_pk_fma_f32 v[6:7], v[18:19], v[20:21], v[6:7] op_sel_hi:[1,0,1]
	s_waitcnt lgkmcnt(5)
	v_mov_b32_e32 v38, v43
	v_mov_b32_e32 v39, v42
	;; [unrolled: 1-line block ×3, first 2 shown]
	v_pk_fma_f32 v[0:1], v[18:19], v[28:29], v[0:1] op_sel_hi:[1,0,1]
	v_mov_b32_e32 v18, v29
	v_pk_fma_f32 v[6:7], v[38:39], v[20:21], v[6:7] op_sel_hi:[1,0,1]
	s_waitcnt lgkmcnt(4)
	v_mov_b32_e32 v20, v45
	v_mov_b32_e32 v21, v44
	v_pk_fma_f32 v[0:1], v[38:39], v[18:19], v[0:1] op_sel_hi:[1,0,1]
	v_pk_fma_f32 v[6:7], v[20:21], v[22:23], v[6:7] op_sel_hi:[1,0,1]
	s_waitcnt lgkmcnt(2)
	v_mov_b32_e32 v40, v47
	v_mov_b32_e32 v41, v46
	v_pk_fma_f32 v[0:1], v[20:21], v[30:31], v[0:1] op_sel_hi:[1,0,1]
	v_pk_fma_f32 v[6:7], v[40:41], v[22:23], v[6:7] op_sel:[0,1,0]
	s_waitcnt lgkmcnt(1)
	v_mov_b32_e32 v22, v49
	v_mov_b32_e32 v23, v48
	v_pk_fma_f32 v[0:1], v[40:41], v[30:31], v[0:1] op_sel:[0,1,0]
	v_pk_fma_f32 v[6:7], v[22:23], v[24:25], v[6:7] op_sel_hi:[1,0,1]
	s_waitcnt lgkmcnt(0)
	v_mov_b32_e32 v42, v51
	v_mov_b32_e32 v43, v50
	v_mov_b32_e32 v24, v25
	v_pk_fma_f32 v[0:1], v[22:23], v[32:33], v[0:1] op_sel_hi:[1,0,1]
	v_mov_b32_e32 v18, v33
	v_pk_fma_f32 v[6:7], v[42:43], v[24:25], v[6:7] op_sel_hi:[1,0,1]
	v_pk_fma_f32 v[0:1], v[42:43], v[18:19], v[0:1] op_sel_hi:[1,0,1]
	s_barrier
	s_cbranch_vccnz .LBB44_2
.LBB44_3:
	s_load_dwordx4 s[16:19], s[0:1], 0x78
	s_load_dword s5, s[0:1], 0x18
	s_load_dword s20, s[0:1], 0x50
	s_load_dwordx8 s[8:15], s[0:1], 0x58
	v_lshl_add_u64 v[8:9], s[6:7], 0, v[2:3]
	s_waitcnt lgkmcnt(0)
	s_mul_i32 s0, s19, s4
	s_mul_hi_u32 s1, s18, s4
	s_add_i32 s1, s1, s0
	s_mul_i32 s0, s18, s4
	s_lshl_b64 s[0:1], s[0:1], 2
	s_add_u32 s0, s14, s0
	v_cmp_neq_f32_e64 s[6:7], s20, 0
	v_lshl_add_u64 v[2:3], s[2:3], 0, v[4:5]
	s_addc_u32 s1, s15, s1
	s_and_b64 vcc, exec, s[6:7]
	v_mul_lo_u32 v4, v9, s16
	v_mul_lo_u32 v5, v8, s17
	v_lshlrev_b64 v[2:3], 2, v[2:3]
	s_cbranch_vccnz .LBB44_7
; %bb.4:
	v_mad_u64_u32 v[10:11], s[2:3], v8, s16, 0
	v_add3_u32 v11, v11, v5, v4
	v_lshl_add_u64 v[10:11], v[10:11], 2, s[0:1]
	v_mul_f32_e32 v14, s5, v7
	v_lshl_add_u64 v[12:13], v[10:11], 0, v[2:3]
	s_lshl_b64 s[2:3], s[16:17], 6
	global_store_dword v[12:13], v14, off
	v_mul_f32_e32 v14, s5, v6
	v_lshl_add_u64 v[10:11], v[10:11], 0, s[2:3]
	global_store_dword v[12:13], v14, off offset:64
	v_mul_f32_e32 v12, s5, v1
	v_lshl_add_u64 v[10:11], v[10:11], 0, v[2:3]
	global_store_dword v[10:11], v12, off
	v_mul_f32_e32 v12, s5, v0
	global_store_dword v[10:11], v12, off offset:64
	s_cbranch_execnz .LBB44_6
.LBB44_5:
	s_mul_i32 s2, s13, s4
	s_mul_hi_u32 s3, s12, s4
	s_add_i32 s3, s3, s2
	s_mul_i32 s2, s12, s4
	s_lshl_b64 s[2:3], s[2:3], 2
	s_add_u32 s2, s8, s2
	v_mul_lo_u32 v9, v9, s10
	v_mul_lo_u32 v12, v8, s11
	v_mad_u64_u32 v[10:11], s[6:7], v8, s10, 0
	s_addc_u32 s3, s9, s3
	v_add3_u32 v11, v11, v12, v9
	v_lshl_add_u64 v[10:11], v[10:11], 2, s[2:3]
	v_lshl_add_u64 v[12:13], v[10:11], 0, v[2:3]
	global_load_dword v14, v[12:13], off
	v_mad_u64_u32 v[8:9], s[2:3], v8, s16, 0
	v_add3_u32 v9, v9, v5, v4
	v_lshl_add_u64 v[4:5], v[8:9], 2, s[0:1]
	v_lshl_add_u64 v[8:9], v[4:5], 0, v[2:3]
	s_lshl_b64 s[0:1], s[10:11], 6
	v_lshl_add_u64 v[10:11], v[10:11], 0, s[0:1]
	v_lshl_add_u64 v[10:11], v[10:11], 0, v[2:3]
	s_lshl_b64 s[0:1], s[16:17], 6
	v_lshl_add_u64 v[4:5], v[4:5], 0, s[0:1]
	v_lshl_add_u64 v[2:3], v[4:5], 0, v[2:3]
	s_waitcnt vmcnt(0)
	v_mul_f32_e32 v14, s20, v14
	v_fmac_f32_e32 v14, s5, v7
	global_store_dword v[8:9], v14, off
	global_load_dword v7, v[12:13], off offset:64
	s_waitcnt vmcnt(0)
	v_mul_f32_e32 v7, s20, v7
	v_fmac_f32_e32 v7, s5, v6
	global_store_dword v[8:9], v7, off offset:64
	global_load_dword v6, v[10:11], off
	s_waitcnt vmcnt(0)
	v_mul_f32_e32 v6, s20, v6
	v_fmac_f32_e32 v6, s5, v1
	global_store_dword v[2:3], v6, off
	global_load_dword v1, v[10:11], off offset:64
	s_waitcnt vmcnt(0)
	v_mul_f32_e32 v1, s20, v1
	v_fmac_f32_e32 v1, s5, v0
	global_store_dword v[2:3], v1, off offset:64
.LBB44_6:
	s_endpgm
.LBB44_7:
	s_branch .LBB44_5
	.section	.rodata,"a",@progbits
	.p2align	6, 0x0
	.amdhsa_kernel _ZN12_GLOBAL__N_127rocblas_gemm_batched_kernelIfLi16ELi16ELi32ELi32ELi8ELi32ELi8ELi8ELi32ELc67ELc67EKfS1_fEEvlllT_PT11_llS4_llS2_PT12_llPT13_lli
		.amdhsa_group_segment_fixed_size 2048
		.amdhsa_private_segment_fixed_size 0
		.amdhsa_kernarg_size 140
		.amdhsa_user_sgpr_count 2
		.amdhsa_user_sgpr_dispatch_ptr 0
		.amdhsa_user_sgpr_queue_ptr 0
		.amdhsa_user_sgpr_kernarg_segment_ptr 1
		.amdhsa_user_sgpr_dispatch_id 0
		.amdhsa_user_sgpr_kernarg_preload_length 0
		.amdhsa_user_sgpr_kernarg_preload_offset 0
		.amdhsa_user_sgpr_private_segment_size 0
		.amdhsa_uses_dynamic_stack 0
		.amdhsa_enable_private_segment 0
		.amdhsa_system_sgpr_workgroup_id_x 1
		.amdhsa_system_sgpr_workgroup_id_y 1
		.amdhsa_system_sgpr_workgroup_id_z 1
		.amdhsa_system_sgpr_workgroup_info 0
		.amdhsa_system_vgpr_workitem_id 1
		.amdhsa_next_free_vgpr 52
		.amdhsa_next_free_sgpr 24
		.amdhsa_accum_offset 52
		.amdhsa_reserve_vcc 1
		.amdhsa_float_round_mode_32 0
		.amdhsa_float_round_mode_16_64 0
		.amdhsa_float_denorm_mode_32 3
		.amdhsa_float_denorm_mode_16_64 3
		.amdhsa_dx10_clamp 1
		.amdhsa_ieee_mode 1
		.amdhsa_fp16_overflow 0
		.amdhsa_tg_split 0
		.amdhsa_exception_fp_ieee_invalid_op 0
		.amdhsa_exception_fp_denorm_src 0
		.amdhsa_exception_fp_ieee_div_zero 0
		.amdhsa_exception_fp_ieee_overflow 0
		.amdhsa_exception_fp_ieee_underflow 0
		.amdhsa_exception_fp_ieee_inexact 0
		.amdhsa_exception_int_div_zero 0
	.end_amdhsa_kernel
	.section	.text._ZN12_GLOBAL__N_127rocblas_gemm_batched_kernelIfLi16ELi16ELi32ELi32ELi8ELi32ELi8ELi8ELi32ELc67ELc67EKfS1_fEEvlllT_PT11_llS4_llS2_PT12_llPT13_lli,"axG",@progbits,_ZN12_GLOBAL__N_127rocblas_gemm_batched_kernelIfLi16ELi16ELi32ELi32ELi8ELi32ELi8ELi8ELi32ELc67ELc67EKfS1_fEEvlllT_PT11_llS4_llS2_PT12_llPT13_lli,comdat
.Lfunc_end44:
	.size	_ZN12_GLOBAL__N_127rocblas_gemm_batched_kernelIfLi16ELi16ELi32ELi32ELi8ELi32ELi8ELi8ELi32ELc67ELc67EKfS1_fEEvlllT_PT11_llS4_llS2_PT12_llPT13_lli, .Lfunc_end44-_ZN12_GLOBAL__N_127rocblas_gemm_batched_kernelIfLi16ELi16ELi32ELi32ELi8ELi32ELi8ELi8ELi32ELc67ELc67EKfS1_fEEvlllT_PT11_llS4_llS2_PT12_llPT13_lli
                                        ; -- End function
	.set _ZN12_GLOBAL__N_127rocblas_gemm_batched_kernelIfLi16ELi16ELi32ELi32ELi8ELi32ELi8ELi8ELi32ELc67ELc67EKfS1_fEEvlllT_PT11_llS4_llS2_PT12_llPT13_lli.num_vgpr, 52
	.set _ZN12_GLOBAL__N_127rocblas_gemm_batched_kernelIfLi16ELi16ELi32ELi32ELi8ELi32ELi8ELi8ELi32ELc67ELc67EKfS1_fEEvlllT_PT11_llS4_llS2_PT12_llPT13_lli.num_agpr, 0
	.set _ZN12_GLOBAL__N_127rocblas_gemm_batched_kernelIfLi16ELi16ELi32ELi32ELi8ELi32ELi8ELi8ELi32ELc67ELc67EKfS1_fEEvlllT_PT11_llS4_llS2_PT12_llPT13_lli.numbered_sgpr, 24
	.set _ZN12_GLOBAL__N_127rocblas_gemm_batched_kernelIfLi16ELi16ELi32ELi32ELi8ELi32ELi8ELi8ELi32ELc67ELc67EKfS1_fEEvlllT_PT11_llS4_llS2_PT12_llPT13_lli.num_named_barrier, 0
	.set _ZN12_GLOBAL__N_127rocblas_gemm_batched_kernelIfLi16ELi16ELi32ELi32ELi8ELi32ELi8ELi8ELi32ELc67ELc67EKfS1_fEEvlllT_PT11_llS4_llS2_PT12_llPT13_lli.private_seg_size, 0
	.set _ZN12_GLOBAL__N_127rocblas_gemm_batched_kernelIfLi16ELi16ELi32ELi32ELi8ELi32ELi8ELi8ELi32ELc67ELc67EKfS1_fEEvlllT_PT11_llS4_llS2_PT12_llPT13_lli.uses_vcc, 1
	.set _ZN12_GLOBAL__N_127rocblas_gemm_batched_kernelIfLi16ELi16ELi32ELi32ELi8ELi32ELi8ELi8ELi32ELc67ELc67EKfS1_fEEvlllT_PT11_llS4_llS2_PT12_llPT13_lli.uses_flat_scratch, 0
	.set _ZN12_GLOBAL__N_127rocblas_gemm_batched_kernelIfLi16ELi16ELi32ELi32ELi8ELi32ELi8ELi8ELi32ELc67ELc67EKfS1_fEEvlllT_PT11_llS4_llS2_PT12_llPT13_lli.has_dyn_sized_stack, 0
	.set _ZN12_GLOBAL__N_127rocblas_gemm_batched_kernelIfLi16ELi16ELi32ELi32ELi8ELi32ELi8ELi8ELi32ELc67ELc67EKfS1_fEEvlllT_PT11_llS4_llS2_PT12_llPT13_lli.has_recursion, 0
	.set _ZN12_GLOBAL__N_127rocblas_gemm_batched_kernelIfLi16ELi16ELi32ELi32ELi8ELi32ELi8ELi8ELi32ELc67ELc67EKfS1_fEEvlllT_PT11_llS4_llS2_PT12_llPT13_lli.has_indirect_call, 0
	.section	.AMDGPU.csdata,"",@progbits
; Kernel info:
; codeLenInByte = 1288
; TotalNumSgprs: 30
; NumVgprs: 52
; NumAgprs: 0
; TotalNumVgprs: 52
; ScratchSize: 0
; MemoryBound: 0
; FloatMode: 240
; IeeeMode: 1
; LDSByteSize: 2048 bytes/workgroup (compile time only)
; SGPRBlocks: 3
; VGPRBlocks: 6
; NumSGPRsForWavesPerEU: 30
; NumVGPRsForWavesPerEU: 52
; AccumOffset: 52
; Occupancy: 8
; WaveLimiterHint : 0
; COMPUTE_PGM_RSRC2:SCRATCH_EN: 0
; COMPUTE_PGM_RSRC2:USER_SGPR: 2
; COMPUTE_PGM_RSRC2:TRAP_HANDLER: 0
; COMPUTE_PGM_RSRC2:TGID_X_EN: 1
; COMPUTE_PGM_RSRC2:TGID_Y_EN: 1
; COMPUTE_PGM_RSRC2:TGID_Z_EN: 1
; COMPUTE_PGM_RSRC2:TIDIG_COMP_CNT: 1
; COMPUTE_PGM_RSRC3_GFX90A:ACCUM_OFFSET: 12
; COMPUTE_PGM_RSRC3_GFX90A:TG_SPLIT: 0
	.section	.text._ZN12_GLOBAL__N_127rocblas_gemm_batched_kernelIfLi16ELi16ELi32ELi32ELi8ELi32ELi8ELi8ELi32ELc67ELc78EKfS1_fEEvlllT_PT11_llS4_llS2_PT12_llPT13_lli,"axG",@progbits,_ZN12_GLOBAL__N_127rocblas_gemm_batched_kernelIfLi16ELi16ELi32ELi32ELi8ELi32ELi8ELi8ELi32ELc67ELc78EKfS1_fEEvlllT_PT11_llS4_llS2_PT12_llPT13_lli,comdat
	.globl	_ZN12_GLOBAL__N_127rocblas_gemm_batched_kernelIfLi16ELi16ELi32ELi32ELi8ELi32ELi8ELi8ELi32ELc67ELc78EKfS1_fEEvlllT_PT11_llS4_llS2_PT12_llPT13_lli ; -- Begin function _ZN12_GLOBAL__N_127rocblas_gemm_batched_kernelIfLi16ELi16ELi32ELi32ELi8ELi32ELi8ELi8ELi32ELc67ELc78EKfS1_fEEvlllT_PT11_llS4_llS2_PT12_llPT13_lli
	.p2align	8
	.type	_ZN12_GLOBAL__N_127rocblas_gemm_batched_kernelIfLi16ELi16ELi32ELi32ELi8ELi32ELi8ELi8ELi32ELc67ELc78EKfS1_fEEvlllT_PT11_llS4_llS2_PT12_llPT13_lli,@function
_ZN12_GLOBAL__N_127rocblas_gemm_batched_kernelIfLi16ELi16ELi32ELi32ELi8ELi32ELi8ELi8ELi32ELc67ELc78EKfS1_fEEvlllT_PT11_llS4_llS2_PT12_llPT13_lli: ; @_ZN12_GLOBAL__N_127rocblas_gemm_batched_kernelIfLi16ELi16ELi32ELi32ELi8ELi32ELi8ELi8ELi32ELc67ELc78EKfS1_fEEvlllT_PT11_llS4_llS2_PT12_llPT13_lli
; %bb.0:
	s_load_dwordx2 s[16:17], s[0:1], 0x10
	s_mov_b32 s6, s3
	v_mov_b32_e32 v3, 0
	s_ashr_i32 s3, s2, 31
	s_ashr_i32 s7, s6, 31
	s_waitcnt lgkmcnt(0)
	v_cmp_lt_i64_e64 s[8:9], s[16:17], 1
	v_bfe_u32 v2, v0, 10, 10
	v_and_b32_e32 v4, 0x3ff, v0
	v_mov_b32_e32 v5, v3
	s_lshl_b64 s[2:3], s[2:3], 5
	s_lshl_b64 s[6:7], s[6:7], 5
	s_and_b64 vcc, exec, s[8:9]
	v_mov_b32_e32 v7, v3
	v_mov_b32_e32 v6, v3
	;; [unrolled: 1-line block ×4, first 2 shown]
	s_cbranch_vccnz .LBB45_3
; %bb.1:
	v_lshl_add_u32 v8, v2, 4, v4
	s_load_dwordx8 s[8:15], s[0:1], 0x20
	s_load_dwordx4 s[20:23], s[0:1], 0x40
	v_and_b32_e32 v10, 31, v8
	v_lshrrev_b32_e32 v0, 3, v8
	v_and_b32_e32 v9, 7, v4
	v_lshrrev_b32_e32 v12, 5, v8
	v_lshlrev_b32_e32 v8, 2, v10
	v_mov_b32_e32 v1, 0
	v_lshl_or_b32 v14, v12, 7, v8
	v_lshlrev_b32_e32 v8, 2, v9
	v_lshl_add_u64 v[6:7], v[0:1], 0, s[6:7]
	v_lshl_or_b32 v0, v0, 5, v8
	v_add_u32_e32 v15, 0x400, v0
	v_mov_b32_e32 v0, 0x400
	v_lshl_add_u32 v17, v2, 5, v0
	s_waitcnt lgkmcnt(0)
	v_mul_lo_u32 v0, s21, v6
	v_mul_lo_u32 v9, s20, v7
	v_mad_u64_u32 v[6:7], s[18:19], s20, v6, 0
	s_mul_i32 s5, s23, s4
	s_mul_hi_u32 s18, s22, s4
	s_add_i32 s19, s18, s5
	s_mul_i32 s18, s22, s4
	v_add3_u32 v7, v7, v9, v0
	s_lshl_b64 s[18:19], s[18:19], 2
	v_lshl_add_u64 v[6:7], v[6:7], 2, s[18:19]
	v_mov_b32_e32 v9, v1
	v_mov_b32_e32 v11, v1
	v_lshl_add_u64 v[6:7], v[6:7], 0, v[8:9]
	v_lshl_add_u64 v[8:9], s[14:15], 0, v[6:7]
	;; [unrolled: 1-line block ×3, first 2 shown]
	v_mul_lo_u32 v0, s11, v6
	v_mul_lo_u32 v10, s10, v7
	v_mad_u64_u32 v[6:7], s[10:11], s10, v6, 0
	s_mul_i32 s5, s13, s4
	s_mul_hi_u32 s10, s12, s4
	s_add_i32 s11, s10, s5
	s_mul_i32 s10, s12, s4
	v_add3_u32 v7, v7, v10, v0
	s_lshl_b64 s[10:11], s[10:11], 2
	v_lshl_add_u64 v[6:7], v[6:7], 2, s[10:11]
	v_lshlrev_b32_e32 v0, 2, v12
	v_lshl_add_u64 v[6:7], v[6:7], 0, v[0:1]
	v_lshlrev_b32_e32 v16, 2, v4
	v_lshl_add_u64 v[10:11], s[8:9], 0, v[6:7]
	s_mov_b64 s[8:9], 0
	v_mov_b64_e32 v[12:13], s[16:17]
	v_mov_b32_e32 v0, v1
	v_mov_b32_e32 v6, v1
	;; [unrolled: 1-line block ×3, first 2 shown]
.LBB45_2:                               ; =>This Inner Loop Header: Depth=1
	global_load_dword v18, v[10:11], off
	s_add_u32 s8, s8, 8
	s_addc_u32 s9, s9, 0
	v_cmp_lt_i64_e32 vcc, s[8:9], v[12:13]
	v_lshl_add_u64 v[10:11], v[10:11], 0, 32
	s_and_b64 vcc, exec, vcc
	s_waitcnt vmcnt(0)
	ds_write_b32 v14, v18
	global_load_dword v18, v[8:9], off
	v_lshl_add_u64 v[8:9], v[8:9], 0, 32
	s_waitcnt vmcnt(0)
	ds_write_b32 v15, v18
	s_waitcnt lgkmcnt(0)
	s_barrier
	ds_read_b128 v[18:21], v17
	ds_read_b128 v[22:25], v17 offset:16
	ds_read2_b32 v[36:37], v16 offset1:16
	ds_read_b128 v[26:29], v17 offset:512
	ds_read2_b32 v[38:39], v16 offset0:32 offset1:48
	ds_read2_b32 v[40:41], v16 offset0:64 offset1:80
	;; [unrolled: 1-line block ×4, first 2 shown]
	ds_read_b128 v[30:33], v17 offset:528
	ds_read2_b32 v[46:47], v16 offset0:160 offset1:176
	ds_read2_b32 v[48:49], v16 offset0:192 offset1:208
	;; [unrolled: 1-line block ×3, first 2 shown]
	s_waitcnt lgkmcnt(9)
	v_mov_b32_e32 v34, v37
	v_mov_b32_e32 v35, v36
	v_pk_fma_f32 v[6:7], v[34:35], v[18:19], v[6:7] op_sel_hi:[1,0,1]
	s_waitcnt lgkmcnt(7)
	v_mov_b32_e32 v36, v39
	v_mov_b32_e32 v37, v38
	v_pk_fma_f32 v[0:1], v[34:35], v[26:27], v[0:1] op_sel_hi:[1,0,1]
	v_pk_fma_f32 v[6:7], v[36:37], v[18:19], v[6:7] op_sel:[0,1,0]
	s_waitcnt lgkmcnt(6)
	v_mov_b32_e32 v18, v41
	v_mov_b32_e32 v19, v40
	v_pk_fma_f32 v[0:1], v[36:37], v[26:27], v[0:1] op_sel:[0,1,0]
	v_pk_fma_f32 v[6:7], v[18:19], v[20:21], v[6:7] op_sel_hi:[1,0,1]
	s_waitcnt lgkmcnt(5)
	v_mov_b32_e32 v38, v43
	v_mov_b32_e32 v39, v42
	;; [unrolled: 1-line block ×3, first 2 shown]
	v_pk_fma_f32 v[0:1], v[18:19], v[28:29], v[0:1] op_sel_hi:[1,0,1]
	v_mov_b32_e32 v18, v29
	v_pk_fma_f32 v[6:7], v[38:39], v[20:21], v[6:7] op_sel_hi:[1,0,1]
	s_waitcnt lgkmcnt(4)
	v_mov_b32_e32 v20, v45
	v_mov_b32_e32 v21, v44
	v_pk_fma_f32 v[0:1], v[38:39], v[18:19], v[0:1] op_sel_hi:[1,0,1]
	v_pk_fma_f32 v[6:7], v[20:21], v[22:23], v[6:7] op_sel_hi:[1,0,1]
	s_waitcnt lgkmcnt(2)
	v_mov_b32_e32 v40, v47
	v_mov_b32_e32 v41, v46
	v_pk_fma_f32 v[0:1], v[20:21], v[30:31], v[0:1] op_sel_hi:[1,0,1]
	v_pk_fma_f32 v[6:7], v[40:41], v[22:23], v[6:7] op_sel:[0,1,0]
	s_waitcnt lgkmcnt(1)
	v_mov_b32_e32 v22, v49
	v_mov_b32_e32 v23, v48
	v_pk_fma_f32 v[0:1], v[40:41], v[30:31], v[0:1] op_sel:[0,1,0]
	v_pk_fma_f32 v[6:7], v[22:23], v[24:25], v[6:7] op_sel_hi:[1,0,1]
	s_waitcnt lgkmcnt(0)
	v_mov_b32_e32 v42, v51
	v_mov_b32_e32 v43, v50
	;; [unrolled: 1-line block ×3, first 2 shown]
	v_pk_fma_f32 v[0:1], v[22:23], v[32:33], v[0:1] op_sel_hi:[1,0,1]
	v_mov_b32_e32 v18, v33
	v_pk_fma_f32 v[6:7], v[42:43], v[24:25], v[6:7] op_sel_hi:[1,0,1]
	v_pk_fma_f32 v[0:1], v[42:43], v[18:19], v[0:1] op_sel_hi:[1,0,1]
	s_barrier
	s_cbranch_vccnz .LBB45_2
.LBB45_3:
	s_load_dwordx4 s[16:19], s[0:1], 0x78
	s_load_dword s5, s[0:1], 0x18
	s_load_dword s20, s[0:1], 0x50
	s_load_dwordx8 s[8:15], s[0:1], 0x58
	v_lshl_add_u64 v[8:9], s[6:7], 0, v[2:3]
	s_waitcnt lgkmcnt(0)
	s_mul_i32 s0, s19, s4
	s_mul_hi_u32 s1, s18, s4
	s_add_i32 s1, s1, s0
	s_mul_i32 s0, s18, s4
	s_lshl_b64 s[0:1], s[0:1], 2
	s_add_u32 s0, s14, s0
	v_cmp_neq_f32_e64 s[6:7], s20, 0
	v_lshl_add_u64 v[2:3], s[2:3], 0, v[4:5]
	s_addc_u32 s1, s15, s1
	s_and_b64 vcc, exec, s[6:7]
	v_mul_lo_u32 v4, v9, s16
	v_mul_lo_u32 v5, v8, s17
	v_lshlrev_b64 v[2:3], 2, v[2:3]
	s_cbranch_vccnz .LBB45_7
; %bb.4:
	v_mad_u64_u32 v[10:11], s[2:3], v8, s16, 0
	v_add3_u32 v11, v11, v5, v4
	v_lshl_add_u64 v[10:11], v[10:11], 2, s[0:1]
	v_mul_f32_e32 v14, s5, v7
	v_lshl_add_u64 v[12:13], v[10:11], 0, v[2:3]
	s_lshl_b64 s[2:3], s[16:17], 6
	global_store_dword v[12:13], v14, off
	v_mul_f32_e32 v14, s5, v6
	v_lshl_add_u64 v[10:11], v[10:11], 0, s[2:3]
	global_store_dword v[12:13], v14, off offset:64
	v_mul_f32_e32 v12, s5, v1
	v_lshl_add_u64 v[10:11], v[10:11], 0, v[2:3]
	global_store_dword v[10:11], v12, off
	v_mul_f32_e32 v12, s5, v0
	global_store_dword v[10:11], v12, off offset:64
	s_cbranch_execnz .LBB45_6
.LBB45_5:
	s_mul_i32 s2, s13, s4
	s_mul_hi_u32 s3, s12, s4
	s_add_i32 s3, s3, s2
	s_mul_i32 s2, s12, s4
	s_lshl_b64 s[2:3], s[2:3], 2
	s_add_u32 s2, s8, s2
	v_mul_lo_u32 v9, v9, s10
	v_mul_lo_u32 v12, v8, s11
	v_mad_u64_u32 v[10:11], s[6:7], v8, s10, 0
	s_addc_u32 s3, s9, s3
	v_add3_u32 v11, v11, v12, v9
	v_lshl_add_u64 v[10:11], v[10:11], 2, s[2:3]
	v_lshl_add_u64 v[12:13], v[10:11], 0, v[2:3]
	global_load_dword v14, v[12:13], off
	v_mad_u64_u32 v[8:9], s[2:3], v8, s16, 0
	v_add3_u32 v9, v9, v5, v4
	v_lshl_add_u64 v[4:5], v[8:9], 2, s[0:1]
	v_lshl_add_u64 v[8:9], v[4:5], 0, v[2:3]
	s_lshl_b64 s[0:1], s[10:11], 6
	v_lshl_add_u64 v[10:11], v[10:11], 0, s[0:1]
	v_lshl_add_u64 v[10:11], v[10:11], 0, v[2:3]
	s_lshl_b64 s[0:1], s[16:17], 6
	v_lshl_add_u64 v[4:5], v[4:5], 0, s[0:1]
	v_lshl_add_u64 v[2:3], v[4:5], 0, v[2:3]
	s_waitcnt vmcnt(0)
	v_mul_f32_e32 v14, s20, v14
	v_fmac_f32_e32 v14, s5, v7
	global_store_dword v[8:9], v14, off
	global_load_dword v7, v[12:13], off offset:64
	s_waitcnt vmcnt(0)
	v_mul_f32_e32 v7, s20, v7
	v_fmac_f32_e32 v7, s5, v6
	global_store_dword v[8:9], v7, off offset:64
	global_load_dword v6, v[10:11], off
	s_waitcnt vmcnt(0)
	v_mul_f32_e32 v6, s20, v6
	v_fmac_f32_e32 v6, s5, v1
	global_store_dword v[2:3], v6, off
	global_load_dword v1, v[10:11], off offset:64
	s_waitcnt vmcnt(0)
	v_mul_f32_e32 v1, s20, v1
	v_fmac_f32_e32 v1, s5, v0
	global_store_dword v[2:3], v1, off offset:64
.LBB45_6:
	s_endpgm
.LBB45_7:
	s_branch .LBB45_5
	.section	.rodata,"a",@progbits
	.p2align	6, 0x0
	.amdhsa_kernel _ZN12_GLOBAL__N_127rocblas_gemm_batched_kernelIfLi16ELi16ELi32ELi32ELi8ELi32ELi8ELi8ELi32ELc67ELc78EKfS1_fEEvlllT_PT11_llS4_llS2_PT12_llPT13_lli
		.amdhsa_group_segment_fixed_size 2048
		.amdhsa_private_segment_fixed_size 0
		.amdhsa_kernarg_size 140
		.amdhsa_user_sgpr_count 2
		.amdhsa_user_sgpr_dispatch_ptr 0
		.amdhsa_user_sgpr_queue_ptr 0
		.amdhsa_user_sgpr_kernarg_segment_ptr 1
		.amdhsa_user_sgpr_dispatch_id 0
		.amdhsa_user_sgpr_kernarg_preload_length 0
		.amdhsa_user_sgpr_kernarg_preload_offset 0
		.amdhsa_user_sgpr_private_segment_size 0
		.amdhsa_uses_dynamic_stack 0
		.amdhsa_enable_private_segment 0
		.amdhsa_system_sgpr_workgroup_id_x 1
		.amdhsa_system_sgpr_workgroup_id_y 1
		.amdhsa_system_sgpr_workgroup_id_z 1
		.amdhsa_system_sgpr_workgroup_info 0
		.amdhsa_system_vgpr_workitem_id 1
		.amdhsa_next_free_vgpr 52
		.amdhsa_next_free_sgpr 24
		.amdhsa_accum_offset 52
		.amdhsa_reserve_vcc 1
		.amdhsa_float_round_mode_32 0
		.amdhsa_float_round_mode_16_64 0
		.amdhsa_float_denorm_mode_32 3
		.amdhsa_float_denorm_mode_16_64 3
		.amdhsa_dx10_clamp 1
		.amdhsa_ieee_mode 1
		.amdhsa_fp16_overflow 0
		.amdhsa_tg_split 0
		.amdhsa_exception_fp_ieee_invalid_op 0
		.amdhsa_exception_fp_denorm_src 0
		.amdhsa_exception_fp_ieee_div_zero 0
		.amdhsa_exception_fp_ieee_overflow 0
		.amdhsa_exception_fp_ieee_underflow 0
		.amdhsa_exception_fp_ieee_inexact 0
		.amdhsa_exception_int_div_zero 0
	.end_amdhsa_kernel
	.section	.text._ZN12_GLOBAL__N_127rocblas_gemm_batched_kernelIfLi16ELi16ELi32ELi32ELi8ELi32ELi8ELi8ELi32ELc67ELc78EKfS1_fEEvlllT_PT11_llS4_llS2_PT12_llPT13_lli,"axG",@progbits,_ZN12_GLOBAL__N_127rocblas_gemm_batched_kernelIfLi16ELi16ELi32ELi32ELi8ELi32ELi8ELi8ELi32ELc67ELc78EKfS1_fEEvlllT_PT11_llS4_llS2_PT12_llPT13_lli,comdat
.Lfunc_end45:
	.size	_ZN12_GLOBAL__N_127rocblas_gemm_batched_kernelIfLi16ELi16ELi32ELi32ELi8ELi32ELi8ELi8ELi32ELc67ELc78EKfS1_fEEvlllT_PT11_llS4_llS2_PT12_llPT13_lli, .Lfunc_end45-_ZN12_GLOBAL__N_127rocblas_gemm_batched_kernelIfLi16ELi16ELi32ELi32ELi8ELi32ELi8ELi8ELi32ELc67ELc78EKfS1_fEEvlllT_PT11_llS4_llS2_PT12_llPT13_lli
                                        ; -- End function
	.set _ZN12_GLOBAL__N_127rocblas_gemm_batched_kernelIfLi16ELi16ELi32ELi32ELi8ELi32ELi8ELi8ELi32ELc67ELc78EKfS1_fEEvlllT_PT11_llS4_llS2_PT12_llPT13_lli.num_vgpr, 52
	.set _ZN12_GLOBAL__N_127rocblas_gemm_batched_kernelIfLi16ELi16ELi32ELi32ELi8ELi32ELi8ELi8ELi32ELc67ELc78EKfS1_fEEvlllT_PT11_llS4_llS2_PT12_llPT13_lli.num_agpr, 0
	.set _ZN12_GLOBAL__N_127rocblas_gemm_batched_kernelIfLi16ELi16ELi32ELi32ELi8ELi32ELi8ELi8ELi32ELc67ELc78EKfS1_fEEvlllT_PT11_llS4_llS2_PT12_llPT13_lli.numbered_sgpr, 24
	.set _ZN12_GLOBAL__N_127rocblas_gemm_batched_kernelIfLi16ELi16ELi32ELi32ELi8ELi32ELi8ELi8ELi32ELc67ELc78EKfS1_fEEvlllT_PT11_llS4_llS2_PT12_llPT13_lli.num_named_barrier, 0
	.set _ZN12_GLOBAL__N_127rocblas_gemm_batched_kernelIfLi16ELi16ELi32ELi32ELi8ELi32ELi8ELi8ELi32ELc67ELc78EKfS1_fEEvlllT_PT11_llS4_llS2_PT12_llPT13_lli.private_seg_size, 0
	.set _ZN12_GLOBAL__N_127rocblas_gemm_batched_kernelIfLi16ELi16ELi32ELi32ELi8ELi32ELi8ELi8ELi32ELc67ELc78EKfS1_fEEvlllT_PT11_llS4_llS2_PT12_llPT13_lli.uses_vcc, 1
	.set _ZN12_GLOBAL__N_127rocblas_gemm_batched_kernelIfLi16ELi16ELi32ELi32ELi8ELi32ELi8ELi8ELi32ELc67ELc78EKfS1_fEEvlllT_PT11_llS4_llS2_PT12_llPT13_lli.uses_flat_scratch, 0
	.set _ZN12_GLOBAL__N_127rocblas_gemm_batched_kernelIfLi16ELi16ELi32ELi32ELi8ELi32ELi8ELi8ELi32ELc67ELc78EKfS1_fEEvlllT_PT11_llS4_llS2_PT12_llPT13_lli.has_dyn_sized_stack, 0
	.set _ZN12_GLOBAL__N_127rocblas_gemm_batched_kernelIfLi16ELi16ELi32ELi32ELi8ELi32ELi8ELi8ELi32ELc67ELc78EKfS1_fEEvlllT_PT11_llS4_llS2_PT12_llPT13_lli.has_recursion, 0
	.set _ZN12_GLOBAL__N_127rocblas_gemm_batched_kernelIfLi16ELi16ELi32ELi32ELi8ELi32ELi8ELi8ELi32ELc67ELc78EKfS1_fEEvlllT_PT11_llS4_llS2_PT12_llPT13_lli.has_indirect_call, 0
	.section	.AMDGPU.csdata,"",@progbits
; Kernel info:
; codeLenInByte = 1304
; TotalNumSgprs: 30
; NumVgprs: 52
; NumAgprs: 0
; TotalNumVgprs: 52
; ScratchSize: 0
; MemoryBound: 0
; FloatMode: 240
; IeeeMode: 1
; LDSByteSize: 2048 bytes/workgroup (compile time only)
; SGPRBlocks: 3
; VGPRBlocks: 6
; NumSGPRsForWavesPerEU: 30
; NumVGPRsForWavesPerEU: 52
; AccumOffset: 52
; Occupancy: 8
; WaveLimiterHint : 0
; COMPUTE_PGM_RSRC2:SCRATCH_EN: 0
; COMPUTE_PGM_RSRC2:USER_SGPR: 2
; COMPUTE_PGM_RSRC2:TRAP_HANDLER: 0
; COMPUTE_PGM_RSRC2:TGID_X_EN: 1
; COMPUTE_PGM_RSRC2:TGID_Y_EN: 1
; COMPUTE_PGM_RSRC2:TGID_Z_EN: 1
; COMPUTE_PGM_RSRC2:TIDIG_COMP_CNT: 1
; COMPUTE_PGM_RSRC3_GFX90A:ACCUM_OFFSET: 12
; COMPUTE_PGM_RSRC3_GFX90A:TG_SPLIT: 0
	.section	.text._ZN12_GLOBAL__N_127rocblas_gemm_batched_kernelIfLi16ELi16ELi32ELi32ELi8ELi32ELi8ELi8ELi32ELc67ELc84EKfS1_fEEvlllT_PT11_llS4_llS2_PT12_llPT13_lli,"axG",@progbits,_ZN12_GLOBAL__N_127rocblas_gemm_batched_kernelIfLi16ELi16ELi32ELi32ELi8ELi32ELi8ELi8ELi32ELc67ELc84EKfS1_fEEvlllT_PT11_llS4_llS2_PT12_llPT13_lli,comdat
	.globl	_ZN12_GLOBAL__N_127rocblas_gemm_batched_kernelIfLi16ELi16ELi32ELi32ELi8ELi32ELi8ELi8ELi32ELc67ELc84EKfS1_fEEvlllT_PT11_llS4_llS2_PT12_llPT13_lli ; -- Begin function _ZN12_GLOBAL__N_127rocblas_gemm_batched_kernelIfLi16ELi16ELi32ELi32ELi8ELi32ELi8ELi8ELi32ELc67ELc84EKfS1_fEEvlllT_PT11_llS4_llS2_PT12_llPT13_lli
	.p2align	8
	.type	_ZN12_GLOBAL__N_127rocblas_gemm_batched_kernelIfLi16ELi16ELi32ELi32ELi8ELi32ELi8ELi8ELi32ELc67ELc84EKfS1_fEEvlllT_PT11_llS4_llS2_PT12_llPT13_lli,@function
_ZN12_GLOBAL__N_127rocblas_gemm_batched_kernelIfLi16ELi16ELi32ELi32ELi8ELi32ELi8ELi8ELi32ELc67ELc84EKfS1_fEEvlllT_PT11_llS4_llS2_PT12_llPT13_lli: ; @_ZN12_GLOBAL__N_127rocblas_gemm_batched_kernelIfLi16ELi16ELi32ELi32ELi8ELi32ELi8ELi8ELi32ELc67ELc84EKfS1_fEEvlllT_PT11_llS4_llS2_PT12_llPT13_lli
; %bb.0:
	s_load_dwordx2 s[16:17], s[0:1], 0x10
	s_mov_b32 s6, s3
	v_mov_b32_e32 v3, 0
	s_ashr_i32 s3, s2, 31
	s_ashr_i32 s7, s6, 31
	s_waitcnt lgkmcnt(0)
	v_cmp_lt_i64_e64 s[8:9], s[16:17], 1
	v_bfe_u32 v2, v0, 10, 10
	v_and_b32_e32 v4, 0x3ff, v0
	v_mov_b32_e32 v5, v3
	s_lshl_b64 s[2:3], s[2:3], 5
	s_lshl_b64 s[6:7], s[6:7], 5
	s_and_b64 vcc, exec, s[8:9]
	v_mov_b32_e32 v7, v3
	v_mov_b32_e32 v6, v3
	v_mov_b32_e32 v1, v3
	v_mov_b32_e32 v0, v3
	s_cbranch_vccnz .LBB46_3
; %bb.1:
	s_load_dwordx8 s[8:15], s[0:1], 0x20
	s_load_dwordx4 s[20:23], s[0:1], 0x40
	v_lshl_add_u32 v8, v2, 4, v4
	v_and_b32_e32 v6, 31, v8
	v_lshrrev_b32_e32 v0, 3, v8
	v_and_b32_e32 v10, 7, v4
	v_lshrrev_b32_e32 v12, 5, v8
	v_lshlrev_b32_e32 v8, 2, v6
	v_lshl_or_b32 v14, v12, 7, v8
	v_lshlrev_b32_e32 v8, 2, v10
	v_lshl_or_b32 v8, v0, 5, v8
	v_mov_b32_e32 v1, 0
	v_add_u32_e32 v15, 0x400, v8
	v_mov_b32_e32 v8, 0x400
	s_waitcnt lgkmcnt(0)
	s_mul_i32 s5, s23, s4
	s_mul_hi_u32 s18, s22, s4
	v_lshl_add_u32 v17, v2, 5, v8
	s_add_i32 s19, s18, s5
	s_mul_i32 s18, s22, s4
	v_mad_u64_u32 v[8:9], s[22:23], s20, v10, v[0:1]
	v_mov_b32_e32 v7, v1
	v_mov_b32_e32 v0, v9
	v_mad_u64_u32 v[10:11], s[22:23], s21, v10, v[0:1]
	v_lshl_add_u64 v[6:7], s[2:3], 0, v[6:7]
	s_lshl_b64 s[18:19], s[18:19], 2
	v_mov_b32_e32 v9, v10
	v_mul_lo_u32 v0, s11, v6
	v_mul_lo_u32 v10, s10, v7
	v_mad_u64_u32 v[6:7], s[10:11], s10, v6, 0
	s_add_u32 s14, s14, s18
	s_mul_i32 s5, s13, s4
	s_mul_hi_u32 s10, s12, s4
	s_addc_u32 s15, s15, s19
	s_add_i32 s11, s10, s5
	s_mul_i32 s10, s12, s4
	v_add3_u32 v7, v7, v10, v0
	s_lshl_b64 s[10:11], s[10:11], 2
	v_lshl_add_u64 v[6:7], v[6:7], 2, s[10:11]
	v_lshlrev_b32_e32 v0, 2, v12
	v_lshl_add_u64 v[8:9], v[8:9], 0, s[6:7]
	v_lshl_add_u64 v[6:7], v[6:7], 0, v[0:1]
	v_lshlrev_b32_e32 v16, 2, v4
	v_lshl_add_u64 v[8:9], v[8:9], 2, s[14:15]
	s_lshl_b64 s[14:15], s[20:21], 5
	v_lshl_add_u64 v[10:11], s[8:9], 0, v[6:7]
	s_mov_b64 s[8:9], 0
	v_mov_b64_e32 v[12:13], s[16:17]
	v_mov_b32_e32 v0, v1
	v_mov_b32_e32 v6, v1
	;; [unrolled: 1-line block ×3, first 2 shown]
.LBB46_2:                               ; =>This Inner Loop Header: Depth=1
	global_load_dword v18, v[10:11], off
	s_add_u32 s8, s8, 8
	s_addc_u32 s9, s9, 0
	v_cmp_lt_i64_e32 vcc, s[8:9], v[12:13]
	v_lshl_add_u64 v[10:11], v[10:11], 0, 32
	s_and_b64 vcc, exec, vcc
	s_waitcnt vmcnt(0)
	ds_write_b32 v14, v18
	global_load_dword v18, v[8:9], off
	v_lshl_add_u64 v[8:9], v[8:9], 0, s[14:15]
	s_waitcnt vmcnt(0)
	ds_write_b32 v15, v18
	s_waitcnt lgkmcnt(0)
	s_barrier
	ds_read_b128 v[18:21], v17
	ds_read_b128 v[22:25], v17 offset:16
	ds_read2_b32 v[36:37], v16 offset1:16
	ds_read_b128 v[26:29], v17 offset:512
	ds_read2_b32 v[38:39], v16 offset0:32 offset1:48
	ds_read2_b32 v[40:41], v16 offset0:64 offset1:80
	;; [unrolled: 1-line block ×4, first 2 shown]
	ds_read_b128 v[30:33], v17 offset:528
	ds_read2_b32 v[46:47], v16 offset0:160 offset1:176
	ds_read2_b32 v[48:49], v16 offset0:192 offset1:208
	;; [unrolled: 1-line block ×3, first 2 shown]
	s_waitcnt lgkmcnt(9)
	v_mov_b32_e32 v34, v37
	v_mov_b32_e32 v35, v36
	v_pk_fma_f32 v[6:7], v[34:35], v[18:19], v[6:7] op_sel_hi:[1,0,1]
	s_waitcnt lgkmcnt(7)
	v_mov_b32_e32 v36, v39
	v_mov_b32_e32 v37, v38
	v_pk_fma_f32 v[0:1], v[34:35], v[26:27], v[0:1] op_sel_hi:[1,0,1]
	v_pk_fma_f32 v[6:7], v[36:37], v[18:19], v[6:7] op_sel:[0,1,0]
	s_waitcnt lgkmcnt(6)
	v_mov_b32_e32 v18, v41
	v_mov_b32_e32 v19, v40
	v_pk_fma_f32 v[0:1], v[36:37], v[26:27], v[0:1] op_sel:[0,1,0]
	v_pk_fma_f32 v[6:7], v[18:19], v[20:21], v[6:7] op_sel_hi:[1,0,1]
	s_waitcnt lgkmcnt(5)
	v_mov_b32_e32 v38, v43
	v_mov_b32_e32 v39, v42
	;; [unrolled: 1-line block ×3, first 2 shown]
	v_pk_fma_f32 v[0:1], v[18:19], v[28:29], v[0:1] op_sel_hi:[1,0,1]
	v_mov_b32_e32 v18, v29
	v_pk_fma_f32 v[6:7], v[38:39], v[20:21], v[6:7] op_sel_hi:[1,0,1]
	s_waitcnt lgkmcnt(4)
	v_mov_b32_e32 v20, v45
	v_mov_b32_e32 v21, v44
	v_pk_fma_f32 v[0:1], v[38:39], v[18:19], v[0:1] op_sel_hi:[1,0,1]
	v_pk_fma_f32 v[6:7], v[20:21], v[22:23], v[6:7] op_sel_hi:[1,0,1]
	s_waitcnt lgkmcnt(2)
	v_mov_b32_e32 v40, v47
	v_mov_b32_e32 v41, v46
	v_pk_fma_f32 v[0:1], v[20:21], v[30:31], v[0:1] op_sel_hi:[1,0,1]
	v_pk_fma_f32 v[6:7], v[40:41], v[22:23], v[6:7] op_sel:[0,1,0]
	s_waitcnt lgkmcnt(1)
	v_mov_b32_e32 v22, v49
	v_mov_b32_e32 v23, v48
	v_pk_fma_f32 v[0:1], v[40:41], v[30:31], v[0:1] op_sel:[0,1,0]
	v_pk_fma_f32 v[6:7], v[22:23], v[24:25], v[6:7] op_sel_hi:[1,0,1]
	s_waitcnt lgkmcnt(0)
	v_mov_b32_e32 v42, v51
	v_mov_b32_e32 v43, v50
	;; [unrolled: 1-line block ×3, first 2 shown]
	v_pk_fma_f32 v[0:1], v[22:23], v[32:33], v[0:1] op_sel_hi:[1,0,1]
	v_mov_b32_e32 v18, v33
	v_pk_fma_f32 v[6:7], v[42:43], v[24:25], v[6:7] op_sel_hi:[1,0,1]
	v_pk_fma_f32 v[0:1], v[42:43], v[18:19], v[0:1] op_sel_hi:[1,0,1]
	s_barrier
	s_cbranch_vccnz .LBB46_2
.LBB46_3:
	s_load_dwordx4 s[16:19], s[0:1], 0x78
	s_load_dword s5, s[0:1], 0x18
	s_load_dword s20, s[0:1], 0x50
	s_load_dwordx8 s[8:15], s[0:1], 0x58
	v_lshl_add_u64 v[8:9], s[6:7], 0, v[2:3]
	s_waitcnt lgkmcnt(0)
	s_mul_i32 s0, s19, s4
	s_mul_hi_u32 s1, s18, s4
	s_add_i32 s1, s1, s0
	s_mul_i32 s0, s18, s4
	s_lshl_b64 s[0:1], s[0:1], 2
	s_add_u32 s0, s14, s0
	v_cmp_neq_f32_e64 s[6:7], s20, 0
	v_lshl_add_u64 v[2:3], s[2:3], 0, v[4:5]
	s_addc_u32 s1, s15, s1
	s_and_b64 vcc, exec, s[6:7]
	v_mul_lo_u32 v4, v9, s16
	v_mul_lo_u32 v5, v8, s17
	v_lshlrev_b64 v[2:3], 2, v[2:3]
	s_cbranch_vccnz .LBB46_7
; %bb.4:
	v_mad_u64_u32 v[10:11], s[2:3], v8, s16, 0
	v_add3_u32 v11, v11, v5, v4
	v_lshl_add_u64 v[10:11], v[10:11], 2, s[0:1]
	v_mul_f32_e32 v14, s5, v7
	v_lshl_add_u64 v[12:13], v[10:11], 0, v[2:3]
	s_lshl_b64 s[2:3], s[16:17], 6
	global_store_dword v[12:13], v14, off
	v_mul_f32_e32 v14, s5, v6
	v_lshl_add_u64 v[10:11], v[10:11], 0, s[2:3]
	global_store_dword v[12:13], v14, off offset:64
	v_mul_f32_e32 v12, s5, v1
	v_lshl_add_u64 v[10:11], v[10:11], 0, v[2:3]
	global_store_dword v[10:11], v12, off
	v_mul_f32_e32 v12, s5, v0
	global_store_dword v[10:11], v12, off offset:64
	s_cbranch_execnz .LBB46_6
.LBB46_5:
	s_mul_i32 s2, s13, s4
	s_mul_hi_u32 s3, s12, s4
	s_add_i32 s3, s3, s2
	s_mul_i32 s2, s12, s4
	s_lshl_b64 s[2:3], s[2:3], 2
	s_add_u32 s2, s8, s2
	v_mul_lo_u32 v9, v9, s10
	v_mul_lo_u32 v12, v8, s11
	v_mad_u64_u32 v[10:11], s[6:7], v8, s10, 0
	s_addc_u32 s3, s9, s3
	v_add3_u32 v11, v11, v12, v9
	v_lshl_add_u64 v[10:11], v[10:11], 2, s[2:3]
	v_lshl_add_u64 v[12:13], v[10:11], 0, v[2:3]
	global_load_dword v14, v[12:13], off
	v_mad_u64_u32 v[8:9], s[2:3], v8, s16, 0
	v_add3_u32 v9, v9, v5, v4
	v_lshl_add_u64 v[4:5], v[8:9], 2, s[0:1]
	v_lshl_add_u64 v[8:9], v[4:5], 0, v[2:3]
	s_lshl_b64 s[0:1], s[10:11], 6
	v_lshl_add_u64 v[10:11], v[10:11], 0, s[0:1]
	v_lshl_add_u64 v[10:11], v[10:11], 0, v[2:3]
	s_lshl_b64 s[0:1], s[16:17], 6
	v_lshl_add_u64 v[4:5], v[4:5], 0, s[0:1]
	v_lshl_add_u64 v[2:3], v[4:5], 0, v[2:3]
	s_waitcnt vmcnt(0)
	v_mul_f32_e32 v14, s20, v14
	v_fmac_f32_e32 v14, s5, v7
	global_store_dword v[8:9], v14, off
	global_load_dword v7, v[12:13], off offset:64
	s_waitcnt vmcnt(0)
	v_mul_f32_e32 v7, s20, v7
	v_fmac_f32_e32 v7, s5, v6
	global_store_dword v[8:9], v7, off offset:64
	global_load_dword v6, v[10:11], off
	s_waitcnt vmcnt(0)
	v_mul_f32_e32 v6, s20, v6
	v_fmac_f32_e32 v6, s5, v1
	global_store_dword v[2:3], v6, off
	global_load_dword v1, v[10:11], off offset:64
	s_waitcnt vmcnt(0)
	v_mul_f32_e32 v1, s20, v1
	v_fmac_f32_e32 v1, s5, v0
	global_store_dword v[2:3], v1, off offset:64
.LBB46_6:
	s_endpgm
.LBB46_7:
	s_branch .LBB46_5
	.section	.rodata,"a",@progbits
	.p2align	6, 0x0
	.amdhsa_kernel _ZN12_GLOBAL__N_127rocblas_gemm_batched_kernelIfLi16ELi16ELi32ELi32ELi8ELi32ELi8ELi8ELi32ELc67ELc84EKfS1_fEEvlllT_PT11_llS4_llS2_PT12_llPT13_lli
		.amdhsa_group_segment_fixed_size 2048
		.amdhsa_private_segment_fixed_size 0
		.amdhsa_kernarg_size 140
		.amdhsa_user_sgpr_count 2
		.amdhsa_user_sgpr_dispatch_ptr 0
		.amdhsa_user_sgpr_queue_ptr 0
		.amdhsa_user_sgpr_kernarg_segment_ptr 1
		.amdhsa_user_sgpr_dispatch_id 0
		.amdhsa_user_sgpr_kernarg_preload_length 0
		.amdhsa_user_sgpr_kernarg_preload_offset 0
		.amdhsa_user_sgpr_private_segment_size 0
		.amdhsa_uses_dynamic_stack 0
		.amdhsa_enable_private_segment 0
		.amdhsa_system_sgpr_workgroup_id_x 1
		.amdhsa_system_sgpr_workgroup_id_y 1
		.amdhsa_system_sgpr_workgroup_id_z 1
		.amdhsa_system_sgpr_workgroup_info 0
		.amdhsa_system_vgpr_workitem_id 1
		.amdhsa_next_free_vgpr 52
		.amdhsa_next_free_sgpr 24
		.amdhsa_accum_offset 52
		.amdhsa_reserve_vcc 1
		.amdhsa_float_round_mode_32 0
		.amdhsa_float_round_mode_16_64 0
		.amdhsa_float_denorm_mode_32 3
		.amdhsa_float_denorm_mode_16_64 3
		.amdhsa_dx10_clamp 1
		.amdhsa_ieee_mode 1
		.amdhsa_fp16_overflow 0
		.amdhsa_tg_split 0
		.amdhsa_exception_fp_ieee_invalid_op 0
		.amdhsa_exception_fp_denorm_src 0
		.amdhsa_exception_fp_ieee_div_zero 0
		.amdhsa_exception_fp_ieee_overflow 0
		.amdhsa_exception_fp_ieee_underflow 0
		.amdhsa_exception_fp_ieee_inexact 0
		.amdhsa_exception_int_div_zero 0
	.end_amdhsa_kernel
	.section	.text._ZN12_GLOBAL__N_127rocblas_gemm_batched_kernelIfLi16ELi16ELi32ELi32ELi8ELi32ELi8ELi8ELi32ELc67ELc84EKfS1_fEEvlllT_PT11_llS4_llS2_PT12_llPT13_lli,"axG",@progbits,_ZN12_GLOBAL__N_127rocblas_gemm_batched_kernelIfLi16ELi16ELi32ELi32ELi8ELi32ELi8ELi8ELi32ELc67ELc84EKfS1_fEEvlllT_PT11_llS4_llS2_PT12_llPT13_lli,comdat
.Lfunc_end46:
	.size	_ZN12_GLOBAL__N_127rocblas_gemm_batched_kernelIfLi16ELi16ELi32ELi32ELi8ELi32ELi8ELi8ELi32ELc67ELc84EKfS1_fEEvlllT_PT11_llS4_llS2_PT12_llPT13_lli, .Lfunc_end46-_ZN12_GLOBAL__N_127rocblas_gemm_batched_kernelIfLi16ELi16ELi32ELi32ELi8ELi32ELi8ELi8ELi32ELc67ELc84EKfS1_fEEvlllT_PT11_llS4_llS2_PT12_llPT13_lli
                                        ; -- End function
	.set _ZN12_GLOBAL__N_127rocblas_gemm_batched_kernelIfLi16ELi16ELi32ELi32ELi8ELi32ELi8ELi8ELi32ELc67ELc84EKfS1_fEEvlllT_PT11_llS4_llS2_PT12_llPT13_lli.num_vgpr, 52
	.set _ZN12_GLOBAL__N_127rocblas_gemm_batched_kernelIfLi16ELi16ELi32ELi32ELi8ELi32ELi8ELi8ELi32ELc67ELc84EKfS1_fEEvlllT_PT11_llS4_llS2_PT12_llPT13_lli.num_agpr, 0
	.set _ZN12_GLOBAL__N_127rocblas_gemm_batched_kernelIfLi16ELi16ELi32ELi32ELi8ELi32ELi8ELi8ELi32ELc67ELc84EKfS1_fEEvlllT_PT11_llS4_llS2_PT12_llPT13_lli.numbered_sgpr, 24
	.set _ZN12_GLOBAL__N_127rocblas_gemm_batched_kernelIfLi16ELi16ELi32ELi32ELi8ELi32ELi8ELi8ELi32ELc67ELc84EKfS1_fEEvlllT_PT11_llS4_llS2_PT12_llPT13_lli.num_named_barrier, 0
	.set _ZN12_GLOBAL__N_127rocblas_gemm_batched_kernelIfLi16ELi16ELi32ELi32ELi8ELi32ELi8ELi8ELi32ELc67ELc84EKfS1_fEEvlllT_PT11_llS4_llS2_PT12_llPT13_lli.private_seg_size, 0
	.set _ZN12_GLOBAL__N_127rocblas_gemm_batched_kernelIfLi16ELi16ELi32ELi32ELi8ELi32ELi8ELi8ELi32ELc67ELc84EKfS1_fEEvlllT_PT11_llS4_llS2_PT12_llPT13_lli.uses_vcc, 1
	.set _ZN12_GLOBAL__N_127rocblas_gemm_batched_kernelIfLi16ELi16ELi32ELi32ELi8ELi32ELi8ELi8ELi32ELc67ELc84EKfS1_fEEvlllT_PT11_llS4_llS2_PT12_llPT13_lli.uses_flat_scratch, 0
	.set _ZN12_GLOBAL__N_127rocblas_gemm_batched_kernelIfLi16ELi16ELi32ELi32ELi8ELi32ELi8ELi8ELi32ELc67ELc84EKfS1_fEEvlllT_PT11_llS4_llS2_PT12_llPT13_lli.has_dyn_sized_stack, 0
	.set _ZN12_GLOBAL__N_127rocblas_gemm_batched_kernelIfLi16ELi16ELi32ELi32ELi8ELi32ELi8ELi8ELi32ELc67ELc84EKfS1_fEEvlllT_PT11_llS4_llS2_PT12_llPT13_lli.has_recursion, 0
	.set _ZN12_GLOBAL__N_127rocblas_gemm_batched_kernelIfLi16ELi16ELi32ELi32ELi8ELi32ELi8ELi8ELi32ELc67ELc84EKfS1_fEEvlllT_PT11_llS4_llS2_PT12_llPT13_lli.has_indirect_call, 0
	.section	.AMDGPU.csdata,"",@progbits
; Kernel info:
; codeLenInByte = 1288
; TotalNumSgprs: 30
; NumVgprs: 52
; NumAgprs: 0
; TotalNumVgprs: 52
; ScratchSize: 0
; MemoryBound: 0
; FloatMode: 240
; IeeeMode: 1
; LDSByteSize: 2048 bytes/workgroup (compile time only)
; SGPRBlocks: 3
; VGPRBlocks: 6
; NumSGPRsForWavesPerEU: 30
; NumVGPRsForWavesPerEU: 52
; AccumOffset: 52
; Occupancy: 8
; WaveLimiterHint : 0
; COMPUTE_PGM_RSRC2:SCRATCH_EN: 0
; COMPUTE_PGM_RSRC2:USER_SGPR: 2
; COMPUTE_PGM_RSRC2:TRAP_HANDLER: 0
; COMPUTE_PGM_RSRC2:TGID_X_EN: 1
; COMPUTE_PGM_RSRC2:TGID_Y_EN: 1
; COMPUTE_PGM_RSRC2:TGID_Z_EN: 1
; COMPUTE_PGM_RSRC2:TIDIG_COMP_CNT: 1
; COMPUTE_PGM_RSRC3_GFX90A:ACCUM_OFFSET: 12
; COMPUTE_PGM_RSRC3_GFX90A:TG_SPLIT: 0
	.section	.text._ZN12_GLOBAL__N_127rocblas_gemm_batched_kernelIfLi16ELi16ELi32ELi32ELi8ELi32ELi8ELi8ELi32ELc78ELc67EKfS1_fEEvlllT_PT11_llS4_llS2_PT12_llPT13_lli,"axG",@progbits,_ZN12_GLOBAL__N_127rocblas_gemm_batched_kernelIfLi16ELi16ELi32ELi32ELi8ELi32ELi8ELi8ELi32ELc78ELc67EKfS1_fEEvlllT_PT11_llS4_llS2_PT12_llPT13_lli,comdat
	.globl	_ZN12_GLOBAL__N_127rocblas_gemm_batched_kernelIfLi16ELi16ELi32ELi32ELi8ELi32ELi8ELi8ELi32ELc78ELc67EKfS1_fEEvlllT_PT11_llS4_llS2_PT12_llPT13_lli ; -- Begin function _ZN12_GLOBAL__N_127rocblas_gemm_batched_kernelIfLi16ELi16ELi32ELi32ELi8ELi32ELi8ELi8ELi32ELc78ELc67EKfS1_fEEvlllT_PT11_llS4_llS2_PT12_llPT13_lli
	.p2align	8
	.type	_ZN12_GLOBAL__N_127rocblas_gemm_batched_kernelIfLi16ELi16ELi32ELi32ELi8ELi32ELi8ELi8ELi32ELc78ELc67EKfS1_fEEvlllT_PT11_llS4_llS2_PT12_llPT13_lli,@function
_ZN12_GLOBAL__N_127rocblas_gemm_batched_kernelIfLi16ELi16ELi32ELi32ELi8ELi32ELi8ELi8ELi32ELc78ELc67EKfS1_fEEvlllT_PT11_llS4_llS2_PT12_llPT13_lli: ; @_ZN12_GLOBAL__N_127rocblas_gemm_batched_kernelIfLi16ELi16ELi32ELi32ELi8ELi32ELi8ELi8ELi32ELc78ELc67EKfS1_fEEvlllT_PT11_llS4_llS2_PT12_llPT13_lli
; %bb.0:
	s_load_dwordx2 s[16:17], s[0:1], 0x10
	s_mov_b32 s6, s3
	v_mov_b32_e32 v3, 0
	s_ashr_i32 s3, s2, 31
	s_ashr_i32 s7, s6, 31
	s_waitcnt lgkmcnt(0)
	v_cmp_lt_i64_e64 s[8:9], s[16:17], 1
	v_bfe_u32 v2, v0, 10, 10
	v_and_b32_e32 v4, 0x3ff, v0
	v_mov_b32_e32 v5, v3
	s_lshl_b64 s[2:3], s[2:3], 5
	s_lshl_b64 s[6:7], s[6:7], 5
	s_and_b64 vcc, exec, s[8:9]
	v_mov_b32_e32 v7, v3
	v_mov_b32_e32 v6, v3
	;; [unrolled: 1-line block ×4, first 2 shown]
	s_cbranch_vccnz .LBB47_3
; %bb.1:
	s_load_dwordx8 s[8:15], s[0:1], 0x20
	s_load_dwordx4 s[20:23], s[0:1], 0x40
	v_lshl_add_u32 v8, v2, 4, v4
	v_and_b32_e32 v6, 31, v8
	v_lshrrev_b32_e32 v0, 3, v8
	v_and_b32_e32 v10, 7, v4
	v_lshrrev_b32_e32 v12, 5, v8
	v_lshlrev_b32_e32 v8, 2, v6
	v_lshl_or_b32 v14, v12, 7, v8
	v_lshlrev_b32_e32 v8, 2, v10
	v_lshl_or_b32 v8, v0, 5, v8
	v_mov_b32_e32 v1, 0
	v_add_u32_e32 v15, 0x400, v8
	v_mov_b32_e32 v8, 0x400
	s_waitcnt lgkmcnt(0)
	s_mul_i32 s5, s23, s4
	s_mul_hi_u32 s18, s22, s4
	v_lshl_add_u32 v17, v2, 5, v8
	s_add_i32 s19, s18, s5
	s_mul_i32 s18, s22, s4
	v_mad_u64_u32 v[8:9], s[22:23], s20, v10, v[0:1]
	v_mov_b32_e32 v0, v9
	s_lshl_b64 s[18:19], s[18:19], 2
	v_mad_u64_u32 v[10:11], s[22:23], s21, v10, v[0:1]
	v_mov_b32_e32 v9, v10
	s_add_u32 s14, s14, s18
	v_mov_b64_e32 v[10:11], s[2:3]
	s_addc_u32 s15, s15, s19
	s_mul_i32 s5, s13, s4
	s_mul_hi_u32 s13, s12, s4
	v_mad_u64_u32 v[10:11], s[18:19], s10, v12, v[10:11]
	v_lshl_add_u64 v[8:9], v[8:9], 0, s[6:7]
	s_add_i32 s13, s13, s5
	s_mul_i32 s12, s12, s4
	v_mov_b32_e32 v0, v11
	v_lshl_add_u64 v[8:9], v[8:9], 2, s[14:15]
	s_lshl_b64 s[14:15], s[20:21], 5
	s_lshl_b64 s[12:13], s[12:13], 2
	v_mad_u64_u32 v[12:13], s[18:19], s11, v12, v[0:1]
	v_mov_b32_e32 v7, v1
	v_mov_b32_e32 v11, v12
	s_add_u32 s8, s8, s12
	v_lshl_add_u64 v[6:7], v[10:11], 0, v[6:7]
	s_addc_u32 s9, s9, s13
	v_lshlrev_b32_e32 v16, 2, v4
	v_lshl_add_u64 v[10:11], v[6:7], 2, s[8:9]
	s_lshl_b64 s[8:9], s[10:11], 5
	s_mov_b64 s[10:11], 0
	v_mov_b64_e32 v[12:13], s[16:17]
	v_mov_b32_e32 v0, v1
	v_mov_b32_e32 v6, v1
	;; [unrolled: 1-line block ×3, first 2 shown]
.LBB47_2:                               ; =>This Inner Loop Header: Depth=1
	global_load_dword v18, v[10:11], off
	s_add_u32 s10, s10, 8
	s_addc_u32 s11, s11, 0
	v_cmp_lt_i64_e32 vcc, s[10:11], v[12:13]
	v_lshl_add_u64 v[10:11], v[10:11], 0, s[8:9]
	s_and_b64 vcc, exec, vcc
	s_waitcnt vmcnt(0)
	ds_write_b32 v14, v18
	global_load_dword v18, v[8:9], off
	v_lshl_add_u64 v[8:9], v[8:9], 0, s[14:15]
	s_waitcnt vmcnt(0)
	ds_write_b32 v15, v18
	s_waitcnt lgkmcnt(0)
	s_barrier
	ds_read_b128 v[18:21], v17
	ds_read_b128 v[22:25], v17 offset:16
	ds_read2_b32 v[36:37], v16 offset1:16
	ds_read_b128 v[26:29], v17 offset:512
	ds_read2_b32 v[38:39], v16 offset0:32 offset1:48
	ds_read2_b32 v[40:41], v16 offset0:64 offset1:80
	;; [unrolled: 1-line block ×4, first 2 shown]
	ds_read_b128 v[30:33], v17 offset:528
	ds_read2_b32 v[46:47], v16 offset0:160 offset1:176
	ds_read2_b32 v[48:49], v16 offset0:192 offset1:208
	ds_read2_b32 v[50:51], v16 offset0:224 offset1:240
	s_waitcnt lgkmcnt(9)
	v_mov_b32_e32 v34, v37
	v_mov_b32_e32 v35, v36
	v_pk_fma_f32 v[6:7], v[34:35], v[18:19], v[6:7] op_sel_hi:[1,0,1]
	s_waitcnt lgkmcnt(7)
	v_mov_b32_e32 v36, v39
	v_mov_b32_e32 v37, v38
	v_pk_fma_f32 v[0:1], v[34:35], v[26:27], v[0:1] op_sel_hi:[1,0,1]
	v_pk_fma_f32 v[6:7], v[36:37], v[18:19], v[6:7] op_sel:[0,1,0]
	s_waitcnt lgkmcnt(6)
	v_mov_b32_e32 v18, v41
	v_mov_b32_e32 v19, v40
	v_pk_fma_f32 v[0:1], v[36:37], v[26:27], v[0:1] op_sel:[0,1,0]
	v_pk_fma_f32 v[6:7], v[18:19], v[20:21], v[6:7] op_sel_hi:[1,0,1]
	s_waitcnt lgkmcnt(5)
	v_mov_b32_e32 v38, v43
	v_mov_b32_e32 v39, v42
	;; [unrolled: 1-line block ×3, first 2 shown]
	v_pk_fma_f32 v[0:1], v[18:19], v[28:29], v[0:1] op_sel_hi:[1,0,1]
	v_mov_b32_e32 v18, v29
	v_pk_fma_f32 v[6:7], v[38:39], v[20:21], v[6:7] op_sel_hi:[1,0,1]
	s_waitcnt lgkmcnt(4)
	v_mov_b32_e32 v20, v45
	v_mov_b32_e32 v21, v44
	v_pk_fma_f32 v[0:1], v[38:39], v[18:19], v[0:1] op_sel_hi:[1,0,1]
	v_pk_fma_f32 v[6:7], v[20:21], v[22:23], v[6:7] op_sel_hi:[1,0,1]
	s_waitcnt lgkmcnt(2)
	v_mov_b32_e32 v40, v47
	v_mov_b32_e32 v41, v46
	v_pk_fma_f32 v[0:1], v[20:21], v[30:31], v[0:1] op_sel_hi:[1,0,1]
	v_pk_fma_f32 v[6:7], v[40:41], v[22:23], v[6:7] op_sel:[0,1,0]
	s_waitcnt lgkmcnt(1)
	v_mov_b32_e32 v22, v49
	v_mov_b32_e32 v23, v48
	v_pk_fma_f32 v[0:1], v[40:41], v[30:31], v[0:1] op_sel:[0,1,0]
	v_pk_fma_f32 v[6:7], v[22:23], v[24:25], v[6:7] op_sel_hi:[1,0,1]
	s_waitcnt lgkmcnt(0)
	v_mov_b32_e32 v42, v51
	v_mov_b32_e32 v43, v50
	;; [unrolled: 1-line block ×3, first 2 shown]
	v_pk_fma_f32 v[0:1], v[22:23], v[32:33], v[0:1] op_sel_hi:[1,0,1]
	v_mov_b32_e32 v18, v33
	v_pk_fma_f32 v[6:7], v[42:43], v[24:25], v[6:7] op_sel_hi:[1,0,1]
	v_pk_fma_f32 v[0:1], v[42:43], v[18:19], v[0:1] op_sel_hi:[1,0,1]
	s_barrier
	s_cbranch_vccnz .LBB47_2
.LBB47_3:
	s_load_dwordx4 s[16:19], s[0:1], 0x78
	s_load_dword s5, s[0:1], 0x18
	s_load_dword s20, s[0:1], 0x50
	s_load_dwordx8 s[8:15], s[0:1], 0x58
	v_lshl_add_u64 v[8:9], s[6:7], 0, v[2:3]
	s_waitcnt lgkmcnt(0)
	s_mul_i32 s0, s19, s4
	s_mul_hi_u32 s1, s18, s4
	s_add_i32 s1, s1, s0
	s_mul_i32 s0, s18, s4
	s_lshl_b64 s[0:1], s[0:1], 2
	s_add_u32 s0, s14, s0
	v_cmp_neq_f32_e64 s[6:7], s20, 0
	v_lshl_add_u64 v[2:3], s[2:3], 0, v[4:5]
	s_addc_u32 s1, s15, s1
	s_and_b64 vcc, exec, s[6:7]
	v_mul_lo_u32 v4, v9, s16
	v_mul_lo_u32 v5, v8, s17
	v_lshlrev_b64 v[2:3], 2, v[2:3]
	s_cbranch_vccnz .LBB47_7
; %bb.4:
	v_mad_u64_u32 v[10:11], s[2:3], v8, s16, 0
	v_add3_u32 v11, v11, v5, v4
	v_lshl_add_u64 v[10:11], v[10:11], 2, s[0:1]
	v_mul_f32_e32 v14, s5, v7
	v_lshl_add_u64 v[12:13], v[10:11], 0, v[2:3]
	s_lshl_b64 s[2:3], s[16:17], 6
	global_store_dword v[12:13], v14, off
	v_mul_f32_e32 v14, s5, v6
	v_lshl_add_u64 v[10:11], v[10:11], 0, s[2:3]
	global_store_dword v[12:13], v14, off offset:64
	v_mul_f32_e32 v12, s5, v1
	v_lshl_add_u64 v[10:11], v[10:11], 0, v[2:3]
	global_store_dword v[10:11], v12, off
	v_mul_f32_e32 v12, s5, v0
	global_store_dword v[10:11], v12, off offset:64
	s_cbranch_execnz .LBB47_6
.LBB47_5:
	s_mul_i32 s2, s13, s4
	s_mul_hi_u32 s3, s12, s4
	s_add_i32 s3, s3, s2
	s_mul_i32 s2, s12, s4
	s_lshl_b64 s[2:3], s[2:3], 2
	s_add_u32 s2, s8, s2
	v_mul_lo_u32 v9, v9, s10
	v_mul_lo_u32 v12, v8, s11
	v_mad_u64_u32 v[10:11], s[6:7], v8, s10, 0
	s_addc_u32 s3, s9, s3
	v_add3_u32 v11, v11, v12, v9
	v_lshl_add_u64 v[10:11], v[10:11], 2, s[2:3]
	v_lshl_add_u64 v[12:13], v[10:11], 0, v[2:3]
	global_load_dword v14, v[12:13], off
	v_mad_u64_u32 v[8:9], s[2:3], v8, s16, 0
	v_add3_u32 v9, v9, v5, v4
	v_lshl_add_u64 v[4:5], v[8:9], 2, s[0:1]
	v_lshl_add_u64 v[8:9], v[4:5], 0, v[2:3]
	s_lshl_b64 s[0:1], s[10:11], 6
	v_lshl_add_u64 v[10:11], v[10:11], 0, s[0:1]
	v_lshl_add_u64 v[10:11], v[10:11], 0, v[2:3]
	s_lshl_b64 s[0:1], s[16:17], 6
	v_lshl_add_u64 v[4:5], v[4:5], 0, s[0:1]
	v_lshl_add_u64 v[2:3], v[4:5], 0, v[2:3]
	s_waitcnt vmcnt(0)
	v_mul_f32_e32 v14, s20, v14
	v_fmac_f32_e32 v14, s5, v7
	global_store_dword v[8:9], v14, off
	global_load_dword v7, v[12:13], off offset:64
	s_waitcnt vmcnt(0)
	v_mul_f32_e32 v7, s20, v7
	v_fmac_f32_e32 v7, s5, v6
	global_store_dword v[8:9], v7, off offset:64
	global_load_dword v6, v[10:11], off
	s_waitcnt vmcnt(0)
	v_mul_f32_e32 v6, s20, v6
	v_fmac_f32_e32 v6, s5, v1
	global_store_dword v[2:3], v6, off
	global_load_dword v1, v[10:11], off offset:64
	s_waitcnt vmcnt(0)
	v_mul_f32_e32 v1, s20, v1
	v_fmac_f32_e32 v1, s5, v0
	global_store_dword v[2:3], v1, off offset:64
.LBB47_6:
	s_endpgm
.LBB47_7:
	s_branch .LBB47_5
	.section	.rodata,"a",@progbits
	.p2align	6, 0x0
	.amdhsa_kernel _ZN12_GLOBAL__N_127rocblas_gemm_batched_kernelIfLi16ELi16ELi32ELi32ELi8ELi32ELi8ELi8ELi32ELc78ELc67EKfS1_fEEvlllT_PT11_llS4_llS2_PT12_llPT13_lli
		.amdhsa_group_segment_fixed_size 2048
		.amdhsa_private_segment_fixed_size 0
		.amdhsa_kernarg_size 140
		.amdhsa_user_sgpr_count 2
		.amdhsa_user_sgpr_dispatch_ptr 0
		.amdhsa_user_sgpr_queue_ptr 0
		.amdhsa_user_sgpr_kernarg_segment_ptr 1
		.amdhsa_user_sgpr_dispatch_id 0
		.amdhsa_user_sgpr_kernarg_preload_length 0
		.amdhsa_user_sgpr_kernarg_preload_offset 0
		.amdhsa_user_sgpr_private_segment_size 0
		.amdhsa_uses_dynamic_stack 0
		.amdhsa_enable_private_segment 0
		.amdhsa_system_sgpr_workgroup_id_x 1
		.amdhsa_system_sgpr_workgroup_id_y 1
		.amdhsa_system_sgpr_workgroup_id_z 1
		.amdhsa_system_sgpr_workgroup_info 0
		.amdhsa_system_vgpr_workitem_id 1
		.amdhsa_next_free_vgpr 52
		.amdhsa_next_free_sgpr 24
		.amdhsa_accum_offset 52
		.amdhsa_reserve_vcc 1
		.amdhsa_float_round_mode_32 0
		.amdhsa_float_round_mode_16_64 0
		.amdhsa_float_denorm_mode_32 3
		.amdhsa_float_denorm_mode_16_64 3
		.amdhsa_dx10_clamp 1
		.amdhsa_ieee_mode 1
		.amdhsa_fp16_overflow 0
		.amdhsa_tg_split 0
		.amdhsa_exception_fp_ieee_invalid_op 0
		.amdhsa_exception_fp_denorm_src 0
		.amdhsa_exception_fp_ieee_div_zero 0
		.amdhsa_exception_fp_ieee_overflow 0
		.amdhsa_exception_fp_ieee_underflow 0
		.amdhsa_exception_fp_ieee_inexact 0
		.amdhsa_exception_int_div_zero 0
	.end_amdhsa_kernel
	.section	.text._ZN12_GLOBAL__N_127rocblas_gemm_batched_kernelIfLi16ELi16ELi32ELi32ELi8ELi32ELi8ELi8ELi32ELc78ELc67EKfS1_fEEvlllT_PT11_llS4_llS2_PT12_llPT13_lli,"axG",@progbits,_ZN12_GLOBAL__N_127rocblas_gemm_batched_kernelIfLi16ELi16ELi32ELi32ELi8ELi32ELi8ELi8ELi32ELc78ELc67EKfS1_fEEvlllT_PT11_llS4_llS2_PT12_llPT13_lli,comdat
.Lfunc_end47:
	.size	_ZN12_GLOBAL__N_127rocblas_gemm_batched_kernelIfLi16ELi16ELi32ELi32ELi8ELi32ELi8ELi8ELi32ELc78ELc67EKfS1_fEEvlllT_PT11_llS4_llS2_PT12_llPT13_lli, .Lfunc_end47-_ZN12_GLOBAL__N_127rocblas_gemm_batched_kernelIfLi16ELi16ELi32ELi32ELi8ELi32ELi8ELi8ELi32ELc78ELc67EKfS1_fEEvlllT_PT11_llS4_llS2_PT12_llPT13_lli
                                        ; -- End function
	.set _ZN12_GLOBAL__N_127rocblas_gemm_batched_kernelIfLi16ELi16ELi32ELi32ELi8ELi32ELi8ELi8ELi32ELc78ELc67EKfS1_fEEvlllT_PT11_llS4_llS2_PT12_llPT13_lli.num_vgpr, 52
	.set _ZN12_GLOBAL__N_127rocblas_gemm_batched_kernelIfLi16ELi16ELi32ELi32ELi8ELi32ELi8ELi8ELi32ELc78ELc67EKfS1_fEEvlllT_PT11_llS4_llS2_PT12_llPT13_lli.num_agpr, 0
	.set _ZN12_GLOBAL__N_127rocblas_gemm_batched_kernelIfLi16ELi16ELi32ELi32ELi8ELi32ELi8ELi8ELi32ELc78ELc67EKfS1_fEEvlllT_PT11_llS4_llS2_PT12_llPT13_lli.numbered_sgpr, 24
	.set _ZN12_GLOBAL__N_127rocblas_gemm_batched_kernelIfLi16ELi16ELi32ELi32ELi8ELi32ELi8ELi8ELi32ELc78ELc67EKfS1_fEEvlllT_PT11_llS4_llS2_PT12_llPT13_lli.num_named_barrier, 0
	.set _ZN12_GLOBAL__N_127rocblas_gemm_batched_kernelIfLi16ELi16ELi32ELi32ELi8ELi32ELi8ELi8ELi32ELc78ELc67EKfS1_fEEvlllT_PT11_llS4_llS2_PT12_llPT13_lli.private_seg_size, 0
	.set _ZN12_GLOBAL__N_127rocblas_gemm_batched_kernelIfLi16ELi16ELi32ELi32ELi8ELi32ELi8ELi8ELi32ELc78ELc67EKfS1_fEEvlllT_PT11_llS4_llS2_PT12_llPT13_lli.uses_vcc, 1
	.set _ZN12_GLOBAL__N_127rocblas_gemm_batched_kernelIfLi16ELi16ELi32ELi32ELi8ELi32ELi8ELi8ELi32ELc78ELc67EKfS1_fEEvlllT_PT11_llS4_llS2_PT12_llPT13_lli.uses_flat_scratch, 0
	.set _ZN12_GLOBAL__N_127rocblas_gemm_batched_kernelIfLi16ELi16ELi32ELi32ELi8ELi32ELi8ELi8ELi32ELc78ELc67EKfS1_fEEvlllT_PT11_llS4_llS2_PT12_llPT13_lli.has_dyn_sized_stack, 0
	.set _ZN12_GLOBAL__N_127rocblas_gemm_batched_kernelIfLi16ELi16ELi32ELi32ELi8ELi32ELi8ELi8ELi32ELc78ELc67EKfS1_fEEvlllT_PT11_llS4_llS2_PT12_llPT13_lli.has_recursion, 0
	.set _ZN12_GLOBAL__N_127rocblas_gemm_batched_kernelIfLi16ELi16ELi32ELi32ELi8ELi32ELi8ELi8ELi32ELc78ELc67EKfS1_fEEvlllT_PT11_llS4_llS2_PT12_llPT13_lli.has_indirect_call, 0
	.section	.AMDGPU.csdata,"",@progbits
; Kernel info:
; codeLenInByte = 1276
; TotalNumSgprs: 30
; NumVgprs: 52
; NumAgprs: 0
; TotalNumVgprs: 52
; ScratchSize: 0
; MemoryBound: 0
; FloatMode: 240
; IeeeMode: 1
; LDSByteSize: 2048 bytes/workgroup (compile time only)
; SGPRBlocks: 3
; VGPRBlocks: 6
; NumSGPRsForWavesPerEU: 30
; NumVGPRsForWavesPerEU: 52
; AccumOffset: 52
; Occupancy: 8
; WaveLimiterHint : 0
; COMPUTE_PGM_RSRC2:SCRATCH_EN: 0
; COMPUTE_PGM_RSRC2:USER_SGPR: 2
; COMPUTE_PGM_RSRC2:TRAP_HANDLER: 0
; COMPUTE_PGM_RSRC2:TGID_X_EN: 1
; COMPUTE_PGM_RSRC2:TGID_Y_EN: 1
; COMPUTE_PGM_RSRC2:TGID_Z_EN: 1
; COMPUTE_PGM_RSRC2:TIDIG_COMP_CNT: 1
; COMPUTE_PGM_RSRC3_GFX90A:ACCUM_OFFSET: 12
; COMPUTE_PGM_RSRC3_GFX90A:TG_SPLIT: 0
	.section	.text._ZN12_GLOBAL__N_127rocblas_gemm_batched_kernelIfLi16ELi16ELi32ELi32ELi8ELi32ELi8ELi8ELi32ELc84ELc67EKfS1_fEEvlllT_PT11_llS4_llS2_PT12_llPT13_lli,"axG",@progbits,_ZN12_GLOBAL__N_127rocblas_gemm_batched_kernelIfLi16ELi16ELi32ELi32ELi8ELi32ELi8ELi8ELi32ELc84ELc67EKfS1_fEEvlllT_PT11_llS4_llS2_PT12_llPT13_lli,comdat
	.globl	_ZN12_GLOBAL__N_127rocblas_gemm_batched_kernelIfLi16ELi16ELi32ELi32ELi8ELi32ELi8ELi8ELi32ELc84ELc67EKfS1_fEEvlllT_PT11_llS4_llS2_PT12_llPT13_lli ; -- Begin function _ZN12_GLOBAL__N_127rocblas_gemm_batched_kernelIfLi16ELi16ELi32ELi32ELi8ELi32ELi8ELi8ELi32ELc84ELc67EKfS1_fEEvlllT_PT11_llS4_llS2_PT12_llPT13_lli
	.p2align	8
	.type	_ZN12_GLOBAL__N_127rocblas_gemm_batched_kernelIfLi16ELi16ELi32ELi32ELi8ELi32ELi8ELi8ELi32ELc84ELc67EKfS1_fEEvlllT_PT11_llS4_llS2_PT12_llPT13_lli,@function
_ZN12_GLOBAL__N_127rocblas_gemm_batched_kernelIfLi16ELi16ELi32ELi32ELi8ELi32ELi8ELi8ELi32ELc84ELc67EKfS1_fEEvlllT_PT11_llS4_llS2_PT12_llPT13_lli: ; @_ZN12_GLOBAL__N_127rocblas_gemm_batched_kernelIfLi16ELi16ELi32ELi32ELi8ELi32ELi8ELi8ELi32ELc84ELc67EKfS1_fEEvlllT_PT11_llS4_llS2_PT12_llPT13_lli
; %bb.0:
	s_load_dwordx2 s[16:17], s[0:1], 0x10
	s_mov_b32 s6, s3
	v_mov_b32_e32 v3, 0
	s_ashr_i32 s3, s2, 31
	s_ashr_i32 s7, s6, 31
	s_waitcnt lgkmcnt(0)
	v_cmp_lt_i64_e64 s[8:9], s[16:17], 1
	v_bfe_u32 v2, v0, 10, 10
	v_and_b32_e32 v4, 0x3ff, v0
	v_mov_b32_e32 v5, v3
	s_lshl_b64 s[2:3], s[2:3], 5
	s_lshl_b64 s[6:7], s[6:7], 5
	s_and_b64 vcc, exec, s[8:9]
	v_mov_b32_e32 v7, v3
	v_mov_b32_e32 v6, v3
	;; [unrolled: 1-line block ×4, first 2 shown]
	s_cbranch_vccnz .LBB48_3
; %bb.1:
	s_load_dwordx8 s[8:15], s[0:1], 0x20
	s_load_dwordx4 s[20:23], s[0:1], 0x40
	v_lshl_add_u32 v8, v2, 4, v4
	v_and_b32_e32 v6, 31, v8
	v_lshrrev_b32_e32 v0, 3, v8
	v_and_b32_e32 v10, 7, v4
	v_lshrrev_b32_e32 v12, 5, v8
	v_lshlrev_b32_e32 v8, 2, v6
	v_lshl_or_b32 v14, v12, 7, v8
	v_lshlrev_b32_e32 v8, 2, v10
	v_lshl_or_b32 v8, v0, 5, v8
	v_mov_b32_e32 v1, 0
	v_add_u32_e32 v15, 0x400, v8
	v_mov_b32_e32 v8, 0x400
	s_waitcnt lgkmcnt(0)
	s_mul_i32 s5, s23, s4
	s_mul_hi_u32 s18, s22, s4
	v_lshl_add_u32 v17, v2, 5, v8
	s_add_i32 s19, s18, s5
	s_mul_i32 s18, s22, s4
	v_mad_u64_u32 v[8:9], s[22:23], s20, v10, v[0:1]
	v_mov_b32_e32 v7, v1
	v_mov_b32_e32 v0, v9
	v_mad_u64_u32 v[10:11], s[22:23], s21, v10, v[0:1]
	v_lshl_add_u64 v[6:7], s[2:3], 0, v[6:7]
	s_lshl_b64 s[18:19], s[18:19], 2
	v_mov_b32_e32 v9, v10
	v_mul_lo_u32 v0, s11, v6
	v_mul_lo_u32 v10, s10, v7
	v_mad_u64_u32 v[6:7], s[10:11], s10, v6, 0
	s_add_u32 s14, s14, s18
	s_mul_i32 s5, s13, s4
	s_mul_hi_u32 s10, s12, s4
	s_addc_u32 s15, s15, s19
	s_add_i32 s11, s10, s5
	s_mul_i32 s10, s12, s4
	v_add3_u32 v7, v7, v10, v0
	s_lshl_b64 s[10:11], s[10:11], 2
	v_lshl_add_u64 v[6:7], v[6:7], 2, s[10:11]
	v_lshlrev_b32_e32 v0, 2, v12
	v_lshl_add_u64 v[8:9], v[8:9], 0, s[6:7]
	v_lshl_add_u64 v[6:7], v[6:7], 0, v[0:1]
	v_lshlrev_b32_e32 v16, 2, v4
	v_lshl_add_u64 v[8:9], v[8:9], 2, s[14:15]
	s_lshl_b64 s[14:15], s[20:21], 5
	v_lshl_add_u64 v[10:11], s[8:9], 0, v[6:7]
	s_mov_b64 s[8:9], 0
	v_mov_b64_e32 v[12:13], s[16:17]
	v_mov_b32_e32 v0, v1
	v_mov_b32_e32 v6, v1
	;; [unrolled: 1-line block ×3, first 2 shown]
.LBB48_2:                               ; =>This Inner Loop Header: Depth=1
	global_load_dword v18, v[10:11], off
	s_add_u32 s8, s8, 8
	s_addc_u32 s9, s9, 0
	v_cmp_lt_i64_e32 vcc, s[8:9], v[12:13]
	v_lshl_add_u64 v[10:11], v[10:11], 0, 32
	s_and_b64 vcc, exec, vcc
	s_waitcnt vmcnt(0)
	ds_write_b32 v14, v18
	global_load_dword v18, v[8:9], off
	v_lshl_add_u64 v[8:9], v[8:9], 0, s[14:15]
	s_waitcnt vmcnt(0)
	ds_write_b32 v15, v18
	s_waitcnt lgkmcnt(0)
	s_barrier
	ds_read_b128 v[18:21], v17
	ds_read_b128 v[22:25], v17 offset:16
	ds_read2_b32 v[36:37], v16 offset1:16
	ds_read_b128 v[26:29], v17 offset:512
	ds_read2_b32 v[38:39], v16 offset0:32 offset1:48
	ds_read2_b32 v[40:41], v16 offset0:64 offset1:80
	;; [unrolled: 1-line block ×4, first 2 shown]
	ds_read_b128 v[30:33], v17 offset:528
	ds_read2_b32 v[46:47], v16 offset0:160 offset1:176
	ds_read2_b32 v[48:49], v16 offset0:192 offset1:208
	;; [unrolled: 1-line block ×3, first 2 shown]
	s_waitcnt lgkmcnt(9)
	v_mov_b32_e32 v34, v37
	v_mov_b32_e32 v35, v36
	v_pk_fma_f32 v[6:7], v[34:35], v[18:19], v[6:7] op_sel_hi:[1,0,1]
	s_waitcnt lgkmcnt(7)
	v_mov_b32_e32 v36, v39
	v_mov_b32_e32 v37, v38
	v_pk_fma_f32 v[0:1], v[34:35], v[26:27], v[0:1] op_sel_hi:[1,0,1]
	v_pk_fma_f32 v[6:7], v[36:37], v[18:19], v[6:7] op_sel:[0,1,0]
	s_waitcnt lgkmcnt(6)
	v_mov_b32_e32 v18, v41
	v_mov_b32_e32 v19, v40
	v_pk_fma_f32 v[0:1], v[36:37], v[26:27], v[0:1] op_sel:[0,1,0]
	v_pk_fma_f32 v[6:7], v[18:19], v[20:21], v[6:7] op_sel_hi:[1,0,1]
	s_waitcnt lgkmcnt(5)
	v_mov_b32_e32 v38, v43
	v_mov_b32_e32 v39, v42
	;; [unrolled: 1-line block ×3, first 2 shown]
	v_pk_fma_f32 v[0:1], v[18:19], v[28:29], v[0:1] op_sel_hi:[1,0,1]
	v_mov_b32_e32 v18, v29
	v_pk_fma_f32 v[6:7], v[38:39], v[20:21], v[6:7] op_sel_hi:[1,0,1]
	s_waitcnt lgkmcnt(4)
	v_mov_b32_e32 v20, v45
	v_mov_b32_e32 v21, v44
	v_pk_fma_f32 v[0:1], v[38:39], v[18:19], v[0:1] op_sel_hi:[1,0,1]
	v_pk_fma_f32 v[6:7], v[20:21], v[22:23], v[6:7] op_sel_hi:[1,0,1]
	s_waitcnt lgkmcnt(2)
	v_mov_b32_e32 v40, v47
	v_mov_b32_e32 v41, v46
	v_pk_fma_f32 v[0:1], v[20:21], v[30:31], v[0:1] op_sel_hi:[1,0,1]
	v_pk_fma_f32 v[6:7], v[40:41], v[22:23], v[6:7] op_sel:[0,1,0]
	s_waitcnt lgkmcnt(1)
	v_mov_b32_e32 v22, v49
	v_mov_b32_e32 v23, v48
	v_pk_fma_f32 v[0:1], v[40:41], v[30:31], v[0:1] op_sel:[0,1,0]
	v_pk_fma_f32 v[6:7], v[22:23], v[24:25], v[6:7] op_sel_hi:[1,0,1]
	s_waitcnt lgkmcnt(0)
	v_mov_b32_e32 v42, v51
	v_mov_b32_e32 v43, v50
	;; [unrolled: 1-line block ×3, first 2 shown]
	v_pk_fma_f32 v[0:1], v[22:23], v[32:33], v[0:1] op_sel_hi:[1,0,1]
	v_mov_b32_e32 v18, v33
	v_pk_fma_f32 v[6:7], v[42:43], v[24:25], v[6:7] op_sel_hi:[1,0,1]
	v_pk_fma_f32 v[0:1], v[42:43], v[18:19], v[0:1] op_sel_hi:[1,0,1]
	s_barrier
	s_cbranch_vccnz .LBB48_2
.LBB48_3:
	s_load_dwordx4 s[16:19], s[0:1], 0x78
	s_load_dword s5, s[0:1], 0x18
	s_load_dword s20, s[0:1], 0x50
	s_load_dwordx8 s[8:15], s[0:1], 0x58
	v_lshl_add_u64 v[8:9], s[6:7], 0, v[2:3]
	s_waitcnt lgkmcnt(0)
	s_mul_i32 s0, s19, s4
	s_mul_hi_u32 s1, s18, s4
	s_add_i32 s1, s1, s0
	s_mul_i32 s0, s18, s4
	s_lshl_b64 s[0:1], s[0:1], 2
	s_add_u32 s0, s14, s0
	v_cmp_neq_f32_e64 s[6:7], s20, 0
	v_lshl_add_u64 v[2:3], s[2:3], 0, v[4:5]
	s_addc_u32 s1, s15, s1
	s_and_b64 vcc, exec, s[6:7]
	v_mul_lo_u32 v4, v9, s16
	v_mul_lo_u32 v5, v8, s17
	v_lshlrev_b64 v[2:3], 2, v[2:3]
	s_cbranch_vccnz .LBB48_7
; %bb.4:
	v_mad_u64_u32 v[10:11], s[2:3], v8, s16, 0
	v_add3_u32 v11, v11, v5, v4
	v_lshl_add_u64 v[10:11], v[10:11], 2, s[0:1]
	v_mul_f32_e32 v14, s5, v7
	v_lshl_add_u64 v[12:13], v[10:11], 0, v[2:3]
	s_lshl_b64 s[2:3], s[16:17], 6
	global_store_dword v[12:13], v14, off
	v_mul_f32_e32 v14, s5, v6
	v_lshl_add_u64 v[10:11], v[10:11], 0, s[2:3]
	global_store_dword v[12:13], v14, off offset:64
	v_mul_f32_e32 v12, s5, v1
	v_lshl_add_u64 v[10:11], v[10:11], 0, v[2:3]
	global_store_dword v[10:11], v12, off
	v_mul_f32_e32 v12, s5, v0
	global_store_dword v[10:11], v12, off offset:64
	s_cbranch_execnz .LBB48_6
.LBB48_5:
	s_mul_i32 s2, s13, s4
	s_mul_hi_u32 s3, s12, s4
	s_add_i32 s3, s3, s2
	s_mul_i32 s2, s12, s4
	s_lshl_b64 s[2:3], s[2:3], 2
	s_add_u32 s2, s8, s2
	v_mul_lo_u32 v9, v9, s10
	v_mul_lo_u32 v12, v8, s11
	v_mad_u64_u32 v[10:11], s[6:7], v8, s10, 0
	s_addc_u32 s3, s9, s3
	v_add3_u32 v11, v11, v12, v9
	v_lshl_add_u64 v[10:11], v[10:11], 2, s[2:3]
	v_lshl_add_u64 v[12:13], v[10:11], 0, v[2:3]
	global_load_dword v14, v[12:13], off
	v_mad_u64_u32 v[8:9], s[2:3], v8, s16, 0
	v_add3_u32 v9, v9, v5, v4
	v_lshl_add_u64 v[4:5], v[8:9], 2, s[0:1]
	v_lshl_add_u64 v[8:9], v[4:5], 0, v[2:3]
	s_lshl_b64 s[0:1], s[10:11], 6
	v_lshl_add_u64 v[10:11], v[10:11], 0, s[0:1]
	v_lshl_add_u64 v[10:11], v[10:11], 0, v[2:3]
	s_lshl_b64 s[0:1], s[16:17], 6
	v_lshl_add_u64 v[4:5], v[4:5], 0, s[0:1]
	v_lshl_add_u64 v[2:3], v[4:5], 0, v[2:3]
	s_waitcnt vmcnt(0)
	v_mul_f32_e32 v14, s20, v14
	v_fmac_f32_e32 v14, s5, v7
	global_store_dword v[8:9], v14, off
	global_load_dword v7, v[12:13], off offset:64
	s_waitcnt vmcnt(0)
	v_mul_f32_e32 v7, s20, v7
	v_fmac_f32_e32 v7, s5, v6
	global_store_dword v[8:9], v7, off offset:64
	global_load_dword v6, v[10:11], off
	s_waitcnt vmcnt(0)
	v_mul_f32_e32 v6, s20, v6
	v_fmac_f32_e32 v6, s5, v1
	global_store_dword v[2:3], v6, off
	global_load_dword v1, v[10:11], off offset:64
	s_waitcnt vmcnt(0)
	v_mul_f32_e32 v1, s20, v1
	v_fmac_f32_e32 v1, s5, v0
	global_store_dword v[2:3], v1, off offset:64
.LBB48_6:
	s_endpgm
.LBB48_7:
	s_branch .LBB48_5
	.section	.rodata,"a",@progbits
	.p2align	6, 0x0
	.amdhsa_kernel _ZN12_GLOBAL__N_127rocblas_gemm_batched_kernelIfLi16ELi16ELi32ELi32ELi8ELi32ELi8ELi8ELi32ELc84ELc67EKfS1_fEEvlllT_PT11_llS4_llS2_PT12_llPT13_lli
		.amdhsa_group_segment_fixed_size 2048
		.amdhsa_private_segment_fixed_size 0
		.amdhsa_kernarg_size 140
		.amdhsa_user_sgpr_count 2
		.amdhsa_user_sgpr_dispatch_ptr 0
		.amdhsa_user_sgpr_queue_ptr 0
		.amdhsa_user_sgpr_kernarg_segment_ptr 1
		.amdhsa_user_sgpr_dispatch_id 0
		.amdhsa_user_sgpr_kernarg_preload_length 0
		.amdhsa_user_sgpr_kernarg_preload_offset 0
		.amdhsa_user_sgpr_private_segment_size 0
		.amdhsa_uses_dynamic_stack 0
		.amdhsa_enable_private_segment 0
		.amdhsa_system_sgpr_workgroup_id_x 1
		.amdhsa_system_sgpr_workgroup_id_y 1
		.amdhsa_system_sgpr_workgroup_id_z 1
		.amdhsa_system_sgpr_workgroup_info 0
		.amdhsa_system_vgpr_workitem_id 1
		.amdhsa_next_free_vgpr 52
		.amdhsa_next_free_sgpr 24
		.amdhsa_accum_offset 52
		.amdhsa_reserve_vcc 1
		.amdhsa_float_round_mode_32 0
		.amdhsa_float_round_mode_16_64 0
		.amdhsa_float_denorm_mode_32 3
		.amdhsa_float_denorm_mode_16_64 3
		.amdhsa_dx10_clamp 1
		.amdhsa_ieee_mode 1
		.amdhsa_fp16_overflow 0
		.amdhsa_tg_split 0
		.amdhsa_exception_fp_ieee_invalid_op 0
		.amdhsa_exception_fp_denorm_src 0
		.amdhsa_exception_fp_ieee_div_zero 0
		.amdhsa_exception_fp_ieee_overflow 0
		.amdhsa_exception_fp_ieee_underflow 0
		.amdhsa_exception_fp_ieee_inexact 0
		.amdhsa_exception_int_div_zero 0
	.end_amdhsa_kernel
	.section	.text._ZN12_GLOBAL__N_127rocblas_gemm_batched_kernelIfLi16ELi16ELi32ELi32ELi8ELi32ELi8ELi8ELi32ELc84ELc67EKfS1_fEEvlllT_PT11_llS4_llS2_PT12_llPT13_lli,"axG",@progbits,_ZN12_GLOBAL__N_127rocblas_gemm_batched_kernelIfLi16ELi16ELi32ELi32ELi8ELi32ELi8ELi8ELi32ELc84ELc67EKfS1_fEEvlllT_PT11_llS4_llS2_PT12_llPT13_lli,comdat
.Lfunc_end48:
	.size	_ZN12_GLOBAL__N_127rocblas_gemm_batched_kernelIfLi16ELi16ELi32ELi32ELi8ELi32ELi8ELi8ELi32ELc84ELc67EKfS1_fEEvlllT_PT11_llS4_llS2_PT12_llPT13_lli, .Lfunc_end48-_ZN12_GLOBAL__N_127rocblas_gemm_batched_kernelIfLi16ELi16ELi32ELi32ELi8ELi32ELi8ELi8ELi32ELc84ELc67EKfS1_fEEvlllT_PT11_llS4_llS2_PT12_llPT13_lli
                                        ; -- End function
	.set _ZN12_GLOBAL__N_127rocblas_gemm_batched_kernelIfLi16ELi16ELi32ELi32ELi8ELi32ELi8ELi8ELi32ELc84ELc67EKfS1_fEEvlllT_PT11_llS4_llS2_PT12_llPT13_lli.num_vgpr, 52
	.set _ZN12_GLOBAL__N_127rocblas_gemm_batched_kernelIfLi16ELi16ELi32ELi32ELi8ELi32ELi8ELi8ELi32ELc84ELc67EKfS1_fEEvlllT_PT11_llS4_llS2_PT12_llPT13_lli.num_agpr, 0
	.set _ZN12_GLOBAL__N_127rocblas_gemm_batched_kernelIfLi16ELi16ELi32ELi32ELi8ELi32ELi8ELi8ELi32ELc84ELc67EKfS1_fEEvlllT_PT11_llS4_llS2_PT12_llPT13_lli.numbered_sgpr, 24
	.set _ZN12_GLOBAL__N_127rocblas_gemm_batched_kernelIfLi16ELi16ELi32ELi32ELi8ELi32ELi8ELi8ELi32ELc84ELc67EKfS1_fEEvlllT_PT11_llS4_llS2_PT12_llPT13_lli.num_named_barrier, 0
	.set _ZN12_GLOBAL__N_127rocblas_gemm_batched_kernelIfLi16ELi16ELi32ELi32ELi8ELi32ELi8ELi8ELi32ELc84ELc67EKfS1_fEEvlllT_PT11_llS4_llS2_PT12_llPT13_lli.private_seg_size, 0
	.set _ZN12_GLOBAL__N_127rocblas_gemm_batched_kernelIfLi16ELi16ELi32ELi32ELi8ELi32ELi8ELi8ELi32ELc84ELc67EKfS1_fEEvlllT_PT11_llS4_llS2_PT12_llPT13_lli.uses_vcc, 1
	.set _ZN12_GLOBAL__N_127rocblas_gemm_batched_kernelIfLi16ELi16ELi32ELi32ELi8ELi32ELi8ELi8ELi32ELc84ELc67EKfS1_fEEvlllT_PT11_llS4_llS2_PT12_llPT13_lli.uses_flat_scratch, 0
	.set _ZN12_GLOBAL__N_127rocblas_gemm_batched_kernelIfLi16ELi16ELi32ELi32ELi8ELi32ELi8ELi8ELi32ELc84ELc67EKfS1_fEEvlllT_PT11_llS4_llS2_PT12_llPT13_lli.has_dyn_sized_stack, 0
	.set _ZN12_GLOBAL__N_127rocblas_gemm_batched_kernelIfLi16ELi16ELi32ELi32ELi8ELi32ELi8ELi8ELi32ELc84ELc67EKfS1_fEEvlllT_PT11_llS4_llS2_PT12_llPT13_lli.has_recursion, 0
	.set _ZN12_GLOBAL__N_127rocblas_gemm_batched_kernelIfLi16ELi16ELi32ELi32ELi8ELi32ELi8ELi8ELi32ELc84ELc67EKfS1_fEEvlllT_PT11_llS4_llS2_PT12_llPT13_lli.has_indirect_call, 0
	.section	.AMDGPU.csdata,"",@progbits
; Kernel info:
; codeLenInByte = 1288
; TotalNumSgprs: 30
; NumVgprs: 52
; NumAgprs: 0
; TotalNumVgprs: 52
; ScratchSize: 0
; MemoryBound: 0
; FloatMode: 240
; IeeeMode: 1
; LDSByteSize: 2048 bytes/workgroup (compile time only)
; SGPRBlocks: 3
; VGPRBlocks: 6
; NumSGPRsForWavesPerEU: 30
; NumVGPRsForWavesPerEU: 52
; AccumOffset: 52
; Occupancy: 8
; WaveLimiterHint : 0
; COMPUTE_PGM_RSRC2:SCRATCH_EN: 0
; COMPUTE_PGM_RSRC2:USER_SGPR: 2
; COMPUTE_PGM_RSRC2:TRAP_HANDLER: 0
; COMPUTE_PGM_RSRC2:TGID_X_EN: 1
; COMPUTE_PGM_RSRC2:TGID_Y_EN: 1
; COMPUTE_PGM_RSRC2:TGID_Z_EN: 1
; COMPUTE_PGM_RSRC2:TIDIG_COMP_CNT: 1
; COMPUTE_PGM_RSRC3_GFX90A:ACCUM_OFFSET: 12
; COMPUTE_PGM_RSRC3_GFX90A:TG_SPLIT: 0
	.section	.text._ZN12_GLOBAL__N_135rocblas_gemm_batched_general_kernelIfLi16ELi16ELi32ELi32ELi8ELi32ELi8ELi8ELi32ELc78ELc78EKfS1_fEEvlllT_PT11_llS4_llS2_PT12_llPT13_lli,"axG",@progbits,_ZN12_GLOBAL__N_135rocblas_gemm_batched_general_kernelIfLi16ELi16ELi32ELi32ELi8ELi32ELi8ELi8ELi32ELc78ELc78EKfS1_fEEvlllT_PT11_llS4_llS2_PT12_llPT13_lli,comdat
	.globl	_ZN12_GLOBAL__N_135rocblas_gemm_batched_general_kernelIfLi16ELi16ELi32ELi32ELi8ELi32ELi8ELi8ELi32ELc78ELc78EKfS1_fEEvlllT_PT11_llS4_llS2_PT12_llPT13_lli ; -- Begin function _ZN12_GLOBAL__N_135rocblas_gemm_batched_general_kernelIfLi16ELi16ELi32ELi32ELi8ELi32ELi8ELi8ELi32ELc78ELc78EKfS1_fEEvlllT_PT11_llS4_llS2_PT12_llPT13_lli
	.p2align	8
	.type	_ZN12_GLOBAL__N_135rocblas_gemm_batched_general_kernelIfLi16ELi16ELi32ELi32ELi8ELi32ELi8ELi8ELi32ELc78ELc78EKfS1_fEEvlllT_PT11_llS4_llS2_PT12_llPT13_lli,@function
_ZN12_GLOBAL__N_135rocblas_gemm_batched_general_kernelIfLi16ELi16ELi32ELi32ELi8ELi32ELi8ELi8ELi32ELc78ELc78EKfS1_fEEvlllT_PT11_llS4_llS2_PT12_llPT13_lli: ; @_ZN12_GLOBAL__N_135rocblas_gemm_batched_general_kernelIfLi16ELi16ELi32ELi32ELi8ELi32ELi8ELi8ELi32ELc78ELc78EKfS1_fEEvlllT_PT11_llS4_llS2_PT12_llPT13_lli
; %bb.0:
	s_load_dwordx4 s[20:23], s[0:1], 0x0
	s_load_dwordx2 s[10:11], s[0:1], 0x10
	s_mov_b32 s6, s3
	s_ashr_i32 s7, s6, 31
	v_mov_b32_e32 v7, 0
	s_ashr_i32 s3, s2, 31
	s_lshl_b64 s[26:27], s[6:7], 5
	s_waitcnt lgkmcnt(0)
	v_cmp_lt_i64_e64 s[6:7], s[10:11], 1
	v_and_b32_e32 v2, 0x3ff, v0
	v_bfe_u32 v6, v0, 10, 10
	v_mov_b32_e32 v3, v7
	s_lshl_b64 s[24:25], s[2:3], 5
	s_and_b64 vcc, exec, s[6:7]
	v_mov_b32_e32 v5, v7
	v_mov_b32_e32 v4, v7
	;; [unrolled: 1-line block ×4, first 2 shown]
	s_cbranch_vccnz .LBB49_7
; %bb.1:
	v_lshl_add_u32 v12, v6, 4, v2
	v_mov_b32_e32 v9, 0
	v_lshrrev_b32_e32 v0, 3, v12
	v_mov_b32_e32 v1, v9
	s_load_dwordx8 s[12:19], s[0:1], 0x20
	s_load_dwordx4 s[28:31], s[0:1], 0x40
	v_lshl_add_u64 v[4:5], v[0:1], 0, s[26:27]
	v_and_b32_e32 v1, 31, v12
	v_lshrrev_b32_e32 v8, 5, v12
	v_and_b32_e32 v10, 7, v2
	v_or_b32_e32 v12, s24, v1
	v_mov_b32_e32 v13, s25
	v_cmp_gt_i64_e64 s[6:7], s[20:21], v[12:13]
	v_lshlrev_b32_e32 v12, 2, v10
	v_lshl_or_b32 v0, v0, 5, v12
	v_add_u32_e32 v19, 0x400, v0
	v_mov_b32_e32 v0, 0x400
	v_lshlrev_b32_e32 v14, 2, v1
	v_cmp_gt_i64_e64 s[8:9], s[22:23], v[4:5]
	v_lshl_add_u32 v21, v6, 5, v0
	s_waitcnt lgkmcnt(0)
	v_mul_lo_u32 v13, s29, v4
	v_mul_lo_u32 v5, s28, v5
	v_mad_u64_u32 v[0:1], s[28:29], s28, v4, 0
	s_mul_i32 s5, s31, s4
	s_mul_hi_u32 s28, s30, s4
	s_add_i32 s29, s28, s5
	s_mul_i32 s28, s30, s4
	v_add3_u32 v1, v1, v5, v13
	s_lshl_b64 s[28:29], s[28:29], 2
	v_lshl_add_u64 v[0:1], v[0:1], 2, s[28:29]
	v_mov_b32_e32 v13, v9
	v_lshl_add_u64 v[0:1], v[0:1], 0, v[12:13]
	s_mul_i32 s5, s17, s4
	s_mul_hi_u32 s17, s16, s4
	v_lshl_add_u64 v[12:13], s[18:19], 0, v[0:1]
	v_mad_u64_u32 v[0:1], s[18:19], s14, v8, 0
	s_add_i32 s17, s17, s5
	s_mul_i32 s16, s16, s4
	v_mov_b32_e32 v4, v1
	s_lshl_b64 s[16:17], s[16:17], 2
	s_lshl_b64 s[2:3], s[2:3], 7
	v_mad_u64_u32 v[4:5], s[18:19], s15, v8, v[4:5]
	s_add_u32 s2, s2, s16
	v_mov_b32_e32 v1, v4
	s_addc_u32 s3, s3, s17
	v_lshl_add_u64 v[0:1], v[0:1], 2, s[2:3]
	v_mov_b32_e32 v15, v9
	v_lshl_add_u64 v[0:1], v[0:1], 0, v[14:15]
	v_mov_b32_e32 v11, v9
	v_lshl_or_b32 v18, v8, 7, v14
	v_lshlrev_b32_e32 v20, 2, v2
	v_lshl_add_u64 v[14:15], s[12:13], 0, v[0:1]
	s_lshl_b64 s[2:3], s[14:15], 5
	s_mov_b64 s[12:13], 0
	v_mov_b64_e32 v[16:17], s[10:11]
	v_mov_b32_e32 v4, v9
	v_mov_b32_e32 v5, v9
	;; [unrolled: 1-line block ×4, first 2 shown]
	s_branch .LBB49_3
.LBB49_2:                               ;   in Loop: Header=BB49_3 Depth=1
	s_or_b64 exec, exec, s[14:15]
	s_waitcnt vmcnt(0)
	ds_write_b32 v19, v22
	s_waitcnt lgkmcnt(0)
	s_barrier
	ds_read_b128 v[22:25], v21
	ds_read_b128 v[26:29], v21 offset:16
	ds_read2_b32 v[38:39], v20 offset1:16
	ds_read2_b32 v[40:41], v20 offset0:32 offset1:48
	ds_read2_b32 v[42:43], v20 offset0:64 offset1:80
	ds_read2_b32 v[44:45], v20 offset0:96 offset1:112
	ds_read2_b32 v[46:47], v20 offset0:128 offset1:144
	ds_read_b128 v[30:33], v21 offset:512
	ds_read_b128 v[34:37], v21 offset:528
	ds_read2_b32 v[48:49], v20 offset0:160 offset1:176
	ds_read2_b32 v[50:51], v20 offset0:192 offset1:208
	;; [unrolled: 1-line block ×3, first 2 shown]
	s_waitcnt lgkmcnt(9)
	v_pk_fma_f32 v[4:5], v[38:39], v[22:23], v[4:5] op_sel_hi:[1,0,1]
	s_waitcnt lgkmcnt(4)
	v_pk_fma_f32 v[0:1], v[38:39], v[30:31], v[0:1] op_sel_hi:[1,0,1]
	v_pk_fma_f32 v[4:5], v[40:41], v[22:23], v[4:5] op_sel:[0,1,0]
	v_mov_b32_e32 v22, v25
	v_pk_fma_f32 v[4:5], v[42:43], v[24:25], v[4:5] op_sel_hi:[1,0,1]
	v_pk_fma_f32 v[0:1], v[40:41], v[30:31], v[0:1] op_sel:[0,1,0]
	v_pk_fma_f32 v[4:5], v[44:45], v[22:23], v[4:5] op_sel_hi:[1,0,1]
	v_mov_b32_e32 v22, v29
	v_pk_fma_f32 v[4:5], v[46:47], v[26:27], v[4:5] op_sel_hi:[1,0,1]
	v_pk_fma_f32 v[0:1], v[42:43], v[32:33], v[0:1] op_sel_hi:[1,0,1]
	s_waitcnt lgkmcnt(2)
	v_pk_fma_f32 v[4:5], v[48:49], v[26:27], v[4:5] op_sel:[0,1,0]
	s_add_u32 s12, s12, 8
	s_waitcnt lgkmcnt(1)
	v_pk_fma_f32 v[4:5], v[50:51], v[28:29], v[4:5] op_sel_hi:[1,0,1]
	s_addc_u32 s13, s13, 0
	s_waitcnt lgkmcnt(0)
	v_pk_fma_f32 v[4:5], v[52:53], v[22:23], v[4:5] op_sel_hi:[1,0,1]
	v_mov_b32_e32 v22, v33
	v_pk_fma_f32 v[0:1], v[44:45], v[22:23], v[0:1] op_sel_hi:[1,0,1]
	v_mov_b32_e32 v22, v37
	v_pk_fma_f32 v[0:1], v[46:47], v[34:35], v[0:1] op_sel_hi:[1,0,1]
	v_cmp_lt_i64_e32 vcc, s[12:13], v[16:17]
	v_pk_fma_f32 v[0:1], v[48:49], v[34:35], v[0:1] op_sel:[0,1,0]
	v_lshl_add_u64 v[12:13], v[12:13], 0, 32
	v_pk_fma_f32 v[0:1], v[50:51], v[36:37], v[0:1] op_sel_hi:[1,0,1]
	v_lshl_add_u64 v[14:15], v[14:15], 0, s[2:3]
	v_pk_fma_f32 v[0:1], v[52:53], v[22:23], v[0:1] op_sel_hi:[1,0,1]
	s_barrier
	s_cbranch_vccz .LBB49_7
.LBB49_3:                               ; =>This Inner Loop Header: Depth=1
	v_lshl_add_u64 v[22:23], v[8:9], 0, s[12:13]
	v_cmp_gt_i64_e32 vcc, s[10:11], v[22:23]
	s_and_b64 s[16:17], s[6:7], vcc
	v_mov_b32_e32 v22, 0
	s_and_saveexec_b64 s[14:15], s[16:17]
	s_cbranch_execz .LBB49_5
; %bb.4:                                ;   in Loop: Header=BB49_3 Depth=1
	global_load_dword v22, v[14:15], off
.LBB49_5:                               ;   in Loop: Header=BB49_3 Depth=1
	s_or_b64 exec, exec, s[14:15]
	s_waitcnt vmcnt(0)
	ds_write_b32 v18, v22
	v_lshl_add_u64 v[22:23], v[10:11], 0, s[12:13]
	v_cmp_gt_i64_e32 vcc, s[10:11], v[22:23]
	s_and_b64 s[16:17], vcc, s[8:9]
	v_mov_b32_e32 v22, 0
	s_and_saveexec_b64 s[14:15], s[16:17]
	s_cbranch_execz .LBB49_2
; %bb.6:                                ;   in Loop: Header=BB49_3 Depth=1
	global_load_dword v22, v[12:13], off
	s_branch .LBB49_2
.LBB49_7:
	s_load_dwordx4 s[16:19], s[0:1], 0x78
	s_load_dword s28, s[0:1], 0x18
	s_load_dword s29, s[0:1], 0x50
	s_load_dwordx8 s[8:15], s[0:1], 0x58
	v_lshl_add_u64 v[6:7], s[26:27], 0, v[6:7]
	s_waitcnt lgkmcnt(0)
	s_mul_i32 s0, s19, s4
	s_mul_hi_u32 s1, s18, s4
	s_add_i32 s1, s1, s0
	s_mul_i32 s0, s18, s4
	s_lshl_b64 s[0:1], s[0:1], 2
	s_add_u32 s14, s14, s0
	v_cmp_neq_f32_e64 s[2:3], s29, 0
	s_addc_u32 s15, s15, s1
	v_cmp_gt_i64_e64 s[0:1], s[22:23], v[6:7]
	s_and_b64 vcc, exec, s[2:3]
	s_cbranch_vccnz .LBB49_20
; %bb.8:
	s_and_saveexec_b64 s[18:19], s[0:1]
	s_cbranch_execz .LBB49_18
; %bb.9:
	v_mul_lo_u32 v12, v7, s16
	v_mul_lo_u32 v13, v6, s17
	v_mad_u64_u32 v[10:11], s[2:3], v6, s16, 0
	v_add3_u32 v11, v11, v13, v12
	v_lshl_add_u64 v[8:9], s[24:25], 0, v[2:3]
	v_lshl_add_u64 v[10:11], v[10:11], 2, s[14:15]
	v_cmp_gt_i64_e32 vcc, s[20:21], v[8:9]
	v_lshl_add_u64 v[12:13], v[8:9], 2, v[10:11]
	s_and_saveexec_b64 s[2:3], vcc
	s_cbranch_execz .LBB49_11
; %bb.10:
	v_mul_f32_e32 v14, s28, v4
	global_store_dword v[12:13], v14, off
.LBB49_11:
	s_or_b64 exec, exec, s[2:3]
	v_lshl_add_u64 v[14:15], v[8:9], 0, 16
	v_cmp_gt_i64_e64 s[2:3], s[20:21], v[14:15]
	s_and_saveexec_b64 s[6:7], s[2:3]
	s_cbranch_execz .LBB49_13
; %bb.12:
	v_mul_f32_e32 v14, s28, v5
	global_store_dword v[12:13], v14, off offset:64
.LBB49_13:
	s_or_b64 exec, exec, s[6:7]
	v_lshl_add_u64 v[12:13], v[6:7], 0, 16
	v_cmp_gt_i64_e64 s[6:7], s[22:23], v[12:13]
	s_and_b64 exec, exec, s[6:7]
	s_cbranch_execz .LBB49_18
; %bb.14:
	s_lshl_b64 s[6:7], s[16:17], 6
	v_lshl_add_u64 v[10:11], v[10:11], 0, s[6:7]
	v_lshl_add_u64 v[8:9], v[8:9], 2, v[10:11]
	s_and_saveexec_b64 s[6:7], vcc
	s_cbranch_execz .LBB49_16
; %bb.15:
	v_mul_f32_e32 v10, s28, v0
	global_store_dword v[8:9], v10, off
.LBB49_16:
	s_or_b64 exec, exec, s[6:7]
	s_and_b64 exec, exec, s[2:3]
	s_cbranch_execz .LBB49_18
; %bb.17:
	v_mul_f32_e32 v10, s28, v1
	global_store_dword v[8:9], v10, off offset:64
.LBB49_18:
	s_or_b64 exec, exec, s[18:19]
	s_cbranch_execz .LBB49_21
.LBB49_19:
	s_endpgm
.LBB49_20:
.LBB49_21:
	s_and_saveexec_b64 s[2:3], s[0:1]
	s_cbranch_execz .LBB49_19
; %bb.22:
	s_mul_i32 s0, s13, s4
	s_mul_hi_u32 s1, s12, s4
	s_add_i32 s1, s1, s0
	s_mul_i32 s0, s12, s4
	s_lshl_b64 s[0:1], s[0:1], 2
	v_lshl_add_u64 v[12:13], s[24:25], 0, v[2:3]
	v_mul_lo_u32 v8, v7, s10
	v_mul_lo_u32 v9, v6, s11
	v_mad_u64_u32 v[2:3], s[2:3], v6, s10, 0
	s_add_u32 s0, s8, s0
	v_add3_u32 v3, v3, v9, v8
	v_mul_lo_u32 v10, v7, s16
	v_mul_lo_u32 v11, v6, s17
	v_mad_u64_u32 v[8:9], s[2:3], v6, s16, 0
	s_addc_u32 s1, s9, s1
	v_add3_u32 v9, v9, v11, v10
	v_cmp_gt_i64_e32 vcc, s[20:21], v[12:13]
	v_lshl_add_u64 v[10:11], v[2:3], 2, s[0:1]
	v_lshl_add_u64 v[8:9], v[8:9], 2, s[14:15]
	v_lshlrev_b64 v[2:3], 2, v[12:13]
	s_and_saveexec_b64 s[0:1], vcc
	s_cbranch_execz .LBB49_24
; %bb.23:
	v_lshl_add_u64 v[14:15], v[10:11], 0, v[2:3]
	global_load_dword v15, v[14:15], off
	v_mov_b32_e32 v14, v4
	s_waitcnt vmcnt(0)
	v_pk_mul_f32 v[14:15], s[28:29], v[14:15]
	s_nop 0
	v_add_f32_e32 v4, v14, v15
	v_lshl_add_u64 v[14:15], v[8:9], 0, v[2:3]
	global_store_dword v[14:15], v4, off
.LBB49_24:
	s_or_b64 exec, exec, s[0:1]
	v_lshl_add_u64 v[12:13], v[12:13], 0, 16
	v_cmp_gt_i64_e64 s[0:1], s[20:21], v[12:13]
	s_and_saveexec_b64 s[2:3], s[0:1]
	s_cbranch_execz .LBB49_26
; %bb.25:
	v_lshl_add_u64 v[12:13], v[10:11], 0, v[2:3]
	global_load_dword v13, v[12:13], off offset:64
	v_mov_b32_e32 v12, v5
	s_waitcnt vmcnt(0)
	v_pk_mul_f32 v[4:5], s[28:29], v[12:13]
	s_nop 0
	v_add_f32_e32 v12, v4, v5
	v_lshl_add_u64 v[4:5], v[8:9], 0, v[2:3]
	global_store_dword v[4:5], v12, off offset:64
.LBB49_26:
	s_or_b64 exec, exec, s[2:3]
	v_lshl_add_u64 v[4:5], v[6:7], 0, 16
	v_cmp_gt_i64_e64 s[2:3], s[22:23], v[4:5]
	s_and_b64 exec, exec, s[2:3]
	s_cbranch_execz .LBB49_19
; %bb.27:
	s_lshl_b64 s[2:3], s[10:11], 6
	v_lshl_add_u64 v[4:5], v[10:11], 0, s[2:3]
	s_lshl_b64 s[2:3], s[16:17], 6
	v_lshl_add_u64 v[6:7], v[8:9], 0, s[2:3]
	v_lshl_add_u64 v[4:5], v[4:5], 0, v[2:3]
	;; [unrolled: 1-line block ×3, first 2 shown]
	s_and_saveexec_b64 s[2:3], vcc
	s_cbranch_execz .LBB49_29
; %bb.28:
	global_load_dword v7, v[4:5], off
	v_mov_b32_e32 v6, v0
	s_waitcnt vmcnt(0)
	v_pk_mul_f32 v[6:7], s[28:29], v[6:7]
	s_nop 0
	v_add_f32_e32 v0, v6, v7
	global_store_dword v[2:3], v0, off
.LBB49_29:
	s_or_b64 exec, exec, s[2:3]
	s_and_b64 exec, exec, s[0:1]
	s_cbranch_execz .LBB49_19
; %bb.30:
	global_load_dword v5, v[4:5], off offset:64
	v_mov_b32_e32 v4, v1
	s_waitcnt vmcnt(0)
	v_pk_mul_f32 v[0:1], s[28:29], v[4:5]
	s_nop 0
	v_add_f32_e32 v0, v0, v1
	global_store_dword v[2:3], v0, off offset:64
	s_endpgm
	.section	.rodata,"a",@progbits
	.p2align	6, 0x0
	.amdhsa_kernel _ZN12_GLOBAL__N_135rocblas_gemm_batched_general_kernelIfLi16ELi16ELi32ELi32ELi8ELi32ELi8ELi8ELi32ELc78ELc78EKfS1_fEEvlllT_PT11_llS4_llS2_PT12_llPT13_lli
		.amdhsa_group_segment_fixed_size 2048
		.amdhsa_private_segment_fixed_size 0
		.amdhsa_kernarg_size 140
		.amdhsa_user_sgpr_count 2
		.amdhsa_user_sgpr_dispatch_ptr 0
		.amdhsa_user_sgpr_queue_ptr 0
		.amdhsa_user_sgpr_kernarg_segment_ptr 1
		.amdhsa_user_sgpr_dispatch_id 0
		.amdhsa_user_sgpr_kernarg_preload_length 0
		.amdhsa_user_sgpr_kernarg_preload_offset 0
		.amdhsa_user_sgpr_private_segment_size 0
		.amdhsa_uses_dynamic_stack 0
		.amdhsa_enable_private_segment 0
		.amdhsa_system_sgpr_workgroup_id_x 1
		.amdhsa_system_sgpr_workgroup_id_y 1
		.amdhsa_system_sgpr_workgroup_id_z 1
		.amdhsa_system_sgpr_workgroup_info 0
		.amdhsa_system_vgpr_workitem_id 1
		.amdhsa_next_free_vgpr 54
		.amdhsa_next_free_sgpr 32
		.amdhsa_accum_offset 56
		.amdhsa_reserve_vcc 1
		.amdhsa_float_round_mode_32 0
		.amdhsa_float_round_mode_16_64 0
		.amdhsa_float_denorm_mode_32 3
		.amdhsa_float_denorm_mode_16_64 3
		.amdhsa_dx10_clamp 1
		.amdhsa_ieee_mode 1
		.amdhsa_fp16_overflow 0
		.amdhsa_tg_split 0
		.amdhsa_exception_fp_ieee_invalid_op 0
		.amdhsa_exception_fp_denorm_src 0
		.amdhsa_exception_fp_ieee_div_zero 0
		.amdhsa_exception_fp_ieee_overflow 0
		.amdhsa_exception_fp_ieee_underflow 0
		.amdhsa_exception_fp_ieee_inexact 0
		.amdhsa_exception_int_div_zero 0
	.end_amdhsa_kernel
	.section	.text._ZN12_GLOBAL__N_135rocblas_gemm_batched_general_kernelIfLi16ELi16ELi32ELi32ELi8ELi32ELi8ELi8ELi32ELc78ELc78EKfS1_fEEvlllT_PT11_llS4_llS2_PT12_llPT13_lli,"axG",@progbits,_ZN12_GLOBAL__N_135rocblas_gemm_batched_general_kernelIfLi16ELi16ELi32ELi32ELi8ELi32ELi8ELi8ELi32ELc78ELc78EKfS1_fEEvlllT_PT11_llS4_llS2_PT12_llPT13_lli,comdat
.Lfunc_end49:
	.size	_ZN12_GLOBAL__N_135rocblas_gemm_batched_general_kernelIfLi16ELi16ELi32ELi32ELi8ELi32ELi8ELi8ELi32ELc78ELc78EKfS1_fEEvlllT_PT11_llS4_llS2_PT12_llPT13_lli, .Lfunc_end49-_ZN12_GLOBAL__N_135rocblas_gemm_batched_general_kernelIfLi16ELi16ELi32ELi32ELi8ELi32ELi8ELi8ELi32ELc78ELc78EKfS1_fEEvlllT_PT11_llS4_llS2_PT12_llPT13_lli
                                        ; -- End function
	.set _ZN12_GLOBAL__N_135rocblas_gemm_batched_general_kernelIfLi16ELi16ELi32ELi32ELi8ELi32ELi8ELi8ELi32ELc78ELc78EKfS1_fEEvlllT_PT11_llS4_llS2_PT12_llPT13_lli.num_vgpr, 54
	.set _ZN12_GLOBAL__N_135rocblas_gemm_batched_general_kernelIfLi16ELi16ELi32ELi32ELi8ELi32ELi8ELi8ELi32ELc78ELc78EKfS1_fEEvlllT_PT11_llS4_llS2_PT12_llPT13_lli.num_agpr, 0
	.set _ZN12_GLOBAL__N_135rocblas_gemm_batched_general_kernelIfLi16ELi16ELi32ELi32ELi8ELi32ELi8ELi8ELi32ELc78ELc78EKfS1_fEEvlllT_PT11_llS4_llS2_PT12_llPT13_lli.numbered_sgpr, 32
	.set _ZN12_GLOBAL__N_135rocblas_gemm_batched_general_kernelIfLi16ELi16ELi32ELi32ELi8ELi32ELi8ELi8ELi32ELc78ELc78EKfS1_fEEvlllT_PT11_llS4_llS2_PT12_llPT13_lli.num_named_barrier, 0
	.set _ZN12_GLOBAL__N_135rocblas_gemm_batched_general_kernelIfLi16ELi16ELi32ELi32ELi8ELi32ELi8ELi8ELi32ELc78ELc78EKfS1_fEEvlllT_PT11_llS4_llS2_PT12_llPT13_lli.private_seg_size, 0
	.set _ZN12_GLOBAL__N_135rocblas_gemm_batched_general_kernelIfLi16ELi16ELi32ELi32ELi8ELi32ELi8ELi8ELi32ELc78ELc78EKfS1_fEEvlllT_PT11_llS4_llS2_PT12_llPT13_lli.uses_vcc, 1
	.set _ZN12_GLOBAL__N_135rocblas_gemm_batched_general_kernelIfLi16ELi16ELi32ELi32ELi8ELi32ELi8ELi8ELi32ELc78ELc78EKfS1_fEEvlllT_PT11_llS4_llS2_PT12_llPT13_lli.uses_flat_scratch, 0
	.set _ZN12_GLOBAL__N_135rocblas_gemm_batched_general_kernelIfLi16ELi16ELi32ELi32ELi8ELi32ELi8ELi8ELi32ELc78ELc78EKfS1_fEEvlllT_PT11_llS4_llS2_PT12_llPT13_lli.has_dyn_sized_stack, 0
	.set _ZN12_GLOBAL__N_135rocblas_gemm_batched_general_kernelIfLi16ELi16ELi32ELi32ELi8ELi32ELi8ELi8ELi32ELc78ELc78EKfS1_fEEvlllT_PT11_llS4_llS2_PT12_llPT13_lli.has_recursion, 0
	.set _ZN12_GLOBAL__N_135rocblas_gemm_batched_general_kernelIfLi16ELi16ELi32ELi32ELi8ELi32ELi8ELi8ELi32ELc78ELc78EKfS1_fEEvlllT_PT11_llS4_llS2_PT12_llPT13_lli.has_indirect_call, 0
	.section	.AMDGPU.csdata,"",@progbits
; Kernel info:
; codeLenInByte = 1628
; TotalNumSgprs: 38
; NumVgprs: 54
; NumAgprs: 0
; TotalNumVgprs: 54
; ScratchSize: 0
; MemoryBound: 0
; FloatMode: 240
; IeeeMode: 1
; LDSByteSize: 2048 bytes/workgroup (compile time only)
; SGPRBlocks: 4
; VGPRBlocks: 6
; NumSGPRsForWavesPerEU: 38
; NumVGPRsForWavesPerEU: 54
; AccumOffset: 56
; Occupancy: 8
; WaveLimiterHint : 0
; COMPUTE_PGM_RSRC2:SCRATCH_EN: 0
; COMPUTE_PGM_RSRC2:USER_SGPR: 2
; COMPUTE_PGM_RSRC2:TRAP_HANDLER: 0
; COMPUTE_PGM_RSRC2:TGID_X_EN: 1
; COMPUTE_PGM_RSRC2:TGID_Y_EN: 1
; COMPUTE_PGM_RSRC2:TGID_Z_EN: 1
; COMPUTE_PGM_RSRC2:TIDIG_COMP_CNT: 1
; COMPUTE_PGM_RSRC3_GFX90A:ACCUM_OFFSET: 13
; COMPUTE_PGM_RSRC3_GFX90A:TG_SPLIT: 0
	.section	.text._ZN12_GLOBAL__N_135rocblas_gemm_batched_general_kernelIfLi16ELi16ELi32ELi32ELi8ELi32ELi8ELi8ELi32ELc84ELc78EKfS1_fEEvlllT_PT11_llS4_llS2_PT12_llPT13_lli,"axG",@progbits,_ZN12_GLOBAL__N_135rocblas_gemm_batched_general_kernelIfLi16ELi16ELi32ELi32ELi8ELi32ELi8ELi8ELi32ELc84ELc78EKfS1_fEEvlllT_PT11_llS4_llS2_PT12_llPT13_lli,comdat
	.globl	_ZN12_GLOBAL__N_135rocblas_gemm_batched_general_kernelIfLi16ELi16ELi32ELi32ELi8ELi32ELi8ELi8ELi32ELc84ELc78EKfS1_fEEvlllT_PT11_llS4_llS2_PT12_llPT13_lli ; -- Begin function _ZN12_GLOBAL__N_135rocblas_gemm_batched_general_kernelIfLi16ELi16ELi32ELi32ELi8ELi32ELi8ELi8ELi32ELc84ELc78EKfS1_fEEvlllT_PT11_llS4_llS2_PT12_llPT13_lli
	.p2align	8
	.type	_ZN12_GLOBAL__N_135rocblas_gemm_batched_general_kernelIfLi16ELi16ELi32ELi32ELi8ELi32ELi8ELi8ELi32ELc84ELc78EKfS1_fEEvlllT_PT11_llS4_llS2_PT12_llPT13_lli,@function
_ZN12_GLOBAL__N_135rocblas_gemm_batched_general_kernelIfLi16ELi16ELi32ELi32ELi8ELi32ELi8ELi8ELi32ELc84ELc78EKfS1_fEEvlllT_PT11_llS4_llS2_PT12_llPT13_lli: ; @_ZN12_GLOBAL__N_135rocblas_gemm_batched_general_kernelIfLi16ELi16ELi32ELi32ELi8ELi32ELi8ELi8ELi32ELc84ELc78EKfS1_fEEvlllT_PT11_llS4_llS2_PT12_llPT13_lli
; %bb.0:
	s_load_dwordx4 s[16:19], s[0:1], 0x0
	s_load_dwordx2 s[20:21], s[0:1], 0x10
	s_mov_b32 s6, s3
	s_ashr_i32 s3, s2, 31
	v_mov_b32_e32 v7, 0
	s_lshl_b64 s[24:25], s[2:3], 5
	s_ashr_i32 s7, s6, 31
	s_waitcnt lgkmcnt(0)
	v_cmp_lt_i64_e64 s[2:3], s[20:21], 1
	v_and_b32_e32 v2, 0x3ff, v0
	v_bfe_u32 v6, v0, 10, 10
	v_mov_b32_e32 v3, v7
	s_lshl_b64 s[26:27], s[6:7], 5
	s_and_b64 vcc, exec, s[2:3]
	v_mov_b32_e32 v5, v7
	v_mov_b32_e32 v4, v7
	;; [unrolled: 1-line block ×4, first 2 shown]
	s_cbranch_vccnz .LBB50_7
; %bb.1:
	v_lshl_add_u32 v12, v6, 4, v2
	s_load_dwordx8 s[8:15], s[0:1], 0x20
	s_load_dwordx4 s[28:31], s[0:1], 0x40
	v_and_b32_e32 v14, 31, v12
	v_lshrrev_b32_e32 v8, 5, v12
	v_mov_b32_e32 v9, 0
	v_and_b32_e32 v10, 7, v2
	v_lshrrev_b32_e32 v0, 3, v12
	v_or_b32_e32 v12, s24, v14
	v_mov_b32_e32 v13, s25
	v_mov_b32_e32 v1, v9
	v_cmp_gt_i64_e64 s[2:3], s[16:17], v[12:13]
	v_lshlrev_b32_e32 v12, 2, v10
	v_lshl_add_u64 v[4:5], v[0:1], 0, s[26:27]
	v_lshl_or_b32 v0, v0, 5, v12
	v_lshlrev_b32_e32 v1, 2, v14
	v_add_u32_e32 v19, 0x400, v0
	v_mov_b32_e32 v0, 0x400
	v_lshl_or_b32 v18, v8, 7, v1
	v_lshl_add_u32 v21, v6, 5, v0
	s_waitcnt lgkmcnt(0)
	v_mad_u64_u32 v[0:1], s[22:23], s28, v4, 0
	s_mul_i32 s5, s31, s4
	s_mul_hi_u32 s22, s30, s4
	v_cmp_gt_i64_e64 s[6:7], s[18:19], v[4:5]
	v_mul_lo_u32 v13, s29, v4
	v_mul_lo_u32 v5, s28, v5
	s_add_i32 s23, s22, s5
	s_mul_i32 s22, s30, s4
	v_add3_u32 v1, v1, v5, v13
	s_lshl_b64 s[22:23], s[22:23], 2
	v_lshl_add_u64 v[0:1], v[0:1], 2, s[22:23]
	v_mov_b32_e32 v13, v9
	v_mov_b32_e32 v15, v9
	v_lshl_add_u64 v[0:1], v[0:1], 0, v[12:13]
	v_lshl_add_u64 v[12:13], s[14:15], 0, v[0:1]
	;; [unrolled: 1-line block ×3, first 2 shown]
	v_mul_lo_u32 v4, s11, v0
	v_mul_lo_u32 v5, s10, v1
	v_mad_u64_u32 v[0:1], s[10:11], s10, v0, 0
	s_mul_i32 s5, s13, s4
	s_mul_hi_u32 s10, s12, s4
	s_add_i32 s11, s10, s5
	s_mul_i32 s10, s12, s4
	v_add3_u32 v1, v1, v5, v4
	s_lshl_b64 s[10:11], s[10:11], 2
	v_lshl_add_u64 v[0:1], v[0:1], 2, s[10:11]
	v_lshlrev_b32_e32 v4, 2, v8
	v_mov_b32_e32 v5, v9
	v_lshl_add_u64 v[0:1], v[0:1], 0, v[4:5]
	v_mov_b32_e32 v11, v9
	v_lshlrev_b32_e32 v20, 2, v2
	v_lshl_add_u64 v[14:15], s[8:9], 0, v[0:1]
	s_mov_b64 s[8:9], 0
	v_mov_b64_e32 v[16:17], s[20:21]
	v_mov_b32_e32 v4, v9
	v_mov_b32_e32 v0, v9
	;; [unrolled: 1-line block ×3, first 2 shown]
	s_branch .LBB50_3
.LBB50_2:                               ;   in Loop: Header=BB50_3 Depth=1
	s_or_b64 exec, exec, s[10:11]
	s_waitcnt vmcnt(0)
	ds_write_b32 v19, v22
	s_waitcnt lgkmcnt(0)
	s_barrier
	ds_read_b128 v[22:25], v21
	ds_read_b128 v[26:29], v21 offset:16
	ds_read2_b32 v[38:39], v20 offset1:16
	ds_read2_b32 v[40:41], v20 offset0:32 offset1:48
	ds_read2_b32 v[42:43], v20 offset0:64 offset1:80
	ds_read2_b32 v[44:45], v20 offset0:96 offset1:112
	ds_read2_b32 v[46:47], v20 offset0:128 offset1:144
	ds_read_b128 v[30:33], v21 offset:512
	ds_read_b128 v[34:37], v21 offset:528
	ds_read2_b32 v[48:49], v20 offset0:160 offset1:176
	ds_read2_b32 v[50:51], v20 offset0:192 offset1:208
	;; [unrolled: 1-line block ×3, first 2 shown]
	s_waitcnt lgkmcnt(9)
	v_pk_fma_f32 v[4:5], v[38:39], v[22:23], v[4:5] op_sel_hi:[1,0,1]
	s_waitcnt lgkmcnt(4)
	v_pk_fma_f32 v[0:1], v[38:39], v[30:31], v[0:1] op_sel_hi:[1,0,1]
	v_pk_fma_f32 v[4:5], v[40:41], v[22:23], v[4:5] op_sel:[0,1,0]
	v_mov_b32_e32 v22, v25
	v_pk_fma_f32 v[4:5], v[42:43], v[24:25], v[4:5] op_sel_hi:[1,0,1]
	v_pk_fma_f32 v[0:1], v[40:41], v[30:31], v[0:1] op_sel:[0,1,0]
	v_pk_fma_f32 v[4:5], v[44:45], v[22:23], v[4:5] op_sel_hi:[1,0,1]
	v_mov_b32_e32 v22, v29
	v_pk_fma_f32 v[4:5], v[46:47], v[26:27], v[4:5] op_sel_hi:[1,0,1]
	v_pk_fma_f32 v[0:1], v[42:43], v[32:33], v[0:1] op_sel_hi:[1,0,1]
	s_waitcnt lgkmcnt(2)
	v_pk_fma_f32 v[4:5], v[48:49], v[26:27], v[4:5] op_sel:[0,1,0]
	s_add_u32 s8, s8, 8
	s_waitcnt lgkmcnt(1)
	v_pk_fma_f32 v[4:5], v[50:51], v[28:29], v[4:5] op_sel_hi:[1,0,1]
	s_addc_u32 s9, s9, 0
	s_waitcnt lgkmcnt(0)
	v_pk_fma_f32 v[4:5], v[52:53], v[22:23], v[4:5] op_sel_hi:[1,0,1]
	v_mov_b32_e32 v22, v33
	v_pk_fma_f32 v[0:1], v[44:45], v[22:23], v[0:1] op_sel_hi:[1,0,1]
	v_mov_b32_e32 v22, v37
	v_pk_fma_f32 v[0:1], v[46:47], v[34:35], v[0:1] op_sel_hi:[1,0,1]
	v_cmp_lt_i64_e32 vcc, s[8:9], v[16:17]
	v_pk_fma_f32 v[0:1], v[48:49], v[34:35], v[0:1] op_sel:[0,1,0]
	v_lshl_add_u64 v[12:13], v[12:13], 0, 32
	v_pk_fma_f32 v[0:1], v[50:51], v[36:37], v[0:1] op_sel_hi:[1,0,1]
	v_lshl_add_u64 v[14:15], v[14:15], 0, 32
	v_pk_fma_f32 v[0:1], v[52:53], v[22:23], v[0:1] op_sel_hi:[1,0,1]
	s_barrier
	s_cbranch_vccz .LBB50_7
.LBB50_3:                               ; =>This Inner Loop Header: Depth=1
	v_lshl_add_u64 v[22:23], v[8:9], 0, s[8:9]
	v_cmp_gt_i64_e32 vcc, s[20:21], v[22:23]
	s_and_b64 s[12:13], s[2:3], vcc
	v_mov_b32_e32 v22, 0
	s_and_saveexec_b64 s[10:11], s[12:13]
	s_cbranch_execz .LBB50_5
; %bb.4:                                ;   in Loop: Header=BB50_3 Depth=1
	global_load_dword v22, v[14:15], off
.LBB50_5:                               ;   in Loop: Header=BB50_3 Depth=1
	s_or_b64 exec, exec, s[10:11]
	s_waitcnt vmcnt(0)
	ds_write_b32 v18, v22
	v_lshl_add_u64 v[22:23], v[10:11], 0, s[8:9]
	v_cmp_gt_i64_e32 vcc, s[20:21], v[22:23]
	s_and_b64 s[12:13], vcc, s[6:7]
	v_mov_b32_e32 v22, 0
	s_and_saveexec_b64 s[10:11], s[12:13]
	s_cbranch_execz .LBB50_2
; %bb.6:                                ;   in Loop: Header=BB50_3 Depth=1
	global_load_dword v22, v[12:13], off
	s_branch .LBB50_2
.LBB50_7:
	s_load_dwordx4 s[20:23], s[0:1], 0x78
	s_load_dword s28, s[0:1], 0x18
	s_load_dword s29, s[0:1], 0x50
	s_load_dwordx8 s[8:15], s[0:1], 0x58
	v_lshl_add_u64 v[6:7], s[26:27], 0, v[6:7]
	s_waitcnt lgkmcnt(0)
	s_mul_i32 s0, s23, s4
	s_mul_hi_u32 s1, s22, s4
	s_add_i32 s1, s1, s0
	s_mul_i32 s0, s22, s4
	s_lshl_b64 s[0:1], s[0:1], 2
	s_add_u32 s14, s14, s0
	v_cmp_neq_f32_e64 s[2:3], s29, 0
	s_addc_u32 s15, s15, s1
	v_cmp_gt_i64_e64 s[0:1], s[18:19], v[6:7]
	s_and_b64 vcc, exec, s[2:3]
	s_cbranch_vccnz .LBB50_20
; %bb.8:
	s_and_saveexec_b64 s[22:23], s[0:1]
	s_cbranch_execz .LBB50_18
; %bb.9:
	v_mul_lo_u32 v12, v7, s20
	v_mul_lo_u32 v13, v6, s21
	v_mad_u64_u32 v[10:11], s[2:3], v6, s20, 0
	v_add3_u32 v11, v11, v13, v12
	v_lshl_add_u64 v[8:9], s[24:25], 0, v[2:3]
	v_lshl_add_u64 v[10:11], v[10:11], 2, s[14:15]
	v_cmp_gt_i64_e32 vcc, s[16:17], v[8:9]
	v_lshl_add_u64 v[12:13], v[8:9], 2, v[10:11]
	s_and_saveexec_b64 s[2:3], vcc
	s_cbranch_execz .LBB50_11
; %bb.10:
	v_mul_f32_e32 v14, s28, v4
	global_store_dword v[12:13], v14, off
.LBB50_11:
	s_or_b64 exec, exec, s[2:3]
	v_lshl_add_u64 v[14:15], v[8:9], 0, 16
	v_cmp_gt_i64_e64 s[2:3], s[16:17], v[14:15]
	s_and_saveexec_b64 s[6:7], s[2:3]
	s_cbranch_execz .LBB50_13
; %bb.12:
	v_mul_f32_e32 v14, s28, v5
	global_store_dword v[12:13], v14, off offset:64
.LBB50_13:
	s_or_b64 exec, exec, s[6:7]
	v_lshl_add_u64 v[12:13], v[6:7], 0, 16
	v_cmp_gt_i64_e64 s[6:7], s[18:19], v[12:13]
	s_and_b64 exec, exec, s[6:7]
	s_cbranch_execz .LBB50_18
; %bb.14:
	s_lshl_b64 s[6:7], s[20:21], 6
	v_lshl_add_u64 v[10:11], v[10:11], 0, s[6:7]
	v_lshl_add_u64 v[8:9], v[8:9], 2, v[10:11]
	s_and_saveexec_b64 s[6:7], vcc
	s_cbranch_execz .LBB50_16
; %bb.15:
	v_mul_f32_e32 v10, s28, v0
	global_store_dword v[8:9], v10, off
.LBB50_16:
	s_or_b64 exec, exec, s[6:7]
	s_and_b64 exec, exec, s[2:3]
	s_cbranch_execz .LBB50_18
; %bb.17:
	v_mul_f32_e32 v10, s28, v1
	global_store_dword v[8:9], v10, off offset:64
.LBB50_18:
	s_or_b64 exec, exec, s[22:23]
	s_cbranch_execz .LBB50_21
.LBB50_19:
	s_endpgm
.LBB50_20:
.LBB50_21:
	s_and_saveexec_b64 s[2:3], s[0:1]
	s_cbranch_execz .LBB50_19
; %bb.22:
	s_mul_i32 s0, s13, s4
	s_mul_hi_u32 s1, s12, s4
	s_add_i32 s1, s1, s0
	s_mul_i32 s0, s12, s4
	s_lshl_b64 s[0:1], s[0:1], 2
	v_lshl_add_u64 v[12:13], s[24:25], 0, v[2:3]
	v_mul_lo_u32 v8, v7, s10
	v_mul_lo_u32 v9, v6, s11
	v_mad_u64_u32 v[2:3], s[2:3], v6, s10, 0
	s_add_u32 s0, s8, s0
	v_add3_u32 v3, v3, v9, v8
	v_mul_lo_u32 v10, v7, s20
	v_mul_lo_u32 v11, v6, s21
	v_mad_u64_u32 v[8:9], s[2:3], v6, s20, 0
	s_addc_u32 s1, s9, s1
	v_add3_u32 v9, v9, v11, v10
	v_cmp_gt_i64_e32 vcc, s[16:17], v[12:13]
	v_lshl_add_u64 v[10:11], v[2:3], 2, s[0:1]
	v_lshl_add_u64 v[8:9], v[8:9], 2, s[14:15]
	v_lshlrev_b64 v[2:3], 2, v[12:13]
	s_and_saveexec_b64 s[0:1], vcc
	s_cbranch_execz .LBB50_24
; %bb.23:
	v_lshl_add_u64 v[14:15], v[10:11], 0, v[2:3]
	global_load_dword v15, v[14:15], off
	v_mov_b32_e32 v14, v4
	s_waitcnt vmcnt(0)
	v_pk_mul_f32 v[14:15], s[28:29], v[14:15]
	s_nop 0
	v_add_f32_e32 v4, v14, v15
	v_lshl_add_u64 v[14:15], v[8:9], 0, v[2:3]
	global_store_dword v[14:15], v4, off
.LBB50_24:
	s_or_b64 exec, exec, s[0:1]
	v_lshl_add_u64 v[12:13], v[12:13], 0, 16
	v_cmp_gt_i64_e64 s[0:1], s[16:17], v[12:13]
	s_and_saveexec_b64 s[2:3], s[0:1]
	s_cbranch_execz .LBB50_26
; %bb.25:
	v_lshl_add_u64 v[12:13], v[10:11], 0, v[2:3]
	global_load_dword v13, v[12:13], off offset:64
	v_mov_b32_e32 v12, v5
	s_waitcnt vmcnt(0)
	v_pk_mul_f32 v[4:5], s[28:29], v[12:13]
	s_nop 0
	v_add_f32_e32 v12, v4, v5
	v_lshl_add_u64 v[4:5], v[8:9], 0, v[2:3]
	global_store_dword v[4:5], v12, off offset:64
.LBB50_26:
	s_or_b64 exec, exec, s[2:3]
	v_lshl_add_u64 v[4:5], v[6:7], 0, 16
	v_cmp_gt_i64_e64 s[2:3], s[18:19], v[4:5]
	s_and_b64 exec, exec, s[2:3]
	s_cbranch_execz .LBB50_19
; %bb.27:
	s_lshl_b64 s[2:3], s[10:11], 6
	v_lshl_add_u64 v[4:5], v[10:11], 0, s[2:3]
	s_lshl_b64 s[2:3], s[20:21], 6
	v_lshl_add_u64 v[6:7], v[8:9], 0, s[2:3]
	v_lshl_add_u64 v[4:5], v[4:5], 0, v[2:3]
	;; [unrolled: 1-line block ×3, first 2 shown]
	s_and_saveexec_b64 s[2:3], vcc
	s_cbranch_execz .LBB50_29
; %bb.28:
	global_load_dword v7, v[4:5], off
	v_mov_b32_e32 v6, v0
	s_waitcnt vmcnt(0)
	v_pk_mul_f32 v[6:7], s[28:29], v[6:7]
	s_nop 0
	v_add_f32_e32 v0, v6, v7
	global_store_dword v[2:3], v0, off
.LBB50_29:
	s_or_b64 exec, exec, s[2:3]
	s_and_b64 exec, exec, s[0:1]
	s_cbranch_execz .LBB50_19
; %bb.30:
	global_load_dword v5, v[4:5], off offset:64
	v_mov_b32_e32 v4, v1
	s_waitcnt vmcnt(0)
	v_pk_mul_f32 v[0:1], s[28:29], v[4:5]
	s_nop 0
	v_add_f32_e32 v0, v0, v1
	global_store_dword v[2:3], v0, off offset:64
	s_endpgm
	.section	.rodata,"a",@progbits
	.p2align	6, 0x0
	.amdhsa_kernel _ZN12_GLOBAL__N_135rocblas_gemm_batched_general_kernelIfLi16ELi16ELi32ELi32ELi8ELi32ELi8ELi8ELi32ELc84ELc78EKfS1_fEEvlllT_PT11_llS4_llS2_PT12_llPT13_lli
		.amdhsa_group_segment_fixed_size 2048
		.amdhsa_private_segment_fixed_size 0
		.amdhsa_kernarg_size 140
		.amdhsa_user_sgpr_count 2
		.amdhsa_user_sgpr_dispatch_ptr 0
		.amdhsa_user_sgpr_queue_ptr 0
		.amdhsa_user_sgpr_kernarg_segment_ptr 1
		.amdhsa_user_sgpr_dispatch_id 0
		.amdhsa_user_sgpr_kernarg_preload_length 0
		.amdhsa_user_sgpr_kernarg_preload_offset 0
		.amdhsa_user_sgpr_private_segment_size 0
		.amdhsa_uses_dynamic_stack 0
		.amdhsa_enable_private_segment 0
		.amdhsa_system_sgpr_workgroup_id_x 1
		.amdhsa_system_sgpr_workgroup_id_y 1
		.amdhsa_system_sgpr_workgroup_id_z 1
		.amdhsa_system_sgpr_workgroup_info 0
		.amdhsa_system_vgpr_workitem_id 1
		.amdhsa_next_free_vgpr 54
		.amdhsa_next_free_sgpr 32
		.amdhsa_accum_offset 56
		.amdhsa_reserve_vcc 1
		.amdhsa_float_round_mode_32 0
		.amdhsa_float_round_mode_16_64 0
		.amdhsa_float_denorm_mode_32 3
		.amdhsa_float_denorm_mode_16_64 3
		.amdhsa_dx10_clamp 1
		.amdhsa_ieee_mode 1
		.amdhsa_fp16_overflow 0
		.amdhsa_tg_split 0
		.amdhsa_exception_fp_ieee_invalid_op 0
		.amdhsa_exception_fp_denorm_src 0
		.amdhsa_exception_fp_ieee_div_zero 0
		.amdhsa_exception_fp_ieee_overflow 0
		.amdhsa_exception_fp_ieee_underflow 0
		.amdhsa_exception_fp_ieee_inexact 0
		.amdhsa_exception_int_div_zero 0
	.end_amdhsa_kernel
	.section	.text._ZN12_GLOBAL__N_135rocblas_gemm_batched_general_kernelIfLi16ELi16ELi32ELi32ELi8ELi32ELi8ELi8ELi32ELc84ELc78EKfS1_fEEvlllT_PT11_llS4_llS2_PT12_llPT13_lli,"axG",@progbits,_ZN12_GLOBAL__N_135rocblas_gemm_batched_general_kernelIfLi16ELi16ELi32ELi32ELi8ELi32ELi8ELi8ELi32ELc84ELc78EKfS1_fEEvlllT_PT11_llS4_llS2_PT12_llPT13_lli,comdat
.Lfunc_end50:
	.size	_ZN12_GLOBAL__N_135rocblas_gemm_batched_general_kernelIfLi16ELi16ELi32ELi32ELi8ELi32ELi8ELi8ELi32ELc84ELc78EKfS1_fEEvlllT_PT11_llS4_llS2_PT12_llPT13_lli, .Lfunc_end50-_ZN12_GLOBAL__N_135rocblas_gemm_batched_general_kernelIfLi16ELi16ELi32ELi32ELi8ELi32ELi8ELi8ELi32ELc84ELc78EKfS1_fEEvlllT_PT11_llS4_llS2_PT12_llPT13_lli
                                        ; -- End function
	.set _ZN12_GLOBAL__N_135rocblas_gemm_batched_general_kernelIfLi16ELi16ELi32ELi32ELi8ELi32ELi8ELi8ELi32ELc84ELc78EKfS1_fEEvlllT_PT11_llS4_llS2_PT12_llPT13_lli.num_vgpr, 54
	.set _ZN12_GLOBAL__N_135rocblas_gemm_batched_general_kernelIfLi16ELi16ELi32ELi32ELi8ELi32ELi8ELi8ELi32ELc84ELc78EKfS1_fEEvlllT_PT11_llS4_llS2_PT12_llPT13_lli.num_agpr, 0
	.set _ZN12_GLOBAL__N_135rocblas_gemm_batched_general_kernelIfLi16ELi16ELi32ELi32ELi8ELi32ELi8ELi8ELi32ELc84ELc78EKfS1_fEEvlllT_PT11_llS4_llS2_PT12_llPT13_lli.numbered_sgpr, 32
	.set _ZN12_GLOBAL__N_135rocblas_gemm_batched_general_kernelIfLi16ELi16ELi32ELi32ELi8ELi32ELi8ELi8ELi32ELc84ELc78EKfS1_fEEvlllT_PT11_llS4_llS2_PT12_llPT13_lli.num_named_barrier, 0
	.set _ZN12_GLOBAL__N_135rocblas_gemm_batched_general_kernelIfLi16ELi16ELi32ELi32ELi8ELi32ELi8ELi8ELi32ELc84ELc78EKfS1_fEEvlllT_PT11_llS4_llS2_PT12_llPT13_lli.private_seg_size, 0
	.set _ZN12_GLOBAL__N_135rocblas_gemm_batched_general_kernelIfLi16ELi16ELi32ELi32ELi8ELi32ELi8ELi8ELi32ELc84ELc78EKfS1_fEEvlllT_PT11_llS4_llS2_PT12_llPT13_lli.uses_vcc, 1
	.set _ZN12_GLOBAL__N_135rocblas_gemm_batched_general_kernelIfLi16ELi16ELi32ELi32ELi8ELi32ELi8ELi8ELi32ELc84ELc78EKfS1_fEEvlllT_PT11_llS4_llS2_PT12_llPT13_lli.uses_flat_scratch, 0
	.set _ZN12_GLOBAL__N_135rocblas_gemm_batched_general_kernelIfLi16ELi16ELi32ELi32ELi8ELi32ELi8ELi8ELi32ELc84ELc78EKfS1_fEEvlllT_PT11_llS4_llS2_PT12_llPT13_lli.has_dyn_sized_stack, 0
	.set _ZN12_GLOBAL__N_135rocblas_gemm_batched_general_kernelIfLi16ELi16ELi32ELi32ELi8ELi32ELi8ELi8ELi32ELc84ELc78EKfS1_fEEvlllT_PT11_llS4_llS2_PT12_llPT13_lli.has_recursion, 0
	.set _ZN12_GLOBAL__N_135rocblas_gemm_batched_general_kernelIfLi16ELi16ELi32ELi32ELi8ELi32ELi8ELi8ELi32ELc84ELc78EKfS1_fEEvlllT_PT11_llS4_llS2_PT12_llPT13_lli.has_indirect_call, 0
	.section	.AMDGPU.csdata,"",@progbits
; Kernel info:
; codeLenInByte = 1632
; TotalNumSgprs: 38
; NumVgprs: 54
; NumAgprs: 0
; TotalNumVgprs: 54
; ScratchSize: 0
; MemoryBound: 0
; FloatMode: 240
; IeeeMode: 1
; LDSByteSize: 2048 bytes/workgroup (compile time only)
; SGPRBlocks: 4
; VGPRBlocks: 6
; NumSGPRsForWavesPerEU: 38
; NumVGPRsForWavesPerEU: 54
; AccumOffset: 56
; Occupancy: 8
; WaveLimiterHint : 0
; COMPUTE_PGM_RSRC2:SCRATCH_EN: 0
; COMPUTE_PGM_RSRC2:USER_SGPR: 2
; COMPUTE_PGM_RSRC2:TRAP_HANDLER: 0
; COMPUTE_PGM_RSRC2:TGID_X_EN: 1
; COMPUTE_PGM_RSRC2:TGID_Y_EN: 1
; COMPUTE_PGM_RSRC2:TGID_Z_EN: 1
; COMPUTE_PGM_RSRC2:TIDIG_COMP_CNT: 1
; COMPUTE_PGM_RSRC3_GFX90A:ACCUM_OFFSET: 13
; COMPUTE_PGM_RSRC3_GFX90A:TG_SPLIT: 0
	.section	.text._ZN12_GLOBAL__N_135rocblas_gemm_batched_general_kernelIfLi16ELi16ELi32ELi32ELi8ELi32ELi8ELi8ELi32ELc78ELc84EKfS1_fEEvlllT_PT11_llS4_llS2_PT12_llPT13_lli,"axG",@progbits,_ZN12_GLOBAL__N_135rocblas_gemm_batched_general_kernelIfLi16ELi16ELi32ELi32ELi8ELi32ELi8ELi8ELi32ELc78ELc84EKfS1_fEEvlllT_PT11_llS4_llS2_PT12_llPT13_lli,comdat
	.globl	_ZN12_GLOBAL__N_135rocblas_gemm_batched_general_kernelIfLi16ELi16ELi32ELi32ELi8ELi32ELi8ELi8ELi32ELc78ELc84EKfS1_fEEvlllT_PT11_llS4_llS2_PT12_llPT13_lli ; -- Begin function _ZN12_GLOBAL__N_135rocblas_gemm_batched_general_kernelIfLi16ELi16ELi32ELi32ELi8ELi32ELi8ELi8ELi32ELc78ELc84EKfS1_fEEvlllT_PT11_llS4_llS2_PT12_llPT13_lli
	.p2align	8
	.type	_ZN12_GLOBAL__N_135rocblas_gemm_batched_general_kernelIfLi16ELi16ELi32ELi32ELi8ELi32ELi8ELi8ELi32ELc78ELc84EKfS1_fEEvlllT_PT11_llS4_llS2_PT12_llPT13_lli,@function
_ZN12_GLOBAL__N_135rocblas_gemm_batched_general_kernelIfLi16ELi16ELi32ELi32ELi8ELi32ELi8ELi8ELi32ELc78ELc84EKfS1_fEEvlllT_PT11_llS4_llS2_PT12_llPT13_lli: ; @_ZN12_GLOBAL__N_135rocblas_gemm_batched_general_kernelIfLi16ELi16ELi32ELi32ELi8ELi32ELi8ELi8ELi32ELc78ELc84EKfS1_fEEvlllT_PT11_llS4_llS2_PT12_llPT13_lli
; %bb.0:
	s_load_dwordx4 s[20:23], s[0:1], 0x0
	s_load_dwordx2 s[10:11], s[0:1], 0x10
	s_mov_b32 s34, s3
	v_mov_b32_e32 v7, 0
	s_ashr_i32 s3, s2, 31
	s_ashr_i32 s35, s34, 31
	s_waitcnt lgkmcnt(0)
	v_cmp_lt_i64_e64 s[6:7], s[10:11], 1
	v_and_b32_e32 v2, 0x3ff, v0
	v_bfe_u32 v6, v0, 10, 10
	v_mov_b32_e32 v3, v7
	s_lshl_b64 s[28:29], s[2:3], 5
	s_lshl_b64 s[30:31], s[34:35], 5
	s_and_b64 vcc, exec, s[6:7]
	v_mov_b32_e32 v5, v7
	v_mov_b32_e32 v4, v7
	;; [unrolled: 1-line block ×4, first 2 shown]
	s_cbranch_vccnz .LBB51_7
; %bb.1:
	s_load_dwordx8 s[12:19], s[0:1], 0x20
	s_load_dwordx4 s[24:27], s[0:1], 0x40
	v_lshl_add_u32 v12, v6, 4, v2
	v_mov_b32_e32 v9, 0
	v_lshrrev_b32_e32 v0, 3, v12
	v_mov_b32_e32 v1, v9
	v_and_b32_e32 v10, 7, v2
	v_lshl_add_u64 v[4:5], v[0:1], 0, s[30:31]
	v_and_b32_e32 v1, 31, v12
	s_waitcnt lgkmcnt(0)
	s_mul_i32 s5, s27, s4
	s_mul_hi_u32 s27, s26, s4
	v_lshrrev_b32_e32 v8, 5, v12
	v_or_b32_e32 v12, s28, v1
	v_mov_b32_e32 v13, s29
	v_cmp_gt_i64_e64 s[8:9], s[22:23], v[4:5]
	s_add_i32 s27, s27, s5
	s_mul_i32 s26, s26, s4
	v_mad_u64_u32 v[4:5], s[36:37], s24, v10, 0
	v_cmp_gt_i64_e64 s[6:7], s[20:21], v[12:13]
	v_lshlrev_b32_e32 v14, 2, v1
	v_lshlrev_b32_e32 v1, 2, v10
	s_lshl_b64 s[26:27], s[26:27], 2
	v_mov_b32_e32 v12, v5
	s_lshl_b64 s[34:35], s[34:35], 7
	v_lshl_or_b32 v1, v0, 5, v1
	v_mad_u64_u32 v[12:13], s[36:37], s25, v10, v[12:13]
	s_add_u32 s26, s34, s26
	v_add_u32_e32 v19, 0x400, v1
	v_mov_b32_e32 v1, 0x400
	v_mov_b32_e32 v5, v12
	s_addc_u32 s27, s35, s27
	v_lshl_add_u32 v21, v6, 5, v1
	v_lshl_add_u64 v[4:5], v[4:5], 2, s[26:27]
	v_lshlrev_b32_e32 v0, 2, v0
	v_mov_b32_e32 v1, v9
	v_lshl_add_u64 v[0:1], v[4:5], 0, v[0:1]
	s_mul_i32 s5, s17, s4
	s_mul_hi_u32 s17, s16, s4
	v_lshl_add_u64 v[12:13], s[18:19], 0, v[0:1]
	s_lshl_b64 s[18:19], s[24:25], 5
	v_mad_u64_u32 v[0:1], s[24:25], s14, v8, 0
	s_add_i32 s17, s17, s5
	s_mul_i32 s16, s16, s4
	v_mov_b32_e32 v4, v1
	s_lshl_b64 s[16:17], s[16:17], 2
	s_lshl_b64 s[2:3], s[2:3], 7
	v_mad_u64_u32 v[4:5], s[24:25], s15, v8, v[4:5]
	s_add_u32 s2, s2, s16
	v_mov_b32_e32 v1, v4
	s_addc_u32 s3, s3, s17
	v_lshl_add_u64 v[0:1], v[0:1], 2, s[2:3]
	v_mov_b32_e32 v15, v9
	v_lshl_add_u64 v[0:1], v[0:1], 0, v[14:15]
	v_mov_b32_e32 v11, v9
	v_lshl_or_b32 v18, v8, 7, v14
	v_lshlrev_b32_e32 v20, 2, v2
	v_lshl_add_u64 v[14:15], s[12:13], 0, v[0:1]
	s_lshl_b64 s[2:3], s[14:15], 5
	s_mov_b64 s[12:13], 0
	v_mov_b64_e32 v[16:17], s[10:11]
	v_mov_b32_e32 v4, v9
	v_mov_b32_e32 v5, v9
	;; [unrolled: 1-line block ×4, first 2 shown]
	s_branch .LBB51_3
.LBB51_2:                               ;   in Loop: Header=BB51_3 Depth=1
	s_or_b64 exec, exec, s[14:15]
	s_waitcnt vmcnt(0)
	ds_write_b32 v19, v22
	s_waitcnt lgkmcnt(0)
	s_barrier
	ds_read_b128 v[22:25], v21
	ds_read_b128 v[26:29], v21 offset:16
	ds_read2_b32 v[38:39], v20 offset1:16
	ds_read2_b32 v[40:41], v20 offset0:32 offset1:48
	ds_read2_b32 v[42:43], v20 offset0:64 offset1:80
	;; [unrolled: 1-line block ×4, first 2 shown]
	ds_read_b128 v[30:33], v21 offset:512
	ds_read_b128 v[34:37], v21 offset:528
	ds_read2_b32 v[48:49], v20 offset0:160 offset1:176
	ds_read2_b32 v[50:51], v20 offset0:192 offset1:208
	;; [unrolled: 1-line block ×3, first 2 shown]
	s_waitcnt lgkmcnt(9)
	v_pk_fma_f32 v[4:5], v[38:39], v[22:23], v[4:5] op_sel_hi:[1,0,1]
	s_waitcnt lgkmcnt(4)
	v_pk_fma_f32 v[0:1], v[38:39], v[30:31], v[0:1] op_sel_hi:[1,0,1]
	v_pk_fma_f32 v[4:5], v[40:41], v[22:23], v[4:5] op_sel:[0,1,0]
	v_mov_b32_e32 v22, v25
	v_pk_fma_f32 v[4:5], v[42:43], v[24:25], v[4:5] op_sel_hi:[1,0,1]
	v_pk_fma_f32 v[0:1], v[40:41], v[30:31], v[0:1] op_sel:[0,1,0]
	v_pk_fma_f32 v[4:5], v[44:45], v[22:23], v[4:5] op_sel_hi:[1,0,1]
	v_mov_b32_e32 v22, v29
	v_pk_fma_f32 v[4:5], v[46:47], v[26:27], v[4:5] op_sel_hi:[1,0,1]
	v_pk_fma_f32 v[0:1], v[42:43], v[32:33], v[0:1] op_sel_hi:[1,0,1]
	s_waitcnt lgkmcnt(2)
	v_pk_fma_f32 v[4:5], v[48:49], v[26:27], v[4:5] op_sel:[0,1,0]
	s_add_u32 s12, s12, 8
	s_waitcnt lgkmcnt(1)
	v_pk_fma_f32 v[4:5], v[50:51], v[28:29], v[4:5] op_sel_hi:[1,0,1]
	s_addc_u32 s13, s13, 0
	s_waitcnt lgkmcnt(0)
	v_pk_fma_f32 v[4:5], v[52:53], v[22:23], v[4:5] op_sel_hi:[1,0,1]
	v_mov_b32_e32 v22, v33
	v_pk_fma_f32 v[0:1], v[44:45], v[22:23], v[0:1] op_sel_hi:[1,0,1]
	v_mov_b32_e32 v22, v37
	v_pk_fma_f32 v[0:1], v[46:47], v[34:35], v[0:1] op_sel_hi:[1,0,1]
	v_cmp_lt_i64_e32 vcc, s[12:13], v[16:17]
	v_pk_fma_f32 v[0:1], v[48:49], v[34:35], v[0:1] op_sel:[0,1,0]
	v_lshl_add_u64 v[12:13], v[12:13], 0, s[18:19]
	v_pk_fma_f32 v[0:1], v[50:51], v[36:37], v[0:1] op_sel_hi:[1,0,1]
	v_lshl_add_u64 v[14:15], v[14:15], 0, s[2:3]
	v_pk_fma_f32 v[0:1], v[52:53], v[22:23], v[0:1] op_sel_hi:[1,0,1]
	s_barrier
	s_cbranch_vccz .LBB51_7
.LBB51_3:                               ; =>This Inner Loop Header: Depth=1
	v_lshl_add_u64 v[22:23], v[8:9], 0, s[12:13]
	v_cmp_gt_i64_e32 vcc, s[10:11], v[22:23]
	s_and_b64 s[16:17], s[6:7], vcc
	v_mov_b32_e32 v22, 0
	s_and_saveexec_b64 s[14:15], s[16:17]
	s_cbranch_execz .LBB51_5
; %bb.4:                                ;   in Loop: Header=BB51_3 Depth=1
	global_load_dword v22, v[14:15], off
.LBB51_5:                               ;   in Loop: Header=BB51_3 Depth=1
	s_or_b64 exec, exec, s[14:15]
	s_waitcnt vmcnt(0)
	ds_write_b32 v18, v22
	v_lshl_add_u64 v[22:23], v[10:11], 0, s[12:13]
	v_cmp_gt_i64_e32 vcc, s[10:11], v[22:23]
	s_and_b64 s[16:17], vcc, s[8:9]
	v_mov_b32_e32 v22, 0
	s_and_saveexec_b64 s[14:15], s[16:17]
	s_cbranch_execz .LBB51_2
; %bb.6:                                ;   in Loop: Header=BB51_3 Depth=1
	global_load_dword v22, v[12:13], off
	s_branch .LBB51_2
.LBB51_7:
	s_load_dwordx4 s[16:19], s[0:1], 0x78
	s_load_dword s24, s[0:1], 0x18
	s_load_dword s25, s[0:1], 0x50
	s_load_dwordx8 s[8:15], s[0:1], 0x58
	v_lshl_add_u64 v[6:7], s[30:31], 0, v[6:7]
	s_waitcnt lgkmcnt(0)
	s_mul_i32 s0, s19, s4
	s_mul_hi_u32 s1, s18, s4
	s_add_i32 s1, s1, s0
	s_mul_i32 s0, s18, s4
	s_lshl_b64 s[0:1], s[0:1], 2
	s_add_u32 s14, s14, s0
	v_cmp_neq_f32_e64 s[2:3], s25, 0
	s_addc_u32 s15, s15, s1
	v_cmp_gt_i64_e64 s[0:1], s[22:23], v[6:7]
	s_and_b64 vcc, exec, s[2:3]
	s_cbranch_vccnz .LBB51_20
; %bb.8:
	s_and_saveexec_b64 s[18:19], s[0:1]
	s_cbranch_execz .LBB51_18
; %bb.9:
	v_mul_lo_u32 v12, v7, s16
	v_mul_lo_u32 v13, v6, s17
	v_mad_u64_u32 v[10:11], s[2:3], v6, s16, 0
	v_add3_u32 v11, v11, v13, v12
	v_lshl_add_u64 v[8:9], s[28:29], 0, v[2:3]
	v_lshl_add_u64 v[10:11], v[10:11], 2, s[14:15]
	v_cmp_gt_i64_e32 vcc, s[20:21], v[8:9]
	v_lshl_add_u64 v[12:13], v[8:9], 2, v[10:11]
	s_and_saveexec_b64 s[2:3], vcc
	s_cbranch_execz .LBB51_11
; %bb.10:
	v_mul_f32_e32 v14, s24, v4
	global_store_dword v[12:13], v14, off
.LBB51_11:
	s_or_b64 exec, exec, s[2:3]
	v_lshl_add_u64 v[14:15], v[8:9], 0, 16
	v_cmp_gt_i64_e64 s[2:3], s[20:21], v[14:15]
	s_and_saveexec_b64 s[6:7], s[2:3]
	s_cbranch_execz .LBB51_13
; %bb.12:
	v_mul_f32_e32 v14, s24, v5
	global_store_dword v[12:13], v14, off offset:64
.LBB51_13:
	s_or_b64 exec, exec, s[6:7]
	v_lshl_add_u64 v[12:13], v[6:7], 0, 16
	v_cmp_gt_i64_e64 s[6:7], s[22:23], v[12:13]
	s_and_b64 exec, exec, s[6:7]
	s_cbranch_execz .LBB51_18
; %bb.14:
	s_lshl_b64 s[6:7], s[16:17], 6
	v_lshl_add_u64 v[10:11], v[10:11], 0, s[6:7]
	v_lshl_add_u64 v[8:9], v[8:9], 2, v[10:11]
	s_and_saveexec_b64 s[6:7], vcc
	s_cbranch_execz .LBB51_16
; %bb.15:
	v_mul_f32_e32 v10, s24, v0
	global_store_dword v[8:9], v10, off
.LBB51_16:
	s_or_b64 exec, exec, s[6:7]
	s_and_b64 exec, exec, s[2:3]
	s_cbranch_execz .LBB51_18
; %bb.17:
	v_mul_f32_e32 v10, s24, v1
	global_store_dword v[8:9], v10, off offset:64
.LBB51_18:
	s_or_b64 exec, exec, s[18:19]
	s_cbranch_execz .LBB51_21
.LBB51_19:
	s_endpgm
.LBB51_20:
.LBB51_21:
	s_and_saveexec_b64 s[2:3], s[0:1]
	s_cbranch_execz .LBB51_19
; %bb.22:
	s_mul_i32 s0, s13, s4
	s_mul_hi_u32 s1, s12, s4
	s_add_i32 s1, s1, s0
	s_mul_i32 s0, s12, s4
	s_lshl_b64 s[0:1], s[0:1], 2
	v_lshl_add_u64 v[12:13], s[28:29], 0, v[2:3]
	v_mul_lo_u32 v8, v7, s10
	v_mul_lo_u32 v9, v6, s11
	v_mad_u64_u32 v[2:3], s[2:3], v6, s10, 0
	s_add_u32 s0, s8, s0
	v_add3_u32 v3, v3, v9, v8
	v_mul_lo_u32 v10, v7, s16
	v_mul_lo_u32 v11, v6, s17
	v_mad_u64_u32 v[8:9], s[2:3], v6, s16, 0
	s_addc_u32 s1, s9, s1
	v_add3_u32 v9, v9, v11, v10
	v_cmp_gt_i64_e32 vcc, s[20:21], v[12:13]
	v_lshl_add_u64 v[10:11], v[2:3], 2, s[0:1]
	v_lshl_add_u64 v[8:9], v[8:9], 2, s[14:15]
	v_lshlrev_b64 v[2:3], 2, v[12:13]
	s_and_saveexec_b64 s[0:1], vcc
	s_cbranch_execz .LBB51_24
; %bb.23:
	v_lshl_add_u64 v[14:15], v[10:11], 0, v[2:3]
	global_load_dword v15, v[14:15], off
	v_mov_b32_e32 v14, v4
	s_waitcnt vmcnt(0)
	v_pk_mul_f32 v[14:15], s[24:25], v[14:15]
	s_nop 0
	v_add_f32_e32 v4, v14, v15
	v_lshl_add_u64 v[14:15], v[8:9], 0, v[2:3]
	global_store_dword v[14:15], v4, off
.LBB51_24:
	s_or_b64 exec, exec, s[0:1]
	v_lshl_add_u64 v[12:13], v[12:13], 0, 16
	v_cmp_gt_i64_e64 s[0:1], s[20:21], v[12:13]
	s_and_saveexec_b64 s[2:3], s[0:1]
	s_cbranch_execz .LBB51_26
; %bb.25:
	v_lshl_add_u64 v[12:13], v[10:11], 0, v[2:3]
	global_load_dword v13, v[12:13], off offset:64
	v_mov_b32_e32 v12, v5
	s_waitcnt vmcnt(0)
	v_pk_mul_f32 v[4:5], s[24:25], v[12:13]
	s_nop 0
	v_add_f32_e32 v12, v4, v5
	v_lshl_add_u64 v[4:5], v[8:9], 0, v[2:3]
	global_store_dword v[4:5], v12, off offset:64
.LBB51_26:
	s_or_b64 exec, exec, s[2:3]
	v_lshl_add_u64 v[4:5], v[6:7], 0, 16
	v_cmp_gt_i64_e64 s[2:3], s[22:23], v[4:5]
	s_and_b64 exec, exec, s[2:3]
	s_cbranch_execz .LBB51_19
; %bb.27:
	s_lshl_b64 s[2:3], s[10:11], 6
	v_lshl_add_u64 v[4:5], v[10:11], 0, s[2:3]
	s_lshl_b64 s[2:3], s[16:17], 6
	v_lshl_add_u64 v[6:7], v[8:9], 0, s[2:3]
	v_lshl_add_u64 v[4:5], v[4:5], 0, v[2:3]
	v_lshl_add_u64 v[2:3], v[6:7], 0, v[2:3]
	s_and_saveexec_b64 s[2:3], vcc
	s_cbranch_execz .LBB51_29
; %bb.28:
	global_load_dword v7, v[4:5], off
	v_mov_b32_e32 v6, v0
	s_waitcnt vmcnt(0)
	v_pk_mul_f32 v[6:7], s[24:25], v[6:7]
	s_nop 0
	v_add_f32_e32 v0, v6, v7
	global_store_dword v[2:3], v0, off
.LBB51_29:
	s_or_b64 exec, exec, s[2:3]
	s_and_b64 exec, exec, s[0:1]
	s_cbranch_execz .LBB51_19
; %bb.30:
	global_load_dword v5, v[4:5], off offset:64
	v_mov_b32_e32 v4, v1
	s_waitcnt vmcnt(0)
	v_pk_mul_f32 v[0:1], s[24:25], v[4:5]
	s_nop 0
	v_add_f32_e32 v0, v0, v1
	global_store_dword v[2:3], v0, off offset:64
	s_endpgm
	.section	.rodata,"a",@progbits
	.p2align	6, 0x0
	.amdhsa_kernel _ZN12_GLOBAL__N_135rocblas_gemm_batched_general_kernelIfLi16ELi16ELi32ELi32ELi8ELi32ELi8ELi8ELi32ELc78ELc84EKfS1_fEEvlllT_PT11_llS4_llS2_PT12_llPT13_lli
		.amdhsa_group_segment_fixed_size 2048
		.amdhsa_private_segment_fixed_size 0
		.amdhsa_kernarg_size 140
		.amdhsa_user_sgpr_count 2
		.amdhsa_user_sgpr_dispatch_ptr 0
		.amdhsa_user_sgpr_queue_ptr 0
		.amdhsa_user_sgpr_kernarg_segment_ptr 1
		.amdhsa_user_sgpr_dispatch_id 0
		.amdhsa_user_sgpr_kernarg_preload_length 0
		.amdhsa_user_sgpr_kernarg_preload_offset 0
		.amdhsa_user_sgpr_private_segment_size 0
		.amdhsa_uses_dynamic_stack 0
		.amdhsa_enable_private_segment 0
		.amdhsa_system_sgpr_workgroup_id_x 1
		.amdhsa_system_sgpr_workgroup_id_y 1
		.amdhsa_system_sgpr_workgroup_id_z 1
		.amdhsa_system_sgpr_workgroup_info 0
		.amdhsa_system_vgpr_workitem_id 1
		.amdhsa_next_free_vgpr 54
		.amdhsa_next_free_sgpr 38
		.amdhsa_accum_offset 56
		.amdhsa_reserve_vcc 1
		.amdhsa_float_round_mode_32 0
		.amdhsa_float_round_mode_16_64 0
		.amdhsa_float_denorm_mode_32 3
		.amdhsa_float_denorm_mode_16_64 3
		.amdhsa_dx10_clamp 1
		.amdhsa_ieee_mode 1
		.amdhsa_fp16_overflow 0
		.amdhsa_tg_split 0
		.amdhsa_exception_fp_ieee_invalid_op 0
		.amdhsa_exception_fp_denorm_src 0
		.amdhsa_exception_fp_ieee_div_zero 0
		.amdhsa_exception_fp_ieee_overflow 0
		.amdhsa_exception_fp_ieee_underflow 0
		.amdhsa_exception_fp_ieee_inexact 0
		.amdhsa_exception_int_div_zero 0
	.end_amdhsa_kernel
	.section	.text._ZN12_GLOBAL__N_135rocblas_gemm_batched_general_kernelIfLi16ELi16ELi32ELi32ELi8ELi32ELi8ELi8ELi32ELc78ELc84EKfS1_fEEvlllT_PT11_llS4_llS2_PT12_llPT13_lli,"axG",@progbits,_ZN12_GLOBAL__N_135rocblas_gemm_batched_general_kernelIfLi16ELi16ELi32ELi32ELi8ELi32ELi8ELi8ELi32ELc78ELc84EKfS1_fEEvlllT_PT11_llS4_llS2_PT12_llPT13_lli,comdat
.Lfunc_end51:
	.size	_ZN12_GLOBAL__N_135rocblas_gemm_batched_general_kernelIfLi16ELi16ELi32ELi32ELi8ELi32ELi8ELi8ELi32ELc78ELc84EKfS1_fEEvlllT_PT11_llS4_llS2_PT12_llPT13_lli, .Lfunc_end51-_ZN12_GLOBAL__N_135rocblas_gemm_batched_general_kernelIfLi16ELi16ELi32ELi32ELi8ELi32ELi8ELi8ELi32ELc78ELc84EKfS1_fEEvlllT_PT11_llS4_llS2_PT12_llPT13_lli
                                        ; -- End function
	.set _ZN12_GLOBAL__N_135rocblas_gemm_batched_general_kernelIfLi16ELi16ELi32ELi32ELi8ELi32ELi8ELi8ELi32ELc78ELc84EKfS1_fEEvlllT_PT11_llS4_llS2_PT12_llPT13_lli.num_vgpr, 54
	.set _ZN12_GLOBAL__N_135rocblas_gemm_batched_general_kernelIfLi16ELi16ELi32ELi32ELi8ELi32ELi8ELi8ELi32ELc78ELc84EKfS1_fEEvlllT_PT11_llS4_llS2_PT12_llPT13_lli.num_agpr, 0
	.set _ZN12_GLOBAL__N_135rocblas_gemm_batched_general_kernelIfLi16ELi16ELi32ELi32ELi8ELi32ELi8ELi8ELi32ELc78ELc84EKfS1_fEEvlllT_PT11_llS4_llS2_PT12_llPT13_lli.numbered_sgpr, 38
	.set _ZN12_GLOBAL__N_135rocblas_gemm_batched_general_kernelIfLi16ELi16ELi32ELi32ELi8ELi32ELi8ELi8ELi32ELc78ELc84EKfS1_fEEvlllT_PT11_llS4_llS2_PT12_llPT13_lli.num_named_barrier, 0
	.set _ZN12_GLOBAL__N_135rocblas_gemm_batched_general_kernelIfLi16ELi16ELi32ELi32ELi8ELi32ELi8ELi8ELi32ELc78ELc84EKfS1_fEEvlllT_PT11_llS4_llS2_PT12_llPT13_lli.private_seg_size, 0
	.set _ZN12_GLOBAL__N_135rocblas_gemm_batched_general_kernelIfLi16ELi16ELi32ELi32ELi8ELi32ELi8ELi8ELi32ELc78ELc84EKfS1_fEEvlllT_PT11_llS4_llS2_PT12_llPT13_lli.uses_vcc, 1
	.set _ZN12_GLOBAL__N_135rocblas_gemm_batched_general_kernelIfLi16ELi16ELi32ELi32ELi8ELi32ELi8ELi8ELi32ELc78ELc84EKfS1_fEEvlllT_PT11_llS4_llS2_PT12_llPT13_lli.uses_flat_scratch, 0
	.set _ZN12_GLOBAL__N_135rocblas_gemm_batched_general_kernelIfLi16ELi16ELi32ELi32ELi8ELi32ELi8ELi8ELi32ELc78ELc84EKfS1_fEEvlllT_PT11_llS4_llS2_PT12_llPT13_lli.has_dyn_sized_stack, 0
	.set _ZN12_GLOBAL__N_135rocblas_gemm_batched_general_kernelIfLi16ELi16ELi32ELi32ELi8ELi32ELi8ELi8ELi32ELc78ELc84EKfS1_fEEvlllT_PT11_llS4_llS2_PT12_llPT13_lli.has_recursion, 0
	.set _ZN12_GLOBAL__N_135rocblas_gemm_batched_general_kernelIfLi16ELi16ELi32ELi32ELi8ELi32ELi8ELi8ELi32ELc78ELc84EKfS1_fEEvlllT_PT11_llS4_llS2_PT12_llPT13_lli.has_indirect_call, 0
	.section	.AMDGPU.csdata,"",@progbits
; Kernel info:
; codeLenInByte = 1640
; TotalNumSgprs: 44
; NumVgprs: 54
; NumAgprs: 0
; TotalNumVgprs: 54
; ScratchSize: 0
; MemoryBound: 0
; FloatMode: 240
; IeeeMode: 1
; LDSByteSize: 2048 bytes/workgroup (compile time only)
; SGPRBlocks: 5
; VGPRBlocks: 6
; NumSGPRsForWavesPerEU: 44
; NumVGPRsForWavesPerEU: 54
; AccumOffset: 56
; Occupancy: 8
; WaveLimiterHint : 0
; COMPUTE_PGM_RSRC2:SCRATCH_EN: 0
; COMPUTE_PGM_RSRC2:USER_SGPR: 2
; COMPUTE_PGM_RSRC2:TRAP_HANDLER: 0
; COMPUTE_PGM_RSRC2:TGID_X_EN: 1
; COMPUTE_PGM_RSRC2:TGID_Y_EN: 1
; COMPUTE_PGM_RSRC2:TGID_Z_EN: 1
; COMPUTE_PGM_RSRC2:TIDIG_COMP_CNT: 1
; COMPUTE_PGM_RSRC3_GFX90A:ACCUM_OFFSET: 13
; COMPUTE_PGM_RSRC3_GFX90A:TG_SPLIT: 0
	.section	.text._ZN12_GLOBAL__N_135rocblas_gemm_batched_general_kernelIfLi16ELi16ELi32ELi32ELi8ELi32ELi8ELi8ELi32ELc84ELc84EKfS1_fEEvlllT_PT11_llS4_llS2_PT12_llPT13_lli,"axG",@progbits,_ZN12_GLOBAL__N_135rocblas_gemm_batched_general_kernelIfLi16ELi16ELi32ELi32ELi8ELi32ELi8ELi8ELi32ELc84ELc84EKfS1_fEEvlllT_PT11_llS4_llS2_PT12_llPT13_lli,comdat
	.globl	_ZN12_GLOBAL__N_135rocblas_gemm_batched_general_kernelIfLi16ELi16ELi32ELi32ELi8ELi32ELi8ELi8ELi32ELc84ELc84EKfS1_fEEvlllT_PT11_llS4_llS2_PT12_llPT13_lli ; -- Begin function _ZN12_GLOBAL__N_135rocblas_gemm_batched_general_kernelIfLi16ELi16ELi32ELi32ELi8ELi32ELi8ELi8ELi32ELc84ELc84EKfS1_fEEvlllT_PT11_llS4_llS2_PT12_llPT13_lli
	.p2align	8
	.type	_ZN12_GLOBAL__N_135rocblas_gemm_batched_general_kernelIfLi16ELi16ELi32ELi32ELi8ELi32ELi8ELi8ELi32ELc84ELc84EKfS1_fEEvlllT_PT11_llS4_llS2_PT12_llPT13_lli,@function
_ZN12_GLOBAL__N_135rocblas_gemm_batched_general_kernelIfLi16ELi16ELi32ELi32ELi8ELi32ELi8ELi8ELi32ELc84ELc84EKfS1_fEEvlllT_PT11_llS4_llS2_PT12_llPT13_lli: ; @_ZN12_GLOBAL__N_135rocblas_gemm_batched_general_kernelIfLi16ELi16ELi32ELi32ELi8ELi32ELi8ELi8ELi32ELc84ELc84EKfS1_fEEvlllT_PT11_llS4_llS2_PT12_llPT13_lli
; %bb.0:
	s_load_dwordx4 s[16:19], s[0:1], 0x0
	s_load_dwordx2 s[28:29], s[0:1], 0x10
	s_mov_b32 s30, s3
	s_ashr_i32 s3, s2, 31
	v_mov_b32_e32 v7, 0
	s_lshl_b64 s[24:25], s[2:3], 5
	s_ashr_i32 s31, s30, 31
	s_waitcnt lgkmcnt(0)
	v_cmp_lt_i64_e64 s[2:3], s[28:29], 1
	v_and_b32_e32 v2, 0x3ff, v0
	v_bfe_u32 v6, v0, 10, 10
	v_mov_b32_e32 v3, v7
	s_lshl_b64 s[26:27], s[30:31], 5
	s_and_b64 vcc, exec, s[2:3]
	v_mov_b32_e32 v5, v7
	v_mov_b32_e32 v4, v7
	;; [unrolled: 1-line block ×4, first 2 shown]
	s_cbranch_vccnz .LBB52_7
; %bb.1:
	s_load_dwordx8 s[8:15], s[0:1], 0x20
	s_load_dwordx4 s[20:23], s[0:1], 0x40
	v_lshl_add_u32 v12, v6, 4, v2
	v_mov_b32_e32 v9, 0
	v_lshrrev_b32_e32 v0, 3, v12
	v_mov_b32_e32 v1, v9
	v_and_b32_e32 v10, 7, v2
	v_lshl_add_u64 v[4:5], v[0:1], 0, s[26:27]
	v_and_b32_e32 v14, 31, v12
	s_waitcnt lgkmcnt(0)
	s_mul_i32 s5, s23, s4
	s_mul_hi_u32 s23, s22, s4
	v_lshrrev_b32_e32 v8, 5, v12
	v_or_b32_e32 v12, s24, v14
	v_mov_b32_e32 v13, s25
	v_lshlrev_b32_e32 v1, 2, v14
	v_cmp_gt_i64_e64 s[6:7], s[18:19], v[4:5]
	s_add_i32 s23, s23, s5
	s_mul_i32 s22, s22, s4
	v_mad_u64_u32 v[4:5], s[34:35], s20, v10, 0
	v_cmp_gt_i64_e64 s[2:3], s[16:17], v[12:13]
	v_lshl_or_b32 v18, v8, 7, v1
	v_lshlrev_b32_e32 v1, 2, v10
	s_lshl_b64 s[22:23], s[22:23], 2
	v_mov_b32_e32 v12, v5
	s_lshl_b64 s[30:31], s[30:31], 7
	v_lshl_or_b32 v1, v0, 5, v1
	v_mad_u64_u32 v[12:13], s[34:35], s21, v10, v[12:13]
	s_add_u32 s22, s30, s22
	v_add_u32_e32 v19, 0x400, v1
	v_mov_b32_e32 v1, 0x400
	v_mov_b32_e32 v5, v12
	s_addc_u32 s23, s31, s23
	v_lshl_add_u32 v21, v6, 5, v1
	v_lshl_add_u64 v[4:5], v[4:5], 2, s[22:23]
	v_lshlrev_b32_e32 v0, 2, v0
	v_mov_b32_e32 v1, v9
	v_mov_b32_e32 v15, v9
	v_lshl_add_u64 v[0:1], v[4:5], 0, v[0:1]
	v_lshl_add_u64 v[12:13], s[14:15], 0, v[0:1]
	;; [unrolled: 1-line block ×3, first 2 shown]
	v_mul_lo_u32 v4, s11, v0
	v_mul_lo_u32 v5, s10, v1
	v_mad_u64_u32 v[0:1], s[10:11], s10, v0, 0
	s_mul_i32 s5, s13, s4
	s_mul_hi_u32 s10, s12, s4
	s_add_i32 s11, s10, s5
	s_mul_i32 s10, s12, s4
	v_add3_u32 v1, v1, v5, v4
	s_lshl_b64 s[10:11], s[10:11], 2
	v_lshl_add_u64 v[0:1], v[0:1], 2, s[10:11]
	v_lshlrev_b32_e32 v4, 2, v8
	v_mov_b32_e32 v5, v9
	v_lshl_add_u64 v[0:1], v[0:1], 0, v[4:5]
	v_mov_b32_e32 v11, v9
	v_lshlrev_b32_e32 v20, 2, v2
	s_lshl_b64 s[14:15], s[20:21], 5
	v_lshl_add_u64 v[14:15], s[8:9], 0, v[0:1]
	s_mov_b64 s[8:9], 0
	v_mov_b64_e32 v[16:17], s[28:29]
	v_mov_b32_e32 v4, v9
	v_mov_b32_e32 v0, v9
	;; [unrolled: 1-line block ×3, first 2 shown]
	s_branch .LBB52_3
.LBB52_2:                               ;   in Loop: Header=BB52_3 Depth=1
	s_or_b64 exec, exec, s[10:11]
	s_waitcnt vmcnt(0)
	ds_write_b32 v19, v22
	s_waitcnt lgkmcnt(0)
	s_barrier
	ds_read_b128 v[22:25], v21
	ds_read_b128 v[26:29], v21 offset:16
	ds_read2_b32 v[38:39], v20 offset1:16
	ds_read2_b32 v[40:41], v20 offset0:32 offset1:48
	ds_read2_b32 v[42:43], v20 offset0:64 offset1:80
	;; [unrolled: 1-line block ×4, first 2 shown]
	ds_read_b128 v[30:33], v21 offset:512
	ds_read_b128 v[34:37], v21 offset:528
	ds_read2_b32 v[48:49], v20 offset0:160 offset1:176
	ds_read2_b32 v[50:51], v20 offset0:192 offset1:208
	;; [unrolled: 1-line block ×3, first 2 shown]
	s_waitcnt lgkmcnt(9)
	v_pk_fma_f32 v[4:5], v[38:39], v[22:23], v[4:5] op_sel_hi:[1,0,1]
	s_waitcnt lgkmcnt(4)
	v_pk_fma_f32 v[0:1], v[38:39], v[30:31], v[0:1] op_sel_hi:[1,0,1]
	v_pk_fma_f32 v[4:5], v[40:41], v[22:23], v[4:5] op_sel:[0,1,0]
	v_mov_b32_e32 v22, v25
	v_pk_fma_f32 v[4:5], v[42:43], v[24:25], v[4:5] op_sel_hi:[1,0,1]
	v_pk_fma_f32 v[0:1], v[40:41], v[30:31], v[0:1] op_sel:[0,1,0]
	v_pk_fma_f32 v[4:5], v[44:45], v[22:23], v[4:5] op_sel_hi:[1,0,1]
	v_mov_b32_e32 v22, v29
	v_pk_fma_f32 v[4:5], v[46:47], v[26:27], v[4:5] op_sel_hi:[1,0,1]
	v_pk_fma_f32 v[0:1], v[42:43], v[32:33], v[0:1] op_sel_hi:[1,0,1]
	s_waitcnt lgkmcnt(2)
	v_pk_fma_f32 v[4:5], v[48:49], v[26:27], v[4:5] op_sel:[0,1,0]
	s_add_u32 s8, s8, 8
	s_waitcnt lgkmcnt(1)
	v_pk_fma_f32 v[4:5], v[50:51], v[28:29], v[4:5] op_sel_hi:[1,0,1]
	s_addc_u32 s9, s9, 0
	s_waitcnt lgkmcnt(0)
	v_pk_fma_f32 v[4:5], v[52:53], v[22:23], v[4:5] op_sel_hi:[1,0,1]
	v_mov_b32_e32 v22, v33
	v_pk_fma_f32 v[0:1], v[44:45], v[22:23], v[0:1] op_sel_hi:[1,0,1]
	v_mov_b32_e32 v22, v37
	v_pk_fma_f32 v[0:1], v[46:47], v[34:35], v[0:1] op_sel_hi:[1,0,1]
	v_cmp_lt_i64_e32 vcc, s[8:9], v[16:17]
	v_pk_fma_f32 v[0:1], v[48:49], v[34:35], v[0:1] op_sel:[0,1,0]
	v_lshl_add_u64 v[12:13], v[12:13], 0, s[14:15]
	v_pk_fma_f32 v[0:1], v[50:51], v[36:37], v[0:1] op_sel_hi:[1,0,1]
	v_lshl_add_u64 v[14:15], v[14:15], 0, 32
	v_pk_fma_f32 v[0:1], v[52:53], v[22:23], v[0:1] op_sel_hi:[1,0,1]
	s_barrier
	s_cbranch_vccz .LBB52_7
.LBB52_3:                               ; =>This Inner Loop Header: Depth=1
	v_lshl_add_u64 v[22:23], v[8:9], 0, s[8:9]
	v_cmp_gt_i64_e32 vcc, s[28:29], v[22:23]
	s_and_b64 s[12:13], s[2:3], vcc
	v_mov_b32_e32 v22, 0
	s_and_saveexec_b64 s[10:11], s[12:13]
	s_cbranch_execz .LBB52_5
; %bb.4:                                ;   in Loop: Header=BB52_3 Depth=1
	global_load_dword v22, v[14:15], off
.LBB52_5:                               ;   in Loop: Header=BB52_3 Depth=1
	s_or_b64 exec, exec, s[10:11]
	s_waitcnt vmcnt(0)
	ds_write_b32 v18, v22
	v_lshl_add_u64 v[22:23], v[10:11], 0, s[8:9]
	v_cmp_gt_i64_e32 vcc, s[28:29], v[22:23]
	s_and_b64 s[12:13], vcc, s[6:7]
	v_mov_b32_e32 v22, 0
	s_and_saveexec_b64 s[10:11], s[12:13]
	s_cbranch_execz .LBB52_2
; %bb.6:                                ;   in Loop: Header=BB52_3 Depth=1
	global_load_dword v22, v[12:13], off
	s_branch .LBB52_2
.LBB52_7:
	s_load_dwordx4 s[20:23], s[0:1], 0x78
	s_load_dword s28, s[0:1], 0x18
	s_load_dword s29, s[0:1], 0x50
	s_load_dwordx8 s[8:15], s[0:1], 0x58
	v_lshl_add_u64 v[6:7], s[26:27], 0, v[6:7]
	s_waitcnt lgkmcnt(0)
	s_mul_i32 s0, s23, s4
	s_mul_hi_u32 s1, s22, s4
	s_add_i32 s1, s1, s0
	s_mul_i32 s0, s22, s4
	s_lshl_b64 s[0:1], s[0:1], 2
	s_add_u32 s14, s14, s0
	v_cmp_neq_f32_e64 s[2:3], s29, 0
	s_addc_u32 s15, s15, s1
	v_cmp_gt_i64_e64 s[0:1], s[18:19], v[6:7]
	s_and_b64 vcc, exec, s[2:3]
	s_cbranch_vccnz .LBB52_20
; %bb.8:
	s_and_saveexec_b64 s[22:23], s[0:1]
	s_cbranch_execz .LBB52_18
; %bb.9:
	v_mul_lo_u32 v12, v7, s20
	v_mul_lo_u32 v13, v6, s21
	v_mad_u64_u32 v[10:11], s[2:3], v6, s20, 0
	v_add3_u32 v11, v11, v13, v12
	v_lshl_add_u64 v[8:9], s[24:25], 0, v[2:3]
	v_lshl_add_u64 v[10:11], v[10:11], 2, s[14:15]
	v_cmp_gt_i64_e32 vcc, s[16:17], v[8:9]
	v_lshl_add_u64 v[12:13], v[8:9], 2, v[10:11]
	s_and_saveexec_b64 s[2:3], vcc
	s_cbranch_execz .LBB52_11
; %bb.10:
	v_mul_f32_e32 v14, s28, v4
	global_store_dword v[12:13], v14, off
.LBB52_11:
	s_or_b64 exec, exec, s[2:3]
	v_lshl_add_u64 v[14:15], v[8:9], 0, 16
	v_cmp_gt_i64_e64 s[2:3], s[16:17], v[14:15]
	s_and_saveexec_b64 s[6:7], s[2:3]
	s_cbranch_execz .LBB52_13
; %bb.12:
	v_mul_f32_e32 v14, s28, v5
	global_store_dword v[12:13], v14, off offset:64
.LBB52_13:
	s_or_b64 exec, exec, s[6:7]
	v_lshl_add_u64 v[12:13], v[6:7], 0, 16
	v_cmp_gt_i64_e64 s[6:7], s[18:19], v[12:13]
	s_and_b64 exec, exec, s[6:7]
	s_cbranch_execz .LBB52_18
; %bb.14:
	s_lshl_b64 s[6:7], s[20:21], 6
	v_lshl_add_u64 v[10:11], v[10:11], 0, s[6:7]
	v_lshl_add_u64 v[8:9], v[8:9], 2, v[10:11]
	s_and_saveexec_b64 s[6:7], vcc
	s_cbranch_execz .LBB52_16
; %bb.15:
	v_mul_f32_e32 v10, s28, v0
	global_store_dword v[8:9], v10, off
.LBB52_16:
	s_or_b64 exec, exec, s[6:7]
	s_and_b64 exec, exec, s[2:3]
	s_cbranch_execz .LBB52_18
; %bb.17:
	v_mul_f32_e32 v10, s28, v1
	global_store_dword v[8:9], v10, off offset:64
.LBB52_18:
	s_or_b64 exec, exec, s[22:23]
	s_cbranch_execz .LBB52_21
.LBB52_19:
	s_endpgm
.LBB52_20:
.LBB52_21:
	s_and_saveexec_b64 s[2:3], s[0:1]
	s_cbranch_execz .LBB52_19
; %bb.22:
	s_mul_i32 s0, s13, s4
	s_mul_hi_u32 s1, s12, s4
	s_add_i32 s1, s1, s0
	s_mul_i32 s0, s12, s4
	s_lshl_b64 s[0:1], s[0:1], 2
	v_lshl_add_u64 v[12:13], s[24:25], 0, v[2:3]
	v_mul_lo_u32 v8, v7, s10
	v_mul_lo_u32 v9, v6, s11
	v_mad_u64_u32 v[2:3], s[2:3], v6, s10, 0
	s_add_u32 s0, s8, s0
	v_add3_u32 v3, v3, v9, v8
	v_mul_lo_u32 v10, v7, s20
	v_mul_lo_u32 v11, v6, s21
	v_mad_u64_u32 v[8:9], s[2:3], v6, s20, 0
	s_addc_u32 s1, s9, s1
	v_add3_u32 v9, v9, v11, v10
	v_cmp_gt_i64_e32 vcc, s[16:17], v[12:13]
	v_lshl_add_u64 v[10:11], v[2:3], 2, s[0:1]
	v_lshl_add_u64 v[8:9], v[8:9], 2, s[14:15]
	v_lshlrev_b64 v[2:3], 2, v[12:13]
	s_and_saveexec_b64 s[0:1], vcc
	s_cbranch_execz .LBB52_24
; %bb.23:
	v_lshl_add_u64 v[14:15], v[10:11], 0, v[2:3]
	global_load_dword v15, v[14:15], off
	v_mov_b32_e32 v14, v4
	s_waitcnt vmcnt(0)
	v_pk_mul_f32 v[14:15], s[28:29], v[14:15]
	s_nop 0
	v_add_f32_e32 v4, v14, v15
	v_lshl_add_u64 v[14:15], v[8:9], 0, v[2:3]
	global_store_dword v[14:15], v4, off
.LBB52_24:
	s_or_b64 exec, exec, s[0:1]
	v_lshl_add_u64 v[12:13], v[12:13], 0, 16
	v_cmp_gt_i64_e64 s[0:1], s[16:17], v[12:13]
	s_and_saveexec_b64 s[2:3], s[0:1]
	s_cbranch_execz .LBB52_26
; %bb.25:
	v_lshl_add_u64 v[12:13], v[10:11], 0, v[2:3]
	global_load_dword v13, v[12:13], off offset:64
	v_mov_b32_e32 v12, v5
	s_waitcnt vmcnt(0)
	v_pk_mul_f32 v[4:5], s[28:29], v[12:13]
	s_nop 0
	v_add_f32_e32 v12, v4, v5
	v_lshl_add_u64 v[4:5], v[8:9], 0, v[2:3]
	global_store_dword v[4:5], v12, off offset:64
.LBB52_26:
	s_or_b64 exec, exec, s[2:3]
	v_lshl_add_u64 v[4:5], v[6:7], 0, 16
	v_cmp_gt_i64_e64 s[2:3], s[18:19], v[4:5]
	s_and_b64 exec, exec, s[2:3]
	s_cbranch_execz .LBB52_19
; %bb.27:
	s_lshl_b64 s[2:3], s[10:11], 6
	v_lshl_add_u64 v[4:5], v[10:11], 0, s[2:3]
	s_lshl_b64 s[2:3], s[20:21], 6
	v_lshl_add_u64 v[6:7], v[8:9], 0, s[2:3]
	v_lshl_add_u64 v[4:5], v[4:5], 0, v[2:3]
	;; [unrolled: 1-line block ×3, first 2 shown]
	s_and_saveexec_b64 s[2:3], vcc
	s_cbranch_execz .LBB52_29
; %bb.28:
	global_load_dword v7, v[4:5], off
	v_mov_b32_e32 v6, v0
	s_waitcnt vmcnt(0)
	v_pk_mul_f32 v[6:7], s[28:29], v[6:7]
	s_nop 0
	v_add_f32_e32 v0, v6, v7
	global_store_dword v[2:3], v0, off
.LBB52_29:
	s_or_b64 exec, exec, s[2:3]
	s_and_b64 exec, exec, s[0:1]
	s_cbranch_execz .LBB52_19
; %bb.30:
	global_load_dword v5, v[4:5], off offset:64
	v_mov_b32_e32 v4, v1
	s_waitcnt vmcnt(0)
	v_pk_mul_f32 v[0:1], s[28:29], v[4:5]
	s_nop 0
	v_add_f32_e32 v0, v0, v1
	global_store_dword v[2:3], v0, off offset:64
	s_endpgm
	.section	.rodata,"a",@progbits
	.p2align	6, 0x0
	.amdhsa_kernel _ZN12_GLOBAL__N_135rocblas_gemm_batched_general_kernelIfLi16ELi16ELi32ELi32ELi8ELi32ELi8ELi8ELi32ELc84ELc84EKfS1_fEEvlllT_PT11_llS4_llS2_PT12_llPT13_lli
		.amdhsa_group_segment_fixed_size 2048
		.amdhsa_private_segment_fixed_size 0
		.amdhsa_kernarg_size 140
		.amdhsa_user_sgpr_count 2
		.amdhsa_user_sgpr_dispatch_ptr 0
		.amdhsa_user_sgpr_queue_ptr 0
		.amdhsa_user_sgpr_kernarg_segment_ptr 1
		.amdhsa_user_sgpr_dispatch_id 0
		.amdhsa_user_sgpr_kernarg_preload_length 0
		.amdhsa_user_sgpr_kernarg_preload_offset 0
		.amdhsa_user_sgpr_private_segment_size 0
		.amdhsa_uses_dynamic_stack 0
		.amdhsa_enable_private_segment 0
		.amdhsa_system_sgpr_workgroup_id_x 1
		.amdhsa_system_sgpr_workgroup_id_y 1
		.amdhsa_system_sgpr_workgroup_id_z 1
		.amdhsa_system_sgpr_workgroup_info 0
		.amdhsa_system_vgpr_workitem_id 1
		.amdhsa_next_free_vgpr 54
		.amdhsa_next_free_sgpr 36
		.amdhsa_accum_offset 56
		.amdhsa_reserve_vcc 1
		.amdhsa_float_round_mode_32 0
		.amdhsa_float_round_mode_16_64 0
		.amdhsa_float_denorm_mode_32 3
		.amdhsa_float_denorm_mode_16_64 3
		.amdhsa_dx10_clamp 1
		.amdhsa_ieee_mode 1
		.amdhsa_fp16_overflow 0
		.amdhsa_tg_split 0
		.amdhsa_exception_fp_ieee_invalid_op 0
		.amdhsa_exception_fp_denorm_src 0
		.amdhsa_exception_fp_ieee_div_zero 0
		.amdhsa_exception_fp_ieee_overflow 0
		.amdhsa_exception_fp_ieee_underflow 0
		.amdhsa_exception_fp_ieee_inexact 0
		.amdhsa_exception_int_div_zero 0
	.end_amdhsa_kernel
	.section	.text._ZN12_GLOBAL__N_135rocblas_gemm_batched_general_kernelIfLi16ELi16ELi32ELi32ELi8ELi32ELi8ELi8ELi32ELc84ELc84EKfS1_fEEvlllT_PT11_llS4_llS2_PT12_llPT13_lli,"axG",@progbits,_ZN12_GLOBAL__N_135rocblas_gemm_batched_general_kernelIfLi16ELi16ELi32ELi32ELi8ELi32ELi8ELi8ELi32ELc84ELc84EKfS1_fEEvlllT_PT11_llS4_llS2_PT12_llPT13_lli,comdat
.Lfunc_end52:
	.size	_ZN12_GLOBAL__N_135rocblas_gemm_batched_general_kernelIfLi16ELi16ELi32ELi32ELi8ELi32ELi8ELi8ELi32ELc84ELc84EKfS1_fEEvlllT_PT11_llS4_llS2_PT12_llPT13_lli, .Lfunc_end52-_ZN12_GLOBAL__N_135rocblas_gemm_batched_general_kernelIfLi16ELi16ELi32ELi32ELi8ELi32ELi8ELi8ELi32ELc84ELc84EKfS1_fEEvlllT_PT11_llS4_llS2_PT12_llPT13_lli
                                        ; -- End function
	.set _ZN12_GLOBAL__N_135rocblas_gemm_batched_general_kernelIfLi16ELi16ELi32ELi32ELi8ELi32ELi8ELi8ELi32ELc84ELc84EKfS1_fEEvlllT_PT11_llS4_llS2_PT12_llPT13_lli.num_vgpr, 54
	.set _ZN12_GLOBAL__N_135rocblas_gemm_batched_general_kernelIfLi16ELi16ELi32ELi32ELi8ELi32ELi8ELi8ELi32ELc84ELc84EKfS1_fEEvlllT_PT11_llS4_llS2_PT12_llPT13_lli.num_agpr, 0
	.set _ZN12_GLOBAL__N_135rocblas_gemm_batched_general_kernelIfLi16ELi16ELi32ELi32ELi8ELi32ELi8ELi8ELi32ELc84ELc84EKfS1_fEEvlllT_PT11_llS4_llS2_PT12_llPT13_lli.numbered_sgpr, 36
	.set _ZN12_GLOBAL__N_135rocblas_gemm_batched_general_kernelIfLi16ELi16ELi32ELi32ELi8ELi32ELi8ELi8ELi32ELc84ELc84EKfS1_fEEvlllT_PT11_llS4_llS2_PT12_llPT13_lli.num_named_barrier, 0
	.set _ZN12_GLOBAL__N_135rocblas_gemm_batched_general_kernelIfLi16ELi16ELi32ELi32ELi8ELi32ELi8ELi8ELi32ELc84ELc84EKfS1_fEEvlllT_PT11_llS4_llS2_PT12_llPT13_lli.private_seg_size, 0
	.set _ZN12_GLOBAL__N_135rocblas_gemm_batched_general_kernelIfLi16ELi16ELi32ELi32ELi8ELi32ELi8ELi8ELi32ELc84ELc84EKfS1_fEEvlllT_PT11_llS4_llS2_PT12_llPT13_lli.uses_vcc, 1
	.set _ZN12_GLOBAL__N_135rocblas_gemm_batched_general_kernelIfLi16ELi16ELi32ELi32ELi8ELi32ELi8ELi8ELi32ELc84ELc84EKfS1_fEEvlllT_PT11_llS4_llS2_PT12_llPT13_lli.uses_flat_scratch, 0
	.set _ZN12_GLOBAL__N_135rocblas_gemm_batched_general_kernelIfLi16ELi16ELi32ELi32ELi8ELi32ELi8ELi8ELi32ELc84ELc84EKfS1_fEEvlllT_PT11_llS4_llS2_PT12_llPT13_lli.has_dyn_sized_stack, 0
	.set _ZN12_GLOBAL__N_135rocblas_gemm_batched_general_kernelIfLi16ELi16ELi32ELi32ELi8ELi32ELi8ELi8ELi32ELc84ELc84EKfS1_fEEvlllT_PT11_llS4_llS2_PT12_llPT13_lli.has_recursion, 0
	.set _ZN12_GLOBAL__N_135rocblas_gemm_batched_general_kernelIfLi16ELi16ELi32ELi32ELi8ELi32ELi8ELi8ELi32ELc84ELc84EKfS1_fEEvlllT_PT11_llS4_llS2_PT12_llPT13_lli.has_indirect_call, 0
	.section	.AMDGPU.csdata,"",@progbits
; Kernel info:
; codeLenInByte = 1644
; TotalNumSgprs: 42
; NumVgprs: 54
; NumAgprs: 0
; TotalNumVgprs: 54
; ScratchSize: 0
; MemoryBound: 0
; FloatMode: 240
; IeeeMode: 1
; LDSByteSize: 2048 bytes/workgroup (compile time only)
; SGPRBlocks: 5
; VGPRBlocks: 6
; NumSGPRsForWavesPerEU: 42
; NumVGPRsForWavesPerEU: 54
; AccumOffset: 56
; Occupancy: 8
; WaveLimiterHint : 0
; COMPUTE_PGM_RSRC2:SCRATCH_EN: 0
; COMPUTE_PGM_RSRC2:USER_SGPR: 2
; COMPUTE_PGM_RSRC2:TRAP_HANDLER: 0
; COMPUTE_PGM_RSRC2:TGID_X_EN: 1
; COMPUTE_PGM_RSRC2:TGID_Y_EN: 1
; COMPUTE_PGM_RSRC2:TGID_Z_EN: 1
; COMPUTE_PGM_RSRC2:TIDIG_COMP_CNT: 1
; COMPUTE_PGM_RSRC3_GFX90A:ACCUM_OFFSET: 13
; COMPUTE_PGM_RSRC3_GFX90A:TG_SPLIT: 0
	.section	.text._ZN12_GLOBAL__N_135rocblas_gemm_batched_general_kernelIfLi16ELi16ELi32ELi32ELi8ELi32ELi8ELi8ELi32ELc67ELc67EKfS1_fEEvlllT_PT11_llS4_llS2_PT12_llPT13_lli,"axG",@progbits,_ZN12_GLOBAL__N_135rocblas_gemm_batched_general_kernelIfLi16ELi16ELi32ELi32ELi8ELi32ELi8ELi8ELi32ELc67ELc67EKfS1_fEEvlllT_PT11_llS4_llS2_PT12_llPT13_lli,comdat
	.globl	_ZN12_GLOBAL__N_135rocblas_gemm_batched_general_kernelIfLi16ELi16ELi32ELi32ELi8ELi32ELi8ELi8ELi32ELc67ELc67EKfS1_fEEvlllT_PT11_llS4_llS2_PT12_llPT13_lli ; -- Begin function _ZN12_GLOBAL__N_135rocblas_gemm_batched_general_kernelIfLi16ELi16ELi32ELi32ELi8ELi32ELi8ELi8ELi32ELc67ELc67EKfS1_fEEvlllT_PT11_llS4_llS2_PT12_llPT13_lli
	.p2align	8
	.type	_ZN12_GLOBAL__N_135rocblas_gemm_batched_general_kernelIfLi16ELi16ELi32ELi32ELi8ELi32ELi8ELi8ELi32ELc67ELc67EKfS1_fEEvlllT_PT11_llS4_llS2_PT12_llPT13_lli,@function
_ZN12_GLOBAL__N_135rocblas_gemm_batched_general_kernelIfLi16ELi16ELi32ELi32ELi8ELi32ELi8ELi8ELi32ELc67ELc67EKfS1_fEEvlllT_PT11_llS4_llS2_PT12_llPT13_lli: ; @_ZN12_GLOBAL__N_135rocblas_gemm_batched_general_kernelIfLi16ELi16ELi32ELi32ELi8ELi32ELi8ELi8ELi32ELc67ELc67EKfS1_fEEvlllT_PT11_llS4_llS2_PT12_llPT13_lli
; %bb.0:
	s_load_dwordx4 s[16:19], s[0:1], 0x0
	s_load_dwordx2 s[28:29], s[0:1], 0x10
	s_mov_b32 s30, s3
	s_ashr_i32 s3, s2, 31
	v_mov_b32_e32 v7, 0
	s_lshl_b64 s[24:25], s[2:3], 5
	s_ashr_i32 s31, s30, 31
	s_waitcnt lgkmcnt(0)
	v_cmp_lt_i64_e64 s[2:3], s[28:29], 1
	v_and_b32_e32 v2, 0x3ff, v0
	v_bfe_u32 v6, v0, 10, 10
	v_mov_b32_e32 v3, v7
	s_lshl_b64 s[26:27], s[30:31], 5
	s_and_b64 vcc, exec, s[2:3]
	v_mov_b32_e32 v5, v7
	v_mov_b32_e32 v4, v7
	;; [unrolled: 1-line block ×4, first 2 shown]
	s_cbranch_vccnz .LBB53_7
; %bb.1:
	s_load_dwordx8 s[8:15], s[0:1], 0x20
	s_load_dwordx4 s[20:23], s[0:1], 0x40
	v_lshl_add_u32 v12, v6, 4, v2
	v_mov_b32_e32 v9, 0
	v_lshrrev_b32_e32 v0, 3, v12
	v_mov_b32_e32 v1, v9
	v_and_b32_e32 v10, 7, v2
	v_lshl_add_u64 v[4:5], v[0:1], 0, s[26:27]
	v_and_b32_e32 v14, 31, v12
	s_waitcnt lgkmcnt(0)
	s_mul_i32 s5, s23, s4
	s_mul_hi_u32 s23, s22, s4
	v_lshrrev_b32_e32 v8, 5, v12
	v_or_b32_e32 v12, s24, v14
	v_mov_b32_e32 v13, s25
	v_lshlrev_b32_e32 v1, 2, v14
	v_cmp_gt_i64_e64 s[6:7], s[18:19], v[4:5]
	s_add_i32 s23, s23, s5
	s_mul_i32 s22, s22, s4
	v_mad_u64_u32 v[4:5], s[34:35], s20, v10, 0
	v_cmp_gt_i64_e64 s[2:3], s[16:17], v[12:13]
	v_lshl_or_b32 v18, v8, 7, v1
	v_lshlrev_b32_e32 v1, 2, v10
	s_lshl_b64 s[22:23], s[22:23], 2
	v_mov_b32_e32 v12, v5
	s_lshl_b64 s[30:31], s[30:31], 7
	v_lshl_or_b32 v1, v0, 5, v1
	v_mad_u64_u32 v[12:13], s[34:35], s21, v10, v[12:13]
	s_add_u32 s22, s30, s22
	v_add_u32_e32 v19, 0x400, v1
	v_mov_b32_e32 v1, 0x400
	v_mov_b32_e32 v5, v12
	s_addc_u32 s23, s31, s23
	v_lshl_add_u32 v21, v6, 5, v1
	v_lshl_add_u64 v[4:5], v[4:5], 2, s[22:23]
	v_lshlrev_b32_e32 v0, 2, v0
	v_mov_b32_e32 v1, v9
	v_mov_b32_e32 v15, v9
	v_lshl_add_u64 v[0:1], v[4:5], 0, v[0:1]
	v_lshl_add_u64 v[12:13], s[14:15], 0, v[0:1]
	v_lshl_add_u64 v[0:1], s[24:25], 0, v[14:15]
	v_mul_lo_u32 v4, s11, v0
	v_mul_lo_u32 v5, s10, v1
	v_mad_u64_u32 v[0:1], s[10:11], s10, v0, 0
	s_mul_i32 s5, s13, s4
	s_mul_hi_u32 s10, s12, s4
	s_add_i32 s11, s10, s5
	s_mul_i32 s10, s12, s4
	v_add3_u32 v1, v1, v5, v4
	s_lshl_b64 s[10:11], s[10:11], 2
	v_lshl_add_u64 v[0:1], v[0:1], 2, s[10:11]
	v_lshlrev_b32_e32 v4, 2, v8
	v_mov_b32_e32 v5, v9
	v_lshl_add_u64 v[0:1], v[0:1], 0, v[4:5]
	v_mov_b32_e32 v11, v9
	v_lshlrev_b32_e32 v20, 2, v2
	s_lshl_b64 s[14:15], s[20:21], 5
	v_lshl_add_u64 v[14:15], s[8:9], 0, v[0:1]
	s_mov_b64 s[8:9], 0
	v_mov_b64_e32 v[16:17], s[28:29]
	v_mov_b32_e32 v4, v9
	v_mov_b32_e32 v0, v9
	;; [unrolled: 1-line block ×3, first 2 shown]
	s_branch .LBB53_3
.LBB53_2:                               ;   in Loop: Header=BB53_3 Depth=1
	s_or_b64 exec, exec, s[10:11]
	s_waitcnt vmcnt(0)
	ds_write_b32 v19, v22
	s_waitcnt lgkmcnt(0)
	s_barrier
	ds_read_b128 v[22:25], v21
	ds_read_b128 v[26:29], v21 offset:16
	ds_read2_b32 v[38:39], v20 offset1:16
	ds_read2_b32 v[40:41], v20 offset0:32 offset1:48
	ds_read2_b32 v[42:43], v20 offset0:64 offset1:80
	;; [unrolled: 1-line block ×4, first 2 shown]
	ds_read_b128 v[30:33], v21 offset:512
	ds_read_b128 v[34:37], v21 offset:528
	ds_read2_b32 v[48:49], v20 offset0:160 offset1:176
	ds_read2_b32 v[50:51], v20 offset0:192 offset1:208
	;; [unrolled: 1-line block ×3, first 2 shown]
	s_waitcnt lgkmcnt(9)
	v_pk_fma_f32 v[4:5], v[38:39], v[22:23], v[4:5] op_sel_hi:[1,0,1]
	s_waitcnt lgkmcnt(4)
	v_pk_fma_f32 v[0:1], v[38:39], v[30:31], v[0:1] op_sel_hi:[1,0,1]
	v_pk_fma_f32 v[4:5], v[40:41], v[22:23], v[4:5] op_sel:[0,1,0]
	v_mov_b32_e32 v22, v25
	v_pk_fma_f32 v[4:5], v[42:43], v[24:25], v[4:5] op_sel_hi:[1,0,1]
	v_pk_fma_f32 v[0:1], v[40:41], v[30:31], v[0:1] op_sel:[0,1,0]
	v_pk_fma_f32 v[4:5], v[44:45], v[22:23], v[4:5] op_sel_hi:[1,0,1]
	v_mov_b32_e32 v22, v29
	v_pk_fma_f32 v[4:5], v[46:47], v[26:27], v[4:5] op_sel_hi:[1,0,1]
	v_pk_fma_f32 v[0:1], v[42:43], v[32:33], v[0:1] op_sel_hi:[1,0,1]
	s_waitcnt lgkmcnt(2)
	v_pk_fma_f32 v[4:5], v[48:49], v[26:27], v[4:5] op_sel:[0,1,0]
	s_add_u32 s8, s8, 8
	s_waitcnt lgkmcnt(1)
	v_pk_fma_f32 v[4:5], v[50:51], v[28:29], v[4:5] op_sel_hi:[1,0,1]
	s_addc_u32 s9, s9, 0
	s_waitcnt lgkmcnt(0)
	v_pk_fma_f32 v[4:5], v[52:53], v[22:23], v[4:5] op_sel_hi:[1,0,1]
	v_mov_b32_e32 v22, v33
	v_pk_fma_f32 v[0:1], v[44:45], v[22:23], v[0:1] op_sel_hi:[1,0,1]
	v_mov_b32_e32 v22, v37
	v_pk_fma_f32 v[0:1], v[46:47], v[34:35], v[0:1] op_sel_hi:[1,0,1]
	v_cmp_lt_i64_e32 vcc, s[8:9], v[16:17]
	v_pk_fma_f32 v[0:1], v[48:49], v[34:35], v[0:1] op_sel:[0,1,0]
	v_lshl_add_u64 v[12:13], v[12:13], 0, s[14:15]
	v_pk_fma_f32 v[0:1], v[50:51], v[36:37], v[0:1] op_sel_hi:[1,0,1]
	v_lshl_add_u64 v[14:15], v[14:15], 0, 32
	v_pk_fma_f32 v[0:1], v[52:53], v[22:23], v[0:1] op_sel_hi:[1,0,1]
	s_barrier
	s_cbranch_vccz .LBB53_7
.LBB53_3:                               ; =>This Inner Loop Header: Depth=1
	v_lshl_add_u64 v[22:23], v[8:9], 0, s[8:9]
	v_cmp_gt_i64_e32 vcc, s[28:29], v[22:23]
	s_and_b64 s[12:13], s[2:3], vcc
	v_mov_b32_e32 v22, 0
	s_and_saveexec_b64 s[10:11], s[12:13]
	s_cbranch_execz .LBB53_5
; %bb.4:                                ;   in Loop: Header=BB53_3 Depth=1
	global_load_dword v22, v[14:15], off
.LBB53_5:                               ;   in Loop: Header=BB53_3 Depth=1
	s_or_b64 exec, exec, s[10:11]
	s_waitcnt vmcnt(0)
	ds_write_b32 v18, v22
	v_lshl_add_u64 v[22:23], v[10:11], 0, s[8:9]
	v_cmp_gt_i64_e32 vcc, s[28:29], v[22:23]
	s_and_b64 s[12:13], vcc, s[6:7]
	v_mov_b32_e32 v22, 0
	s_and_saveexec_b64 s[10:11], s[12:13]
	s_cbranch_execz .LBB53_2
; %bb.6:                                ;   in Loop: Header=BB53_3 Depth=1
	global_load_dword v22, v[12:13], off
	s_branch .LBB53_2
.LBB53_7:
	s_load_dwordx4 s[20:23], s[0:1], 0x78
	s_load_dword s28, s[0:1], 0x18
	s_load_dword s29, s[0:1], 0x50
	s_load_dwordx8 s[8:15], s[0:1], 0x58
	v_lshl_add_u64 v[6:7], s[26:27], 0, v[6:7]
	s_waitcnt lgkmcnt(0)
	s_mul_i32 s0, s23, s4
	s_mul_hi_u32 s1, s22, s4
	s_add_i32 s1, s1, s0
	s_mul_i32 s0, s22, s4
	s_lshl_b64 s[0:1], s[0:1], 2
	s_add_u32 s14, s14, s0
	v_cmp_neq_f32_e64 s[2:3], s29, 0
	s_addc_u32 s15, s15, s1
	v_cmp_gt_i64_e64 s[0:1], s[18:19], v[6:7]
	s_and_b64 vcc, exec, s[2:3]
	s_cbranch_vccnz .LBB53_20
; %bb.8:
	s_and_saveexec_b64 s[22:23], s[0:1]
	s_cbranch_execz .LBB53_18
; %bb.9:
	v_mul_lo_u32 v12, v7, s20
	v_mul_lo_u32 v13, v6, s21
	v_mad_u64_u32 v[10:11], s[2:3], v6, s20, 0
	v_add3_u32 v11, v11, v13, v12
	v_lshl_add_u64 v[8:9], s[24:25], 0, v[2:3]
	v_lshl_add_u64 v[10:11], v[10:11], 2, s[14:15]
	v_cmp_gt_i64_e32 vcc, s[16:17], v[8:9]
	v_lshl_add_u64 v[12:13], v[8:9], 2, v[10:11]
	s_and_saveexec_b64 s[2:3], vcc
	s_cbranch_execz .LBB53_11
; %bb.10:
	v_mul_f32_e32 v14, s28, v4
	global_store_dword v[12:13], v14, off
.LBB53_11:
	s_or_b64 exec, exec, s[2:3]
	v_lshl_add_u64 v[14:15], v[8:9], 0, 16
	v_cmp_gt_i64_e64 s[2:3], s[16:17], v[14:15]
	s_and_saveexec_b64 s[6:7], s[2:3]
	s_cbranch_execz .LBB53_13
; %bb.12:
	v_mul_f32_e32 v14, s28, v5
	global_store_dword v[12:13], v14, off offset:64
.LBB53_13:
	s_or_b64 exec, exec, s[6:7]
	v_lshl_add_u64 v[12:13], v[6:7], 0, 16
	v_cmp_gt_i64_e64 s[6:7], s[18:19], v[12:13]
	s_and_b64 exec, exec, s[6:7]
	s_cbranch_execz .LBB53_18
; %bb.14:
	s_lshl_b64 s[6:7], s[20:21], 6
	v_lshl_add_u64 v[10:11], v[10:11], 0, s[6:7]
	v_lshl_add_u64 v[8:9], v[8:9], 2, v[10:11]
	s_and_saveexec_b64 s[6:7], vcc
	s_cbranch_execz .LBB53_16
; %bb.15:
	v_mul_f32_e32 v10, s28, v0
	global_store_dword v[8:9], v10, off
.LBB53_16:
	s_or_b64 exec, exec, s[6:7]
	s_and_b64 exec, exec, s[2:3]
	s_cbranch_execz .LBB53_18
; %bb.17:
	v_mul_f32_e32 v10, s28, v1
	global_store_dword v[8:9], v10, off offset:64
.LBB53_18:
	s_or_b64 exec, exec, s[22:23]
	s_cbranch_execz .LBB53_21
.LBB53_19:
	s_endpgm
.LBB53_20:
.LBB53_21:
	s_and_saveexec_b64 s[2:3], s[0:1]
	s_cbranch_execz .LBB53_19
; %bb.22:
	s_mul_i32 s0, s13, s4
	s_mul_hi_u32 s1, s12, s4
	s_add_i32 s1, s1, s0
	s_mul_i32 s0, s12, s4
	s_lshl_b64 s[0:1], s[0:1], 2
	v_lshl_add_u64 v[12:13], s[24:25], 0, v[2:3]
	v_mul_lo_u32 v8, v7, s10
	v_mul_lo_u32 v9, v6, s11
	v_mad_u64_u32 v[2:3], s[2:3], v6, s10, 0
	s_add_u32 s0, s8, s0
	v_add3_u32 v3, v3, v9, v8
	v_mul_lo_u32 v10, v7, s20
	v_mul_lo_u32 v11, v6, s21
	v_mad_u64_u32 v[8:9], s[2:3], v6, s20, 0
	s_addc_u32 s1, s9, s1
	v_add3_u32 v9, v9, v11, v10
	v_cmp_gt_i64_e32 vcc, s[16:17], v[12:13]
	v_lshl_add_u64 v[10:11], v[2:3], 2, s[0:1]
	v_lshl_add_u64 v[8:9], v[8:9], 2, s[14:15]
	v_lshlrev_b64 v[2:3], 2, v[12:13]
	s_and_saveexec_b64 s[0:1], vcc
	s_cbranch_execz .LBB53_24
; %bb.23:
	v_lshl_add_u64 v[14:15], v[10:11], 0, v[2:3]
	global_load_dword v15, v[14:15], off
	v_mov_b32_e32 v14, v4
	s_waitcnt vmcnt(0)
	v_pk_mul_f32 v[14:15], s[28:29], v[14:15]
	s_nop 0
	v_add_f32_e32 v4, v14, v15
	v_lshl_add_u64 v[14:15], v[8:9], 0, v[2:3]
	global_store_dword v[14:15], v4, off
.LBB53_24:
	s_or_b64 exec, exec, s[0:1]
	v_lshl_add_u64 v[12:13], v[12:13], 0, 16
	v_cmp_gt_i64_e64 s[0:1], s[16:17], v[12:13]
	s_and_saveexec_b64 s[2:3], s[0:1]
	s_cbranch_execz .LBB53_26
; %bb.25:
	v_lshl_add_u64 v[12:13], v[10:11], 0, v[2:3]
	global_load_dword v13, v[12:13], off offset:64
	v_mov_b32_e32 v12, v5
	s_waitcnt vmcnt(0)
	v_pk_mul_f32 v[4:5], s[28:29], v[12:13]
	s_nop 0
	v_add_f32_e32 v12, v4, v5
	v_lshl_add_u64 v[4:5], v[8:9], 0, v[2:3]
	global_store_dword v[4:5], v12, off offset:64
.LBB53_26:
	s_or_b64 exec, exec, s[2:3]
	v_lshl_add_u64 v[4:5], v[6:7], 0, 16
	v_cmp_gt_i64_e64 s[2:3], s[18:19], v[4:5]
	s_and_b64 exec, exec, s[2:3]
	s_cbranch_execz .LBB53_19
; %bb.27:
	s_lshl_b64 s[2:3], s[10:11], 6
	v_lshl_add_u64 v[4:5], v[10:11], 0, s[2:3]
	s_lshl_b64 s[2:3], s[20:21], 6
	v_lshl_add_u64 v[6:7], v[8:9], 0, s[2:3]
	v_lshl_add_u64 v[4:5], v[4:5], 0, v[2:3]
	;; [unrolled: 1-line block ×3, first 2 shown]
	s_and_saveexec_b64 s[2:3], vcc
	s_cbranch_execz .LBB53_29
; %bb.28:
	global_load_dword v7, v[4:5], off
	v_mov_b32_e32 v6, v0
	s_waitcnt vmcnt(0)
	v_pk_mul_f32 v[6:7], s[28:29], v[6:7]
	s_nop 0
	v_add_f32_e32 v0, v6, v7
	global_store_dword v[2:3], v0, off
.LBB53_29:
	s_or_b64 exec, exec, s[2:3]
	s_and_b64 exec, exec, s[0:1]
	s_cbranch_execz .LBB53_19
; %bb.30:
	global_load_dword v5, v[4:5], off offset:64
	v_mov_b32_e32 v4, v1
	s_waitcnt vmcnt(0)
	v_pk_mul_f32 v[0:1], s[28:29], v[4:5]
	s_nop 0
	v_add_f32_e32 v0, v0, v1
	global_store_dword v[2:3], v0, off offset:64
	s_endpgm
	.section	.rodata,"a",@progbits
	.p2align	6, 0x0
	.amdhsa_kernel _ZN12_GLOBAL__N_135rocblas_gemm_batched_general_kernelIfLi16ELi16ELi32ELi32ELi8ELi32ELi8ELi8ELi32ELc67ELc67EKfS1_fEEvlllT_PT11_llS4_llS2_PT12_llPT13_lli
		.amdhsa_group_segment_fixed_size 2048
		.amdhsa_private_segment_fixed_size 0
		.amdhsa_kernarg_size 140
		.amdhsa_user_sgpr_count 2
		.amdhsa_user_sgpr_dispatch_ptr 0
		.amdhsa_user_sgpr_queue_ptr 0
		.amdhsa_user_sgpr_kernarg_segment_ptr 1
		.amdhsa_user_sgpr_dispatch_id 0
		.amdhsa_user_sgpr_kernarg_preload_length 0
		.amdhsa_user_sgpr_kernarg_preload_offset 0
		.amdhsa_user_sgpr_private_segment_size 0
		.amdhsa_uses_dynamic_stack 0
		.amdhsa_enable_private_segment 0
		.amdhsa_system_sgpr_workgroup_id_x 1
		.amdhsa_system_sgpr_workgroup_id_y 1
		.amdhsa_system_sgpr_workgroup_id_z 1
		.amdhsa_system_sgpr_workgroup_info 0
		.amdhsa_system_vgpr_workitem_id 1
		.amdhsa_next_free_vgpr 54
		.amdhsa_next_free_sgpr 36
		.amdhsa_accum_offset 56
		.amdhsa_reserve_vcc 1
		.amdhsa_float_round_mode_32 0
		.amdhsa_float_round_mode_16_64 0
		.amdhsa_float_denorm_mode_32 3
		.amdhsa_float_denorm_mode_16_64 3
		.amdhsa_dx10_clamp 1
		.amdhsa_ieee_mode 1
		.amdhsa_fp16_overflow 0
		.amdhsa_tg_split 0
		.amdhsa_exception_fp_ieee_invalid_op 0
		.amdhsa_exception_fp_denorm_src 0
		.amdhsa_exception_fp_ieee_div_zero 0
		.amdhsa_exception_fp_ieee_overflow 0
		.amdhsa_exception_fp_ieee_underflow 0
		.amdhsa_exception_fp_ieee_inexact 0
		.amdhsa_exception_int_div_zero 0
	.end_amdhsa_kernel
	.section	.text._ZN12_GLOBAL__N_135rocblas_gemm_batched_general_kernelIfLi16ELi16ELi32ELi32ELi8ELi32ELi8ELi8ELi32ELc67ELc67EKfS1_fEEvlllT_PT11_llS4_llS2_PT12_llPT13_lli,"axG",@progbits,_ZN12_GLOBAL__N_135rocblas_gemm_batched_general_kernelIfLi16ELi16ELi32ELi32ELi8ELi32ELi8ELi8ELi32ELc67ELc67EKfS1_fEEvlllT_PT11_llS4_llS2_PT12_llPT13_lli,comdat
.Lfunc_end53:
	.size	_ZN12_GLOBAL__N_135rocblas_gemm_batched_general_kernelIfLi16ELi16ELi32ELi32ELi8ELi32ELi8ELi8ELi32ELc67ELc67EKfS1_fEEvlllT_PT11_llS4_llS2_PT12_llPT13_lli, .Lfunc_end53-_ZN12_GLOBAL__N_135rocblas_gemm_batched_general_kernelIfLi16ELi16ELi32ELi32ELi8ELi32ELi8ELi8ELi32ELc67ELc67EKfS1_fEEvlllT_PT11_llS4_llS2_PT12_llPT13_lli
                                        ; -- End function
	.set _ZN12_GLOBAL__N_135rocblas_gemm_batched_general_kernelIfLi16ELi16ELi32ELi32ELi8ELi32ELi8ELi8ELi32ELc67ELc67EKfS1_fEEvlllT_PT11_llS4_llS2_PT12_llPT13_lli.num_vgpr, 54
	.set _ZN12_GLOBAL__N_135rocblas_gemm_batched_general_kernelIfLi16ELi16ELi32ELi32ELi8ELi32ELi8ELi8ELi32ELc67ELc67EKfS1_fEEvlllT_PT11_llS4_llS2_PT12_llPT13_lli.num_agpr, 0
	.set _ZN12_GLOBAL__N_135rocblas_gemm_batched_general_kernelIfLi16ELi16ELi32ELi32ELi8ELi32ELi8ELi8ELi32ELc67ELc67EKfS1_fEEvlllT_PT11_llS4_llS2_PT12_llPT13_lli.numbered_sgpr, 36
	.set _ZN12_GLOBAL__N_135rocblas_gemm_batched_general_kernelIfLi16ELi16ELi32ELi32ELi8ELi32ELi8ELi8ELi32ELc67ELc67EKfS1_fEEvlllT_PT11_llS4_llS2_PT12_llPT13_lli.num_named_barrier, 0
	.set _ZN12_GLOBAL__N_135rocblas_gemm_batched_general_kernelIfLi16ELi16ELi32ELi32ELi8ELi32ELi8ELi8ELi32ELc67ELc67EKfS1_fEEvlllT_PT11_llS4_llS2_PT12_llPT13_lli.private_seg_size, 0
	.set _ZN12_GLOBAL__N_135rocblas_gemm_batched_general_kernelIfLi16ELi16ELi32ELi32ELi8ELi32ELi8ELi8ELi32ELc67ELc67EKfS1_fEEvlllT_PT11_llS4_llS2_PT12_llPT13_lli.uses_vcc, 1
	.set _ZN12_GLOBAL__N_135rocblas_gemm_batched_general_kernelIfLi16ELi16ELi32ELi32ELi8ELi32ELi8ELi8ELi32ELc67ELc67EKfS1_fEEvlllT_PT11_llS4_llS2_PT12_llPT13_lli.uses_flat_scratch, 0
	.set _ZN12_GLOBAL__N_135rocblas_gemm_batched_general_kernelIfLi16ELi16ELi32ELi32ELi8ELi32ELi8ELi8ELi32ELc67ELc67EKfS1_fEEvlllT_PT11_llS4_llS2_PT12_llPT13_lli.has_dyn_sized_stack, 0
	.set _ZN12_GLOBAL__N_135rocblas_gemm_batched_general_kernelIfLi16ELi16ELi32ELi32ELi8ELi32ELi8ELi8ELi32ELc67ELc67EKfS1_fEEvlllT_PT11_llS4_llS2_PT12_llPT13_lli.has_recursion, 0
	.set _ZN12_GLOBAL__N_135rocblas_gemm_batched_general_kernelIfLi16ELi16ELi32ELi32ELi8ELi32ELi8ELi8ELi32ELc67ELc67EKfS1_fEEvlllT_PT11_llS4_llS2_PT12_llPT13_lli.has_indirect_call, 0
	.section	.AMDGPU.csdata,"",@progbits
; Kernel info:
; codeLenInByte = 1644
; TotalNumSgprs: 42
; NumVgprs: 54
; NumAgprs: 0
; TotalNumVgprs: 54
; ScratchSize: 0
; MemoryBound: 0
; FloatMode: 240
; IeeeMode: 1
; LDSByteSize: 2048 bytes/workgroup (compile time only)
; SGPRBlocks: 5
; VGPRBlocks: 6
; NumSGPRsForWavesPerEU: 42
; NumVGPRsForWavesPerEU: 54
; AccumOffset: 56
; Occupancy: 8
; WaveLimiterHint : 0
; COMPUTE_PGM_RSRC2:SCRATCH_EN: 0
; COMPUTE_PGM_RSRC2:USER_SGPR: 2
; COMPUTE_PGM_RSRC2:TRAP_HANDLER: 0
; COMPUTE_PGM_RSRC2:TGID_X_EN: 1
; COMPUTE_PGM_RSRC2:TGID_Y_EN: 1
; COMPUTE_PGM_RSRC2:TGID_Z_EN: 1
; COMPUTE_PGM_RSRC2:TIDIG_COMP_CNT: 1
; COMPUTE_PGM_RSRC3_GFX90A:ACCUM_OFFSET: 13
; COMPUTE_PGM_RSRC3_GFX90A:TG_SPLIT: 0
	.section	.text._ZN12_GLOBAL__N_135rocblas_gemm_batched_general_kernelIfLi16ELi16ELi32ELi32ELi8ELi32ELi8ELi8ELi32ELc67ELc78EKfS1_fEEvlllT_PT11_llS4_llS2_PT12_llPT13_lli,"axG",@progbits,_ZN12_GLOBAL__N_135rocblas_gemm_batched_general_kernelIfLi16ELi16ELi32ELi32ELi8ELi32ELi8ELi8ELi32ELc67ELc78EKfS1_fEEvlllT_PT11_llS4_llS2_PT12_llPT13_lli,comdat
	.globl	_ZN12_GLOBAL__N_135rocblas_gemm_batched_general_kernelIfLi16ELi16ELi32ELi32ELi8ELi32ELi8ELi8ELi32ELc67ELc78EKfS1_fEEvlllT_PT11_llS4_llS2_PT12_llPT13_lli ; -- Begin function _ZN12_GLOBAL__N_135rocblas_gemm_batched_general_kernelIfLi16ELi16ELi32ELi32ELi8ELi32ELi8ELi8ELi32ELc67ELc78EKfS1_fEEvlllT_PT11_llS4_llS2_PT12_llPT13_lli
	.p2align	8
	.type	_ZN12_GLOBAL__N_135rocblas_gemm_batched_general_kernelIfLi16ELi16ELi32ELi32ELi8ELi32ELi8ELi8ELi32ELc67ELc78EKfS1_fEEvlllT_PT11_llS4_llS2_PT12_llPT13_lli,@function
_ZN12_GLOBAL__N_135rocblas_gemm_batched_general_kernelIfLi16ELi16ELi32ELi32ELi8ELi32ELi8ELi8ELi32ELc67ELc78EKfS1_fEEvlllT_PT11_llS4_llS2_PT12_llPT13_lli: ; @_ZN12_GLOBAL__N_135rocblas_gemm_batched_general_kernelIfLi16ELi16ELi32ELi32ELi8ELi32ELi8ELi8ELi32ELc67ELc78EKfS1_fEEvlllT_PT11_llS4_llS2_PT12_llPT13_lli
; %bb.0:
	s_load_dwordx4 s[16:19], s[0:1], 0x0
	s_load_dwordx2 s[20:21], s[0:1], 0x10
	s_mov_b32 s6, s3
	s_ashr_i32 s3, s2, 31
	v_mov_b32_e32 v7, 0
	s_lshl_b64 s[24:25], s[2:3], 5
	s_ashr_i32 s7, s6, 31
	s_waitcnt lgkmcnt(0)
	v_cmp_lt_i64_e64 s[2:3], s[20:21], 1
	v_and_b32_e32 v2, 0x3ff, v0
	v_bfe_u32 v6, v0, 10, 10
	v_mov_b32_e32 v3, v7
	s_lshl_b64 s[26:27], s[6:7], 5
	s_and_b64 vcc, exec, s[2:3]
	v_mov_b32_e32 v5, v7
	v_mov_b32_e32 v4, v7
	;; [unrolled: 1-line block ×4, first 2 shown]
	s_cbranch_vccnz .LBB54_7
; %bb.1:
	v_lshl_add_u32 v12, v6, 4, v2
	s_load_dwordx8 s[8:15], s[0:1], 0x20
	s_load_dwordx4 s[28:31], s[0:1], 0x40
	v_and_b32_e32 v14, 31, v12
	v_lshrrev_b32_e32 v8, 5, v12
	v_mov_b32_e32 v9, 0
	v_and_b32_e32 v10, 7, v2
	v_lshrrev_b32_e32 v0, 3, v12
	v_or_b32_e32 v12, s24, v14
	v_mov_b32_e32 v13, s25
	v_mov_b32_e32 v1, v9
	v_cmp_gt_i64_e64 s[2:3], s[16:17], v[12:13]
	v_lshlrev_b32_e32 v12, 2, v10
	v_lshl_add_u64 v[4:5], v[0:1], 0, s[26:27]
	v_lshl_or_b32 v0, v0, 5, v12
	v_lshlrev_b32_e32 v1, 2, v14
	v_add_u32_e32 v19, 0x400, v0
	v_mov_b32_e32 v0, 0x400
	v_lshl_or_b32 v18, v8, 7, v1
	v_lshl_add_u32 v21, v6, 5, v0
	s_waitcnt lgkmcnt(0)
	v_mad_u64_u32 v[0:1], s[22:23], s28, v4, 0
	s_mul_i32 s5, s31, s4
	s_mul_hi_u32 s22, s30, s4
	v_cmp_gt_i64_e64 s[6:7], s[18:19], v[4:5]
	v_mul_lo_u32 v13, s29, v4
	v_mul_lo_u32 v5, s28, v5
	s_add_i32 s23, s22, s5
	s_mul_i32 s22, s30, s4
	v_add3_u32 v1, v1, v5, v13
	s_lshl_b64 s[22:23], s[22:23], 2
	v_lshl_add_u64 v[0:1], v[0:1], 2, s[22:23]
	v_mov_b32_e32 v13, v9
	v_mov_b32_e32 v15, v9
	v_lshl_add_u64 v[0:1], v[0:1], 0, v[12:13]
	v_lshl_add_u64 v[12:13], s[14:15], 0, v[0:1]
	;; [unrolled: 1-line block ×3, first 2 shown]
	v_mul_lo_u32 v4, s11, v0
	v_mul_lo_u32 v5, s10, v1
	v_mad_u64_u32 v[0:1], s[10:11], s10, v0, 0
	s_mul_i32 s5, s13, s4
	s_mul_hi_u32 s10, s12, s4
	s_add_i32 s11, s10, s5
	s_mul_i32 s10, s12, s4
	v_add3_u32 v1, v1, v5, v4
	s_lshl_b64 s[10:11], s[10:11], 2
	v_lshl_add_u64 v[0:1], v[0:1], 2, s[10:11]
	v_lshlrev_b32_e32 v4, 2, v8
	v_mov_b32_e32 v5, v9
	v_lshl_add_u64 v[0:1], v[0:1], 0, v[4:5]
	v_mov_b32_e32 v11, v9
	v_lshlrev_b32_e32 v20, 2, v2
	v_lshl_add_u64 v[14:15], s[8:9], 0, v[0:1]
	s_mov_b64 s[8:9], 0
	v_mov_b64_e32 v[16:17], s[20:21]
	v_mov_b32_e32 v4, v9
	v_mov_b32_e32 v0, v9
	;; [unrolled: 1-line block ×3, first 2 shown]
	s_branch .LBB54_3
.LBB54_2:                               ;   in Loop: Header=BB54_3 Depth=1
	s_or_b64 exec, exec, s[10:11]
	s_waitcnt vmcnt(0)
	ds_write_b32 v19, v22
	s_waitcnt lgkmcnt(0)
	s_barrier
	ds_read_b128 v[22:25], v21
	ds_read_b128 v[26:29], v21 offset:16
	ds_read2_b32 v[38:39], v20 offset1:16
	ds_read2_b32 v[40:41], v20 offset0:32 offset1:48
	ds_read2_b32 v[42:43], v20 offset0:64 offset1:80
	;; [unrolled: 1-line block ×4, first 2 shown]
	ds_read_b128 v[30:33], v21 offset:512
	ds_read_b128 v[34:37], v21 offset:528
	ds_read2_b32 v[48:49], v20 offset0:160 offset1:176
	ds_read2_b32 v[50:51], v20 offset0:192 offset1:208
	;; [unrolled: 1-line block ×3, first 2 shown]
	s_waitcnt lgkmcnt(9)
	v_pk_fma_f32 v[4:5], v[38:39], v[22:23], v[4:5] op_sel_hi:[1,0,1]
	s_waitcnt lgkmcnt(4)
	v_pk_fma_f32 v[0:1], v[38:39], v[30:31], v[0:1] op_sel_hi:[1,0,1]
	v_pk_fma_f32 v[4:5], v[40:41], v[22:23], v[4:5] op_sel:[0,1,0]
	v_mov_b32_e32 v22, v25
	v_pk_fma_f32 v[4:5], v[42:43], v[24:25], v[4:5] op_sel_hi:[1,0,1]
	v_pk_fma_f32 v[0:1], v[40:41], v[30:31], v[0:1] op_sel:[0,1,0]
	v_pk_fma_f32 v[4:5], v[44:45], v[22:23], v[4:5] op_sel_hi:[1,0,1]
	v_mov_b32_e32 v22, v29
	v_pk_fma_f32 v[4:5], v[46:47], v[26:27], v[4:5] op_sel_hi:[1,0,1]
	v_pk_fma_f32 v[0:1], v[42:43], v[32:33], v[0:1] op_sel_hi:[1,0,1]
	s_waitcnt lgkmcnt(2)
	v_pk_fma_f32 v[4:5], v[48:49], v[26:27], v[4:5] op_sel:[0,1,0]
	s_add_u32 s8, s8, 8
	s_waitcnt lgkmcnt(1)
	v_pk_fma_f32 v[4:5], v[50:51], v[28:29], v[4:5] op_sel_hi:[1,0,1]
	s_addc_u32 s9, s9, 0
	s_waitcnt lgkmcnt(0)
	v_pk_fma_f32 v[4:5], v[52:53], v[22:23], v[4:5] op_sel_hi:[1,0,1]
	v_mov_b32_e32 v22, v33
	v_pk_fma_f32 v[0:1], v[44:45], v[22:23], v[0:1] op_sel_hi:[1,0,1]
	v_mov_b32_e32 v22, v37
	v_pk_fma_f32 v[0:1], v[46:47], v[34:35], v[0:1] op_sel_hi:[1,0,1]
	v_cmp_lt_i64_e32 vcc, s[8:9], v[16:17]
	v_pk_fma_f32 v[0:1], v[48:49], v[34:35], v[0:1] op_sel:[0,1,0]
	v_lshl_add_u64 v[12:13], v[12:13], 0, 32
	v_pk_fma_f32 v[0:1], v[50:51], v[36:37], v[0:1] op_sel_hi:[1,0,1]
	v_lshl_add_u64 v[14:15], v[14:15], 0, 32
	v_pk_fma_f32 v[0:1], v[52:53], v[22:23], v[0:1] op_sel_hi:[1,0,1]
	s_barrier
	s_cbranch_vccz .LBB54_7
.LBB54_3:                               ; =>This Inner Loop Header: Depth=1
	v_lshl_add_u64 v[22:23], v[8:9], 0, s[8:9]
	v_cmp_gt_i64_e32 vcc, s[20:21], v[22:23]
	s_and_b64 s[12:13], s[2:3], vcc
	v_mov_b32_e32 v22, 0
	s_and_saveexec_b64 s[10:11], s[12:13]
	s_cbranch_execz .LBB54_5
; %bb.4:                                ;   in Loop: Header=BB54_3 Depth=1
	global_load_dword v22, v[14:15], off
.LBB54_5:                               ;   in Loop: Header=BB54_3 Depth=1
	s_or_b64 exec, exec, s[10:11]
	s_waitcnt vmcnt(0)
	ds_write_b32 v18, v22
	v_lshl_add_u64 v[22:23], v[10:11], 0, s[8:9]
	v_cmp_gt_i64_e32 vcc, s[20:21], v[22:23]
	s_and_b64 s[12:13], vcc, s[6:7]
	v_mov_b32_e32 v22, 0
	s_and_saveexec_b64 s[10:11], s[12:13]
	s_cbranch_execz .LBB54_2
; %bb.6:                                ;   in Loop: Header=BB54_3 Depth=1
	global_load_dword v22, v[12:13], off
	s_branch .LBB54_2
.LBB54_7:
	s_load_dwordx4 s[20:23], s[0:1], 0x78
	s_load_dword s28, s[0:1], 0x18
	s_load_dword s29, s[0:1], 0x50
	s_load_dwordx8 s[8:15], s[0:1], 0x58
	v_lshl_add_u64 v[6:7], s[26:27], 0, v[6:7]
	s_waitcnt lgkmcnt(0)
	s_mul_i32 s0, s23, s4
	s_mul_hi_u32 s1, s22, s4
	s_add_i32 s1, s1, s0
	s_mul_i32 s0, s22, s4
	s_lshl_b64 s[0:1], s[0:1], 2
	s_add_u32 s14, s14, s0
	v_cmp_neq_f32_e64 s[2:3], s29, 0
	s_addc_u32 s15, s15, s1
	v_cmp_gt_i64_e64 s[0:1], s[18:19], v[6:7]
	s_and_b64 vcc, exec, s[2:3]
	s_cbranch_vccnz .LBB54_20
; %bb.8:
	s_and_saveexec_b64 s[22:23], s[0:1]
	s_cbranch_execz .LBB54_18
; %bb.9:
	v_mul_lo_u32 v12, v7, s20
	v_mul_lo_u32 v13, v6, s21
	v_mad_u64_u32 v[10:11], s[2:3], v6, s20, 0
	v_add3_u32 v11, v11, v13, v12
	v_lshl_add_u64 v[8:9], s[24:25], 0, v[2:3]
	v_lshl_add_u64 v[10:11], v[10:11], 2, s[14:15]
	v_cmp_gt_i64_e32 vcc, s[16:17], v[8:9]
	v_lshl_add_u64 v[12:13], v[8:9], 2, v[10:11]
	s_and_saveexec_b64 s[2:3], vcc
	s_cbranch_execz .LBB54_11
; %bb.10:
	v_mul_f32_e32 v14, s28, v4
	global_store_dword v[12:13], v14, off
.LBB54_11:
	s_or_b64 exec, exec, s[2:3]
	v_lshl_add_u64 v[14:15], v[8:9], 0, 16
	v_cmp_gt_i64_e64 s[2:3], s[16:17], v[14:15]
	s_and_saveexec_b64 s[6:7], s[2:3]
	s_cbranch_execz .LBB54_13
; %bb.12:
	v_mul_f32_e32 v14, s28, v5
	global_store_dword v[12:13], v14, off offset:64
.LBB54_13:
	s_or_b64 exec, exec, s[6:7]
	v_lshl_add_u64 v[12:13], v[6:7], 0, 16
	v_cmp_gt_i64_e64 s[6:7], s[18:19], v[12:13]
	s_and_b64 exec, exec, s[6:7]
	s_cbranch_execz .LBB54_18
; %bb.14:
	s_lshl_b64 s[6:7], s[20:21], 6
	v_lshl_add_u64 v[10:11], v[10:11], 0, s[6:7]
	v_lshl_add_u64 v[8:9], v[8:9], 2, v[10:11]
	s_and_saveexec_b64 s[6:7], vcc
	s_cbranch_execz .LBB54_16
; %bb.15:
	v_mul_f32_e32 v10, s28, v0
	global_store_dword v[8:9], v10, off
.LBB54_16:
	s_or_b64 exec, exec, s[6:7]
	s_and_b64 exec, exec, s[2:3]
	s_cbranch_execz .LBB54_18
; %bb.17:
	v_mul_f32_e32 v10, s28, v1
	global_store_dword v[8:9], v10, off offset:64
.LBB54_18:
	s_or_b64 exec, exec, s[22:23]
	s_cbranch_execz .LBB54_21
.LBB54_19:
	s_endpgm
.LBB54_20:
.LBB54_21:
	s_and_saveexec_b64 s[2:3], s[0:1]
	s_cbranch_execz .LBB54_19
; %bb.22:
	s_mul_i32 s0, s13, s4
	s_mul_hi_u32 s1, s12, s4
	s_add_i32 s1, s1, s0
	s_mul_i32 s0, s12, s4
	s_lshl_b64 s[0:1], s[0:1], 2
	v_lshl_add_u64 v[12:13], s[24:25], 0, v[2:3]
	v_mul_lo_u32 v8, v7, s10
	v_mul_lo_u32 v9, v6, s11
	v_mad_u64_u32 v[2:3], s[2:3], v6, s10, 0
	s_add_u32 s0, s8, s0
	v_add3_u32 v3, v3, v9, v8
	v_mul_lo_u32 v10, v7, s20
	v_mul_lo_u32 v11, v6, s21
	v_mad_u64_u32 v[8:9], s[2:3], v6, s20, 0
	s_addc_u32 s1, s9, s1
	v_add3_u32 v9, v9, v11, v10
	v_cmp_gt_i64_e32 vcc, s[16:17], v[12:13]
	v_lshl_add_u64 v[10:11], v[2:3], 2, s[0:1]
	v_lshl_add_u64 v[8:9], v[8:9], 2, s[14:15]
	v_lshlrev_b64 v[2:3], 2, v[12:13]
	s_and_saveexec_b64 s[0:1], vcc
	s_cbranch_execz .LBB54_24
; %bb.23:
	v_lshl_add_u64 v[14:15], v[10:11], 0, v[2:3]
	global_load_dword v15, v[14:15], off
	v_mov_b32_e32 v14, v4
	s_waitcnt vmcnt(0)
	v_pk_mul_f32 v[14:15], s[28:29], v[14:15]
	s_nop 0
	v_add_f32_e32 v4, v14, v15
	v_lshl_add_u64 v[14:15], v[8:9], 0, v[2:3]
	global_store_dword v[14:15], v4, off
.LBB54_24:
	s_or_b64 exec, exec, s[0:1]
	v_lshl_add_u64 v[12:13], v[12:13], 0, 16
	v_cmp_gt_i64_e64 s[0:1], s[16:17], v[12:13]
	s_and_saveexec_b64 s[2:3], s[0:1]
	s_cbranch_execz .LBB54_26
; %bb.25:
	v_lshl_add_u64 v[12:13], v[10:11], 0, v[2:3]
	global_load_dword v13, v[12:13], off offset:64
	v_mov_b32_e32 v12, v5
	s_waitcnt vmcnt(0)
	v_pk_mul_f32 v[4:5], s[28:29], v[12:13]
	s_nop 0
	v_add_f32_e32 v12, v4, v5
	v_lshl_add_u64 v[4:5], v[8:9], 0, v[2:3]
	global_store_dword v[4:5], v12, off offset:64
.LBB54_26:
	s_or_b64 exec, exec, s[2:3]
	v_lshl_add_u64 v[4:5], v[6:7], 0, 16
	v_cmp_gt_i64_e64 s[2:3], s[18:19], v[4:5]
	s_and_b64 exec, exec, s[2:3]
	s_cbranch_execz .LBB54_19
; %bb.27:
	s_lshl_b64 s[2:3], s[10:11], 6
	v_lshl_add_u64 v[4:5], v[10:11], 0, s[2:3]
	s_lshl_b64 s[2:3], s[20:21], 6
	v_lshl_add_u64 v[6:7], v[8:9], 0, s[2:3]
	v_lshl_add_u64 v[4:5], v[4:5], 0, v[2:3]
	;; [unrolled: 1-line block ×3, first 2 shown]
	s_and_saveexec_b64 s[2:3], vcc
	s_cbranch_execz .LBB54_29
; %bb.28:
	global_load_dword v7, v[4:5], off
	v_mov_b32_e32 v6, v0
	s_waitcnt vmcnt(0)
	v_pk_mul_f32 v[6:7], s[28:29], v[6:7]
	s_nop 0
	v_add_f32_e32 v0, v6, v7
	global_store_dword v[2:3], v0, off
.LBB54_29:
	s_or_b64 exec, exec, s[2:3]
	s_and_b64 exec, exec, s[0:1]
	s_cbranch_execz .LBB54_19
; %bb.30:
	global_load_dword v5, v[4:5], off offset:64
	v_mov_b32_e32 v4, v1
	s_waitcnt vmcnt(0)
	v_pk_mul_f32 v[0:1], s[28:29], v[4:5]
	s_nop 0
	v_add_f32_e32 v0, v0, v1
	global_store_dword v[2:3], v0, off offset:64
	s_endpgm
	.section	.rodata,"a",@progbits
	.p2align	6, 0x0
	.amdhsa_kernel _ZN12_GLOBAL__N_135rocblas_gemm_batched_general_kernelIfLi16ELi16ELi32ELi32ELi8ELi32ELi8ELi8ELi32ELc67ELc78EKfS1_fEEvlllT_PT11_llS4_llS2_PT12_llPT13_lli
		.amdhsa_group_segment_fixed_size 2048
		.amdhsa_private_segment_fixed_size 0
		.amdhsa_kernarg_size 140
		.amdhsa_user_sgpr_count 2
		.amdhsa_user_sgpr_dispatch_ptr 0
		.amdhsa_user_sgpr_queue_ptr 0
		.amdhsa_user_sgpr_kernarg_segment_ptr 1
		.amdhsa_user_sgpr_dispatch_id 0
		.amdhsa_user_sgpr_kernarg_preload_length 0
		.amdhsa_user_sgpr_kernarg_preload_offset 0
		.amdhsa_user_sgpr_private_segment_size 0
		.amdhsa_uses_dynamic_stack 0
		.amdhsa_enable_private_segment 0
		.amdhsa_system_sgpr_workgroup_id_x 1
		.amdhsa_system_sgpr_workgroup_id_y 1
		.amdhsa_system_sgpr_workgroup_id_z 1
		.amdhsa_system_sgpr_workgroup_info 0
		.amdhsa_system_vgpr_workitem_id 1
		.amdhsa_next_free_vgpr 54
		.amdhsa_next_free_sgpr 32
		.amdhsa_accum_offset 56
		.amdhsa_reserve_vcc 1
		.amdhsa_float_round_mode_32 0
		.amdhsa_float_round_mode_16_64 0
		.amdhsa_float_denorm_mode_32 3
		.amdhsa_float_denorm_mode_16_64 3
		.amdhsa_dx10_clamp 1
		.amdhsa_ieee_mode 1
		.amdhsa_fp16_overflow 0
		.amdhsa_tg_split 0
		.amdhsa_exception_fp_ieee_invalid_op 0
		.amdhsa_exception_fp_denorm_src 0
		.amdhsa_exception_fp_ieee_div_zero 0
		.amdhsa_exception_fp_ieee_overflow 0
		.amdhsa_exception_fp_ieee_underflow 0
		.amdhsa_exception_fp_ieee_inexact 0
		.amdhsa_exception_int_div_zero 0
	.end_amdhsa_kernel
	.section	.text._ZN12_GLOBAL__N_135rocblas_gemm_batched_general_kernelIfLi16ELi16ELi32ELi32ELi8ELi32ELi8ELi8ELi32ELc67ELc78EKfS1_fEEvlllT_PT11_llS4_llS2_PT12_llPT13_lli,"axG",@progbits,_ZN12_GLOBAL__N_135rocblas_gemm_batched_general_kernelIfLi16ELi16ELi32ELi32ELi8ELi32ELi8ELi8ELi32ELc67ELc78EKfS1_fEEvlllT_PT11_llS4_llS2_PT12_llPT13_lli,comdat
.Lfunc_end54:
	.size	_ZN12_GLOBAL__N_135rocblas_gemm_batched_general_kernelIfLi16ELi16ELi32ELi32ELi8ELi32ELi8ELi8ELi32ELc67ELc78EKfS1_fEEvlllT_PT11_llS4_llS2_PT12_llPT13_lli, .Lfunc_end54-_ZN12_GLOBAL__N_135rocblas_gemm_batched_general_kernelIfLi16ELi16ELi32ELi32ELi8ELi32ELi8ELi8ELi32ELc67ELc78EKfS1_fEEvlllT_PT11_llS4_llS2_PT12_llPT13_lli
                                        ; -- End function
	.set _ZN12_GLOBAL__N_135rocblas_gemm_batched_general_kernelIfLi16ELi16ELi32ELi32ELi8ELi32ELi8ELi8ELi32ELc67ELc78EKfS1_fEEvlllT_PT11_llS4_llS2_PT12_llPT13_lli.num_vgpr, 54
	.set _ZN12_GLOBAL__N_135rocblas_gemm_batched_general_kernelIfLi16ELi16ELi32ELi32ELi8ELi32ELi8ELi8ELi32ELc67ELc78EKfS1_fEEvlllT_PT11_llS4_llS2_PT12_llPT13_lli.num_agpr, 0
	.set _ZN12_GLOBAL__N_135rocblas_gemm_batched_general_kernelIfLi16ELi16ELi32ELi32ELi8ELi32ELi8ELi8ELi32ELc67ELc78EKfS1_fEEvlllT_PT11_llS4_llS2_PT12_llPT13_lli.numbered_sgpr, 32
	.set _ZN12_GLOBAL__N_135rocblas_gemm_batched_general_kernelIfLi16ELi16ELi32ELi32ELi8ELi32ELi8ELi8ELi32ELc67ELc78EKfS1_fEEvlllT_PT11_llS4_llS2_PT12_llPT13_lli.num_named_barrier, 0
	.set _ZN12_GLOBAL__N_135rocblas_gemm_batched_general_kernelIfLi16ELi16ELi32ELi32ELi8ELi32ELi8ELi8ELi32ELc67ELc78EKfS1_fEEvlllT_PT11_llS4_llS2_PT12_llPT13_lli.private_seg_size, 0
	.set _ZN12_GLOBAL__N_135rocblas_gemm_batched_general_kernelIfLi16ELi16ELi32ELi32ELi8ELi32ELi8ELi8ELi32ELc67ELc78EKfS1_fEEvlllT_PT11_llS4_llS2_PT12_llPT13_lli.uses_vcc, 1
	.set _ZN12_GLOBAL__N_135rocblas_gemm_batched_general_kernelIfLi16ELi16ELi32ELi32ELi8ELi32ELi8ELi8ELi32ELc67ELc78EKfS1_fEEvlllT_PT11_llS4_llS2_PT12_llPT13_lli.uses_flat_scratch, 0
	.set _ZN12_GLOBAL__N_135rocblas_gemm_batched_general_kernelIfLi16ELi16ELi32ELi32ELi8ELi32ELi8ELi8ELi32ELc67ELc78EKfS1_fEEvlllT_PT11_llS4_llS2_PT12_llPT13_lli.has_dyn_sized_stack, 0
	.set _ZN12_GLOBAL__N_135rocblas_gemm_batched_general_kernelIfLi16ELi16ELi32ELi32ELi8ELi32ELi8ELi8ELi32ELc67ELc78EKfS1_fEEvlllT_PT11_llS4_llS2_PT12_llPT13_lli.has_recursion, 0
	.set _ZN12_GLOBAL__N_135rocblas_gemm_batched_general_kernelIfLi16ELi16ELi32ELi32ELi8ELi32ELi8ELi8ELi32ELc67ELc78EKfS1_fEEvlllT_PT11_llS4_llS2_PT12_llPT13_lli.has_indirect_call, 0
	.section	.AMDGPU.csdata,"",@progbits
; Kernel info:
; codeLenInByte = 1632
; TotalNumSgprs: 38
; NumVgprs: 54
; NumAgprs: 0
; TotalNumVgprs: 54
; ScratchSize: 0
; MemoryBound: 0
; FloatMode: 240
; IeeeMode: 1
; LDSByteSize: 2048 bytes/workgroup (compile time only)
; SGPRBlocks: 4
; VGPRBlocks: 6
; NumSGPRsForWavesPerEU: 38
; NumVGPRsForWavesPerEU: 54
; AccumOffset: 56
; Occupancy: 8
; WaveLimiterHint : 0
; COMPUTE_PGM_RSRC2:SCRATCH_EN: 0
; COMPUTE_PGM_RSRC2:USER_SGPR: 2
; COMPUTE_PGM_RSRC2:TRAP_HANDLER: 0
; COMPUTE_PGM_RSRC2:TGID_X_EN: 1
; COMPUTE_PGM_RSRC2:TGID_Y_EN: 1
; COMPUTE_PGM_RSRC2:TGID_Z_EN: 1
; COMPUTE_PGM_RSRC2:TIDIG_COMP_CNT: 1
; COMPUTE_PGM_RSRC3_GFX90A:ACCUM_OFFSET: 13
; COMPUTE_PGM_RSRC3_GFX90A:TG_SPLIT: 0
	.section	.text._ZN12_GLOBAL__N_135rocblas_gemm_batched_general_kernelIfLi16ELi16ELi32ELi32ELi8ELi32ELi8ELi8ELi32ELc67ELc84EKfS1_fEEvlllT_PT11_llS4_llS2_PT12_llPT13_lli,"axG",@progbits,_ZN12_GLOBAL__N_135rocblas_gemm_batched_general_kernelIfLi16ELi16ELi32ELi32ELi8ELi32ELi8ELi8ELi32ELc67ELc84EKfS1_fEEvlllT_PT11_llS4_llS2_PT12_llPT13_lli,comdat
	.globl	_ZN12_GLOBAL__N_135rocblas_gemm_batched_general_kernelIfLi16ELi16ELi32ELi32ELi8ELi32ELi8ELi8ELi32ELc67ELc84EKfS1_fEEvlllT_PT11_llS4_llS2_PT12_llPT13_lli ; -- Begin function _ZN12_GLOBAL__N_135rocblas_gemm_batched_general_kernelIfLi16ELi16ELi32ELi32ELi8ELi32ELi8ELi8ELi32ELc67ELc84EKfS1_fEEvlllT_PT11_llS4_llS2_PT12_llPT13_lli
	.p2align	8
	.type	_ZN12_GLOBAL__N_135rocblas_gemm_batched_general_kernelIfLi16ELi16ELi32ELi32ELi8ELi32ELi8ELi8ELi32ELc67ELc84EKfS1_fEEvlllT_PT11_llS4_llS2_PT12_llPT13_lli,@function
_ZN12_GLOBAL__N_135rocblas_gemm_batched_general_kernelIfLi16ELi16ELi32ELi32ELi8ELi32ELi8ELi8ELi32ELc67ELc84EKfS1_fEEvlllT_PT11_llS4_llS2_PT12_llPT13_lli: ; @_ZN12_GLOBAL__N_135rocblas_gemm_batched_general_kernelIfLi16ELi16ELi32ELi32ELi8ELi32ELi8ELi8ELi32ELc67ELc84EKfS1_fEEvlllT_PT11_llS4_llS2_PT12_llPT13_lli
; %bb.0:
	s_load_dwordx4 s[16:19], s[0:1], 0x0
	s_load_dwordx2 s[28:29], s[0:1], 0x10
	s_mov_b32 s30, s3
	s_ashr_i32 s3, s2, 31
	v_mov_b32_e32 v7, 0
	s_lshl_b64 s[24:25], s[2:3], 5
	s_ashr_i32 s31, s30, 31
	s_waitcnt lgkmcnt(0)
	v_cmp_lt_i64_e64 s[2:3], s[28:29], 1
	v_and_b32_e32 v2, 0x3ff, v0
	v_bfe_u32 v6, v0, 10, 10
	v_mov_b32_e32 v3, v7
	s_lshl_b64 s[26:27], s[30:31], 5
	s_and_b64 vcc, exec, s[2:3]
	v_mov_b32_e32 v5, v7
	v_mov_b32_e32 v4, v7
	;; [unrolled: 1-line block ×4, first 2 shown]
	s_cbranch_vccnz .LBB55_7
; %bb.1:
	s_load_dwordx8 s[8:15], s[0:1], 0x20
	s_load_dwordx4 s[20:23], s[0:1], 0x40
	v_lshl_add_u32 v12, v6, 4, v2
	v_mov_b32_e32 v9, 0
	v_lshrrev_b32_e32 v0, 3, v12
	v_mov_b32_e32 v1, v9
	v_and_b32_e32 v10, 7, v2
	v_lshl_add_u64 v[4:5], v[0:1], 0, s[26:27]
	v_and_b32_e32 v14, 31, v12
	s_waitcnt lgkmcnt(0)
	s_mul_i32 s5, s23, s4
	s_mul_hi_u32 s23, s22, s4
	v_lshrrev_b32_e32 v8, 5, v12
	v_or_b32_e32 v12, s24, v14
	v_mov_b32_e32 v13, s25
	v_lshlrev_b32_e32 v1, 2, v14
	v_cmp_gt_i64_e64 s[6:7], s[18:19], v[4:5]
	s_add_i32 s23, s23, s5
	s_mul_i32 s22, s22, s4
	v_mad_u64_u32 v[4:5], s[34:35], s20, v10, 0
	v_cmp_gt_i64_e64 s[2:3], s[16:17], v[12:13]
	v_lshl_or_b32 v18, v8, 7, v1
	v_lshlrev_b32_e32 v1, 2, v10
	s_lshl_b64 s[22:23], s[22:23], 2
	v_mov_b32_e32 v12, v5
	s_lshl_b64 s[30:31], s[30:31], 7
	v_lshl_or_b32 v1, v0, 5, v1
	v_mad_u64_u32 v[12:13], s[34:35], s21, v10, v[12:13]
	s_add_u32 s22, s30, s22
	v_add_u32_e32 v19, 0x400, v1
	v_mov_b32_e32 v1, 0x400
	v_mov_b32_e32 v5, v12
	s_addc_u32 s23, s31, s23
	v_lshl_add_u32 v21, v6, 5, v1
	v_lshl_add_u64 v[4:5], v[4:5], 2, s[22:23]
	v_lshlrev_b32_e32 v0, 2, v0
	v_mov_b32_e32 v1, v9
	v_mov_b32_e32 v15, v9
	v_lshl_add_u64 v[0:1], v[4:5], 0, v[0:1]
	v_lshl_add_u64 v[12:13], s[14:15], 0, v[0:1]
	;; [unrolled: 1-line block ×3, first 2 shown]
	v_mul_lo_u32 v4, s11, v0
	v_mul_lo_u32 v5, s10, v1
	v_mad_u64_u32 v[0:1], s[10:11], s10, v0, 0
	s_mul_i32 s5, s13, s4
	s_mul_hi_u32 s10, s12, s4
	s_add_i32 s11, s10, s5
	s_mul_i32 s10, s12, s4
	v_add3_u32 v1, v1, v5, v4
	s_lshl_b64 s[10:11], s[10:11], 2
	v_lshl_add_u64 v[0:1], v[0:1], 2, s[10:11]
	v_lshlrev_b32_e32 v4, 2, v8
	v_mov_b32_e32 v5, v9
	v_lshl_add_u64 v[0:1], v[0:1], 0, v[4:5]
	v_mov_b32_e32 v11, v9
	v_lshlrev_b32_e32 v20, 2, v2
	s_lshl_b64 s[14:15], s[20:21], 5
	v_lshl_add_u64 v[14:15], s[8:9], 0, v[0:1]
	s_mov_b64 s[8:9], 0
	v_mov_b64_e32 v[16:17], s[28:29]
	v_mov_b32_e32 v4, v9
	v_mov_b32_e32 v0, v9
	;; [unrolled: 1-line block ×3, first 2 shown]
	s_branch .LBB55_3
.LBB55_2:                               ;   in Loop: Header=BB55_3 Depth=1
	s_or_b64 exec, exec, s[10:11]
	s_waitcnt vmcnt(0)
	ds_write_b32 v19, v22
	s_waitcnt lgkmcnt(0)
	s_barrier
	ds_read_b128 v[22:25], v21
	ds_read_b128 v[26:29], v21 offset:16
	ds_read2_b32 v[38:39], v20 offset1:16
	ds_read2_b32 v[40:41], v20 offset0:32 offset1:48
	ds_read2_b32 v[42:43], v20 offset0:64 offset1:80
	;; [unrolled: 1-line block ×4, first 2 shown]
	ds_read_b128 v[30:33], v21 offset:512
	ds_read_b128 v[34:37], v21 offset:528
	ds_read2_b32 v[48:49], v20 offset0:160 offset1:176
	ds_read2_b32 v[50:51], v20 offset0:192 offset1:208
	;; [unrolled: 1-line block ×3, first 2 shown]
	s_waitcnt lgkmcnt(9)
	v_pk_fma_f32 v[4:5], v[38:39], v[22:23], v[4:5] op_sel_hi:[1,0,1]
	s_waitcnt lgkmcnt(4)
	v_pk_fma_f32 v[0:1], v[38:39], v[30:31], v[0:1] op_sel_hi:[1,0,1]
	v_pk_fma_f32 v[4:5], v[40:41], v[22:23], v[4:5] op_sel:[0,1,0]
	v_mov_b32_e32 v22, v25
	v_pk_fma_f32 v[4:5], v[42:43], v[24:25], v[4:5] op_sel_hi:[1,0,1]
	v_pk_fma_f32 v[0:1], v[40:41], v[30:31], v[0:1] op_sel:[0,1,0]
	v_pk_fma_f32 v[4:5], v[44:45], v[22:23], v[4:5] op_sel_hi:[1,0,1]
	v_mov_b32_e32 v22, v29
	v_pk_fma_f32 v[4:5], v[46:47], v[26:27], v[4:5] op_sel_hi:[1,0,1]
	v_pk_fma_f32 v[0:1], v[42:43], v[32:33], v[0:1] op_sel_hi:[1,0,1]
	s_waitcnt lgkmcnt(2)
	v_pk_fma_f32 v[4:5], v[48:49], v[26:27], v[4:5] op_sel:[0,1,0]
	s_add_u32 s8, s8, 8
	s_waitcnt lgkmcnt(1)
	v_pk_fma_f32 v[4:5], v[50:51], v[28:29], v[4:5] op_sel_hi:[1,0,1]
	s_addc_u32 s9, s9, 0
	s_waitcnt lgkmcnt(0)
	v_pk_fma_f32 v[4:5], v[52:53], v[22:23], v[4:5] op_sel_hi:[1,0,1]
	v_mov_b32_e32 v22, v33
	v_pk_fma_f32 v[0:1], v[44:45], v[22:23], v[0:1] op_sel_hi:[1,0,1]
	v_mov_b32_e32 v22, v37
	v_pk_fma_f32 v[0:1], v[46:47], v[34:35], v[0:1] op_sel_hi:[1,0,1]
	v_cmp_lt_i64_e32 vcc, s[8:9], v[16:17]
	v_pk_fma_f32 v[0:1], v[48:49], v[34:35], v[0:1] op_sel:[0,1,0]
	v_lshl_add_u64 v[12:13], v[12:13], 0, s[14:15]
	v_pk_fma_f32 v[0:1], v[50:51], v[36:37], v[0:1] op_sel_hi:[1,0,1]
	v_lshl_add_u64 v[14:15], v[14:15], 0, 32
	v_pk_fma_f32 v[0:1], v[52:53], v[22:23], v[0:1] op_sel_hi:[1,0,1]
	s_barrier
	s_cbranch_vccz .LBB55_7
.LBB55_3:                               ; =>This Inner Loop Header: Depth=1
	v_lshl_add_u64 v[22:23], v[8:9], 0, s[8:9]
	v_cmp_gt_i64_e32 vcc, s[28:29], v[22:23]
	s_and_b64 s[12:13], s[2:3], vcc
	v_mov_b32_e32 v22, 0
	s_and_saveexec_b64 s[10:11], s[12:13]
	s_cbranch_execz .LBB55_5
; %bb.4:                                ;   in Loop: Header=BB55_3 Depth=1
	global_load_dword v22, v[14:15], off
.LBB55_5:                               ;   in Loop: Header=BB55_3 Depth=1
	s_or_b64 exec, exec, s[10:11]
	s_waitcnt vmcnt(0)
	ds_write_b32 v18, v22
	v_lshl_add_u64 v[22:23], v[10:11], 0, s[8:9]
	v_cmp_gt_i64_e32 vcc, s[28:29], v[22:23]
	s_and_b64 s[12:13], vcc, s[6:7]
	v_mov_b32_e32 v22, 0
	s_and_saveexec_b64 s[10:11], s[12:13]
	s_cbranch_execz .LBB55_2
; %bb.6:                                ;   in Loop: Header=BB55_3 Depth=1
	global_load_dword v22, v[12:13], off
	s_branch .LBB55_2
.LBB55_7:
	s_load_dwordx4 s[20:23], s[0:1], 0x78
	s_load_dword s28, s[0:1], 0x18
	s_load_dword s29, s[0:1], 0x50
	s_load_dwordx8 s[8:15], s[0:1], 0x58
	v_lshl_add_u64 v[6:7], s[26:27], 0, v[6:7]
	s_waitcnt lgkmcnt(0)
	s_mul_i32 s0, s23, s4
	s_mul_hi_u32 s1, s22, s4
	s_add_i32 s1, s1, s0
	s_mul_i32 s0, s22, s4
	s_lshl_b64 s[0:1], s[0:1], 2
	s_add_u32 s14, s14, s0
	v_cmp_neq_f32_e64 s[2:3], s29, 0
	s_addc_u32 s15, s15, s1
	v_cmp_gt_i64_e64 s[0:1], s[18:19], v[6:7]
	s_and_b64 vcc, exec, s[2:3]
	s_cbranch_vccnz .LBB55_20
; %bb.8:
	s_and_saveexec_b64 s[22:23], s[0:1]
	s_cbranch_execz .LBB55_18
; %bb.9:
	v_mul_lo_u32 v12, v7, s20
	v_mul_lo_u32 v13, v6, s21
	v_mad_u64_u32 v[10:11], s[2:3], v6, s20, 0
	v_add3_u32 v11, v11, v13, v12
	v_lshl_add_u64 v[8:9], s[24:25], 0, v[2:3]
	v_lshl_add_u64 v[10:11], v[10:11], 2, s[14:15]
	v_cmp_gt_i64_e32 vcc, s[16:17], v[8:9]
	v_lshl_add_u64 v[12:13], v[8:9], 2, v[10:11]
	s_and_saveexec_b64 s[2:3], vcc
	s_cbranch_execz .LBB55_11
; %bb.10:
	v_mul_f32_e32 v14, s28, v4
	global_store_dword v[12:13], v14, off
.LBB55_11:
	s_or_b64 exec, exec, s[2:3]
	v_lshl_add_u64 v[14:15], v[8:9], 0, 16
	v_cmp_gt_i64_e64 s[2:3], s[16:17], v[14:15]
	s_and_saveexec_b64 s[6:7], s[2:3]
	s_cbranch_execz .LBB55_13
; %bb.12:
	v_mul_f32_e32 v14, s28, v5
	global_store_dword v[12:13], v14, off offset:64
.LBB55_13:
	s_or_b64 exec, exec, s[6:7]
	v_lshl_add_u64 v[12:13], v[6:7], 0, 16
	v_cmp_gt_i64_e64 s[6:7], s[18:19], v[12:13]
	s_and_b64 exec, exec, s[6:7]
	s_cbranch_execz .LBB55_18
; %bb.14:
	s_lshl_b64 s[6:7], s[20:21], 6
	v_lshl_add_u64 v[10:11], v[10:11], 0, s[6:7]
	v_lshl_add_u64 v[8:9], v[8:9], 2, v[10:11]
	s_and_saveexec_b64 s[6:7], vcc
	s_cbranch_execz .LBB55_16
; %bb.15:
	v_mul_f32_e32 v10, s28, v0
	global_store_dword v[8:9], v10, off
.LBB55_16:
	s_or_b64 exec, exec, s[6:7]
	s_and_b64 exec, exec, s[2:3]
	s_cbranch_execz .LBB55_18
; %bb.17:
	v_mul_f32_e32 v10, s28, v1
	global_store_dword v[8:9], v10, off offset:64
.LBB55_18:
	s_or_b64 exec, exec, s[22:23]
	s_cbranch_execz .LBB55_21
.LBB55_19:
	s_endpgm
.LBB55_20:
.LBB55_21:
	s_and_saveexec_b64 s[2:3], s[0:1]
	s_cbranch_execz .LBB55_19
; %bb.22:
	s_mul_i32 s0, s13, s4
	s_mul_hi_u32 s1, s12, s4
	s_add_i32 s1, s1, s0
	s_mul_i32 s0, s12, s4
	s_lshl_b64 s[0:1], s[0:1], 2
	v_lshl_add_u64 v[12:13], s[24:25], 0, v[2:3]
	v_mul_lo_u32 v8, v7, s10
	v_mul_lo_u32 v9, v6, s11
	v_mad_u64_u32 v[2:3], s[2:3], v6, s10, 0
	s_add_u32 s0, s8, s0
	v_add3_u32 v3, v3, v9, v8
	v_mul_lo_u32 v10, v7, s20
	v_mul_lo_u32 v11, v6, s21
	v_mad_u64_u32 v[8:9], s[2:3], v6, s20, 0
	s_addc_u32 s1, s9, s1
	v_add3_u32 v9, v9, v11, v10
	v_cmp_gt_i64_e32 vcc, s[16:17], v[12:13]
	v_lshl_add_u64 v[10:11], v[2:3], 2, s[0:1]
	v_lshl_add_u64 v[8:9], v[8:9], 2, s[14:15]
	v_lshlrev_b64 v[2:3], 2, v[12:13]
	s_and_saveexec_b64 s[0:1], vcc
	s_cbranch_execz .LBB55_24
; %bb.23:
	v_lshl_add_u64 v[14:15], v[10:11], 0, v[2:3]
	global_load_dword v15, v[14:15], off
	v_mov_b32_e32 v14, v4
	s_waitcnt vmcnt(0)
	v_pk_mul_f32 v[14:15], s[28:29], v[14:15]
	s_nop 0
	v_add_f32_e32 v4, v14, v15
	v_lshl_add_u64 v[14:15], v[8:9], 0, v[2:3]
	global_store_dword v[14:15], v4, off
.LBB55_24:
	s_or_b64 exec, exec, s[0:1]
	v_lshl_add_u64 v[12:13], v[12:13], 0, 16
	v_cmp_gt_i64_e64 s[0:1], s[16:17], v[12:13]
	s_and_saveexec_b64 s[2:3], s[0:1]
	s_cbranch_execz .LBB55_26
; %bb.25:
	v_lshl_add_u64 v[12:13], v[10:11], 0, v[2:3]
	global_load_dword v13, v[12:13], off offset:64
	v_mov_b32_e32 v12, v5
	s_waitcnt vmcnt(0)
	v_pk_mul_f32 v[4:5], s[28:29], v[12:13]
	s_nop 0
	v_add_f32_e32 v12, v4, v5
	v_lshl_add_u64 v[4:5], v[8:9], 0, v[2:3]
	global_store_dword v[4:5], v12, off offset:64
.LBB55_26:
	s_or_b64 exec, exec, s[2:3]
	v_lshl_add_u64 v[4:5], v[6:7], 0, 16
	v_cmp_gt_i64_e64 s[2:3], s[18:19], v[4:5]
	s_and_b64 exec, exec, s[2:3]
	s_cbranch_execz .LBB55_19
; %bb.27:
	s_lshl_b64 s[2:3], s[10:11], 6
	v_lshl_add_u64 v[4:5], v[10:11], 0, s[2:3]
	s_lshl_b64 s[2:3], s[20:21], 6
	v_lshl_add_u64 v[6:7], v[8:9], 0, s[2:3]
	v_lshl_add_u64 v[4:5], v[4:5], 0, v[2:3]
	;; [unrolled: 1-line block ×3, first 2 shown]
	s_and_saveexec_b64 s[2:3], vcc
	s_cbranch_execz .LBB55_29
; %bb.28:
	global_load_dword v7, v[4:5], off
	v_mov_b32_e32 v6, v0
	s_waitcnt vmcnt(0)
	v_pk_mul_f32 v[6:7], s[28:29], v[6:7]
	s_nop 0
	v_add_f32_e32 v0, v6, v7
	global_store_dword v[2:3], v0, off
.LBB55_29:
	s_or_b64 exec, exec, s[2:3]
	s_and_b64 exec, exec, s[0:1]
	s_cbranch_execz .LBB55_19
; %bb.30:
	global_load_dword v5, v[4:5], off offset:64
	v_mov_b32_e32 v4, v1
	s_waitcnt vmcnt(0)
	v_pk_mul_f32 v[0:1], s[28:29], v[4:5]
	s_nop 0
	v_add_f32_e32 v0, v0, v1
	global_store_dword v[2:3], v0, off offset:64
	s_endpgm
	.section	.rodata,"a",@progbits
	.p2align	6, 0x0
	.amdhsa_kernel _ZN12_GLOBAL__N_135rocblas_gemm_batched_general_kernelIfLi16ELi16ELi32ELi32ELi8ELi32ELi8ELi8ELi32ELc67ELc84EKfS1_fEEvlllT_PT11_llS4_llS2_PT12_llPT13_lli
		.amdhsa_group_segment_fixed_size 2048
		.amdhsa_private_segment_fixed_size 0
		.amdhsa_kernarg_size 140
		.amdhsa_user_sgpr_count 2
		.amdhsa_user_sgpr_dispatch_ptr 0
		.amdhsa_user_sgpr_queue_ptr 0
		.amdhsa_user_sgpr_kernarg_segment_ptr 1
		.amdhsa_user_sgpr_dispatch_id 0
		.amdhsa_user_sgpr_kernarg_preload_length 0
		.amdhsa_user_sgpr_kernarg_preload_offset 0
		.amdhsa_user_sgpr_private_segment_size 0
		.amdhsa_uses_dynamic_stack 0
		.amdhsa_enable_private_segment 0
		.amdhsa_system_sgpr_workgroup_id_x 1
		.amdhsa_system_sgpr_workgroup_id_y 1
		.amdhsa_system_sgpr_workgroup_id_z 1
		.amdhsa_system_sgpr_workgroup_info 0
		.amdhsa_system_vgpr_workitem_id 1
		.amdhsa_next_free_vgpr 54
		.amdhsa_next_free_sgpr 36
		.amdhsa_accum_offset 56
		.amdhsa_reserve_vcc 1
		.amdhsa_float_round_mode_32 0
		.amdhsa_float_round_mode_16_64 0
		.amdhsa_float_denorm_mode_32 3
		.amdhsa_float_denorm_mode_16_64 3
		.amdhsa_dx10_clamp 1
		.amdhsa_ieee_mode 1
		.amdhsa_fp16_overflow 0
		.amdhsa_tg_split 0
		.amdhsa_exception_fp_ieee_invalid_op 0
		.amdhsa_exception_fp_denorm_src 0
		.amdhsa_exception_fp_ieee_div_zero 0
		.amdhsa_exception_fp_ieee_overflow 0
		.amdhsa_exception_fp_ieee_underflow 0
		.amdhsa_exception_fp_ieee_inexact 0
		.amdhsa_exception_int_div_zero 0
	.end_amdhsa_kernel
	.section	.text._ZN12_GLOBAL__N_135rocblas_gemm_batched_general_kernelIfLi16ELi16ELi32ELi32ELi8ELi32ELi8ELi8ELi32ELc67ELc84EKfS1_fEEvlllT_PT11_llS4_llS2_PT12_llPT13_lli,"axG",@progbits,_ZN12_GLOBAL__N_135rocblas_gemm_batched_general_kernelIfLi16ELi16ELi32ELi32ELi8ELi32ELi8ELi8ELi32ELc67ELc84EKfS1_fEEvlllT_PT11_llS4_llS2_PT12_llPT13_lli,comdat
.Lfunc_end55:
	.size	_ZN12_GLOBAL__N_135rocblas_gemm_batched_general_kernelIfLi16ELi16ELi32ELi32ELi8ELi32ELi8ELi8ELi32ELc67ELc84EKfS1_fEEvlllT_PT11_llS4_llS2_PT12_llPT13_lli, .Lfunc_end55-_ZN12_GLOBAL__N_135rocblas_gemm_batched_general_kernelIfLi16ELi16ELi32ELi32ELi8ELi32ELi8ELi8ELi32ELc67ELc84EKfS1_fEEvlllT_PT11_llS4_llS2_PT12_llPT13_lli
                                        ; -- End function
	.set _ZN12_GLOBAL__N_135rocblas_gemm_batched_general_kernelIfLi16ELi16ELi32ELi32ELi8ELi32ELi8ELi8ELi32ELc67ELc84EKfS1_fEEvlllT_PT11_llS4_llS2_PT12_llPT13_lli.num_vgpr, 54
	.set _ZN12_GLOBAL__N_135rocblas_gemm_batched_general_kernelIfLi16ELi16ELi32ELi32ELi8ELi32ELi8ELi8ELi32ELc67ELc84EKfS1_fEEvlllT_PT11_llS4_llS2_PT12_llPT13_lli.num_agpr, 0
	.set _ZN12_GLOBAL__N_135rocblas_gemm_batched_general_kernelIfLi16ELi16ELi32ELi32ELi8ELi32ELi8ELi8ELi32ELc67ELc84EKfS1_fEEvlllT_PT11_llS4_llS2_PT12_llPT13_lli.numbered_sgpr, 36
	.set _ZN12_GLOBAL__N_135rocblas_gemm_batched_general_kernelIfLi16ELi16ELi32ELi32ELi8ELi32ELi8ELi8ELi32ELc67ELc84EKfS1_fEEvlllT_PT11_llS4_llS2_PT12_llPT13_lli.num_named_barrier, 0
	.set _ZN12_GLOBAL__N_135rocblas_gemm_batched_general_kernelIfLi16ELi16ELi32ELi32ELi8ELi32ELi8ELi8ELi32ELc67ELc84EKfS1_fEEvlllT_PT11_llS4_llS2_PT12_llPT13_lli.private_seg_size, 0
	.set _ZN12_GLOBAL__N_135rocblas_gemm_batched_general_kernelIfLi16ELi16ELi32ELi32ELi8ELi32ELi8ELi8ELi32ELc67ELc84EKfS1_fEEvlllT_PT11_llS4_llS2_PT12_llPT13_lli.uses_vcc, 1
	.set _ZN12_GLOBAL__N_135rocblas_gemm_batched_general_kernelIfLi16ELi16ELi32ELi32ELi8ELi32ELi8ELi8ELi32ELc67ELc84EKfS1_fEEvlllT_PT11_llS4_llS2_PT12_llPT13_lli.uses_flat_scratch, 0
	.set _ZN12_GLOBAL__N_135rocblas_gemm_batched_general_kernelIfLi16ELi16ELi32ELi32ELi8ELi32ELi8ELi8ELi32ELc67ELc84EKfS1_fEEvlllT_PT11_llS4_llS2_PT12_llPT13_lli.has_dyn_sized_stack, 0
	.set _ZN12_GLOBAL__N_135rocblas_gemm_batched_general_kernelIfLi16ELi16ELi32ELi32ELi8ELi32ELi8ELi8ELi32ELc67ELc84EKfS1_fEEvlllT_PT11_llS4_llS2_PT12_llPT13_lli.has_recursion, 0
	.set _ZN12_GLOBAL__N_135rocblas_gemm_batched_general_kernelIfLi16ELi16ELi32ELi32ELi8ELi32ELi8ELi8ELi32ELc67ELc84EKfS1_fEEvlllT_PT11_llS4_llS2_PT12_llPT13_lli.has_indirect_call, 0
	.section	.AMDGPU.csdata,"",@progbits
; Kernel info:
; codeLenInByte = 1644
; TotalNumSgprs: 42
; NumVgprs: 54
; NumAgprs: 0
; TotalNumVgprs: 54
; ScratchSize: 0
; MemoryBound: 0
; FloatMode: 240
; IeeeMode: 1
; LDSByteSize: 2048 bytes/workgroup (compile time only)
; SGPRBlocks: 5
; VGPRBlocks: 6
; NumSGPRsForWavesPerEU: 42
; NumVGPRsForWavesPerEU: 54
; AccumOffset: 56
; Occupancy: 8
; WaveLimiterHint : 0
; COMPUTE_PGM_RSRC2:SCRATCH_EN: 0
; COMPUTE_PGM_RSRC2:USER_SGPR: 2
; COMPUTE_PGM_RSRC2:TRAP_HANDLER: 0
; COMPUTE_PGM_RSRC2:TGID_X_EN: 1
; COMPUTE_PGM_RSRC2:TGID_Y_EN: 1
; COMPUTE_PGM_RSRC2:TGID_Z_EN: 1
; COMPUTE_PGM_RSRC2:TIDIG_COMP_CNT: 1
; COMPUTE_PGM_RSRC3_GFX90A:ACCUM_OFFSET: 13
; COMPUTE_PGM_RSRC3_GFX90A:TG_SPLIT: 0
	.section	.text._ZN12_GLOBAL__N_135rocblas_gemm_batched_general_kernelIfLi16ELi16ELi32ELi32ELi8ELi32ELi8ELi8ELi32ELc78ELc67EKfS1_fEEvlllT_PT11_llS4_llS2_PT12_llPT13_lli,"axG",@progbits,_ZN12_GLOBAL__N_135rocblas_gemm_batched_general_kernelIfLi16ELi16ELi32ELi32ELi8ELi32ELi8ELi8ELi32ELc78ELc67EKfS1_fEEvlllT_PT11_llS4_llS2_PT12_llPT13_lli,comdat
	.globl	_ZN12_GLOBAL__N_135rocblas_gemm_batched_general_kernelIfLi16ELi16ELi32ELi32ELi8ELi32ELi8ELi8ELi32ELc78ELc67EKfS1_fEEvlllT_PT11_llS4_llS2_PT12_llPT13_lli ; -- Begin function _ZN12_GLOBAL__N_135rocblas_gemm_batched_general_kernelIfLi16ELi16ELi32ELi32ELi8ELi32ELi8ELi8ELi32ELc78ELc67EKfS1_fEEvlllT_PT11_llS4_llS2_PT12_llPT13_lli
	.p2align	8
	.type	_ZN12_GLOBAL__N_135rocblas_gemm_batched_general_kernelIfLi16ELi16ELi32ELi32ELi8ELi32ELi8ELi8ELi32ELc78ELc67EKfS1_fEEvlllT_PT11_llS4_llS2_PT12_llPT13_lli,@function
_ZN12_GLOBAL__N_135rocblas_gemm_batched_general_kernelIfLi16ELi16ELi32ELi32ELi8ELi32ELi8ELi8ELi32ELc78ELc67EKfS1_fEEvlllT_PT11_llS4_llS2_PT12_llPT13_lli: ; @_ZN12_GLOBAL__N_135rocblas_gemm_batched_general_kernelIfLi16ELi16ELi32ELi32ELi8ELi32ELi8ELi8ELi32ELc78ELc67EKfS1_fEEvlllT_PT11_llS4_llS2_PT12_llPT13_lli
; %bb.0:
	s_load_dwordx4 s[20:23], s[0:1], 0x0
	s_load_dwordx2 s[10:11], s[0:1], 0x10
	s_mov_b32 s34, s3
	v_mov_b32_e32 v7, 0
	s_ashr_i32 s3, s2, 31
	s_ashr_i32 s35, s34, 31
	s_waitcnt lgkmcnt(0)
	v_cmp_lt_i64_e64 s[6:7], s[10:11], 1
	v_and_b32_e32 v2, 0x3ff, v0
	v_bfe_u32 v6, v0, 10, 10
	v_mov_b32_e32 v3, v7
	s_lshl_b64 s[28:29], s[2:3], 5
	s_lshl_b64 s[30:31], s[34:35], 5
	s_and_b64 vcc, exec, s[6:7]
	v_mov_b32_e32 v5, v7
	v_mov_b32_e32 v4, v7
	;; [unrolled: 1-line block ×4, first 2 shown]
	s_cbranch_vccnz .LBB56_7
; %bb.1:
	s_load_dwordx8 s[12:19], s[0:1], 0x20
	s_load_dwordx4 s[24:27], s[0:1], 0x40
	v_lshl_add_u32 v12, v6, 4, v2
	v_mov_b32_e32 v9, 0
	v_lshrrev_b32_e32 v0, 3, v12
	v_mov_b32_e32 v1, v9
	v_and_b32_e32 v10, 7, v2
	v_lshl_add_u64 v[4:5], v[0:1], 0, s[30:31]
	v_and_b32_e32 v1, 31, v12
	s_waitcnt lgkmcnt(0)
	s_mul_i32 s5, s27, s4
	s_mul_hi_u32 s27, s26, s4
	v_lshrrev_b32_e32 v8, 5, v12
	v_or_b32_e32 v12, s28, v1
	v_mov_b32_e32 v13, s29
	v_cmp_gt_i64_e64 s[8:9], s[22:23], v[4:5]
	s_add_i32 s27, s27, s5
	s_mul_i32 s26, s26, s4
	v_mad_u64_u32 v[4:5], s[36:37], s24, v10, 0
	v_cmp_gt_i64_e64 s[6:7], s[20:21], v[12:13]
	v_lshlrev_b32_e32 v14, 2, v1
	v_lshlrev_b32_e32 v1, 2, v10
	s_lshl_b64 s[26:27], s[26:27], 2
	v_mov_b32_e32 v12, v5
	s_lshl_b64 s[34:35], s[34:35], 7
	v_lshl_or_b32 v1, v0, 5, v1
	v_mad_u64_u32 v[12:13], s[36:37], s25, v10, v[12:13]
	s_add_u32 s26, s34, s26
	v_add_u32_e32 v19, 0x400, v1
	v_mov_b32_e32 v1, 0x400
	v_mov_b32_e32 v5, v12
	s_addc_u32 s27, s35, s27
	v_lshl_add_u32 v21, v6, 5, v1
	v_lshl_add_u64 v[4:5], v[4:5], 2, s[26:27]
	v_lshlrev_b32_e32 v0, 2, v0
	v_mov_b32_e32 v1, v9
	v_lshl_add_u64 v[0:1], v[4:5], 0, v[0:1]
	s_mul_i32 s5, s17, s4
	s_mul_hi_u32 s17, s16, s4
	v_lshl_add_u64 v[12:13], s[18:19], 0, v[0:1]
	s_lshl_b64 s[18:19], s[24:25], 5
	v_mad_u64_u32 v[0:1], s[24:25], s14, v8, 0
	s_add_i32 s17, s17, s5
	s_mul_i32 s16, s16, s4
	v_mov_b32_e32 v4, v1
	s_lshl_b64 s[16:17], s[16:17], 2
	s_lshl_b64 s[2:3], s[2:3], 7
	v_mad_u64_u32 v[4:5], s[24:25], s15, v8, v[4:5]
	s_add_u32 s2, s2, s16
	v_mov_b32_e32 v1, v4
	s_addc_u32 s3, s3, s17
	v_lshl_add_u64 v[0:1], v[0:1], 2, s[2:3]
	v_mov_b32_e32 v15, v9
	v_lshl_add_u64 v[0:1], v[0:1], 0, v[14:15]
	v_mov_b32_e32 v11, v9
	v_lshl_or_b32 v18, v8, 7, v14
	v_lshlrev_b32_e32 v20, 2, v2
	v_lshl_add_u64 v[14:15], s[12:13], 0, v[0:1]
	s_lshl_b64 s[2:3], s[14:15], 5
	s_mov_b64 s[12:13], 0
	v_mov_b64_e32 v[16:17], s[10:11]
	v_mov_b32_e32 v4, v9
	v_mov_b32_e32 v5, v9
	;; [unrolled: 1-line block ×4, first 2 shown]
	s_branch .LBB56_3
.LBB56_2:                               ;   in Loop: Header=BB56_3 Depth=1
	s_or_b64 exec, exec, s[14:15]
	s_waitcnt vmcnt(0)
	ds_write_b32 v19, v22
	s_waitcnt lgkmcnt(0)
	s_barrier
	ds_read_b128 v[22:25], v21
	ds_read_b128 v[26:29], v21 offset:16
	ds_read2_b32 v[38:39], v20 offset1:16
	ds_read2_b32 v[40:41], v20 offset0:32 offset1:48
	ds_read2_b32 v[42:43], v20 offset0:64 offset1:80
	;; [unrolled: 1-line block ×4, first 2 shown]
	ds_read_b128 v[30:33], v21 offset:512
	ds_read_b128 v[34:37], v21 offset:528
	ds_read2_b32 v[48:49], v20 offset0:160 offset1:176
	ds_read2_b32 v[50:51], v20 offset0:192 offset1:208
	;; [unrolled: 1-line block ×3, first 2 shown]
	s_waitcnt lgkmcnt(9)
	v_pk_fma_f32 v[4:5], v[38:39], v[22:23], v[4:5] op_sel_hi:[1,0,1]
	s_waitcnt lgkmcnt(4)
	v_pk_fma_f32 v[0:1], v[38:39], v[30:31], v[0:1] op_sel_hi:[1,0,1]
	v_pk_fma_f32 v[4:5], v[40:41], v[22:23], v[4:5] op_sel:[0,1,0]
	v_mov_b32_e32 v22, v25
	v_pk_fma_f32 v[4:5], v[42:43], v[24:25], v[4:5] op_sel_hi:[1,0,1]
	v_pk_fma_f32 v[0:1], v[40:41], v[30:31], v[0:1] op_sel:[0,1,0]
	v_pk_fma_f32 v[4:5], v[44:45], v[22:23], v[4:5] op_sel_hi:[1,0,1]
	v_mov_b32_e32 v22, v29
	v_pk_fma_f32 v[4:5], v[46:47], v[26:27], v[4:5] op_sel_hi:[1,0,1]
	v_pk_fma_f32 v[0:1], v[42:43], v[32:33], v[0:1] op_sel_hi:[1,0,1]
	s_waitcnt lgkmcnt(2)
	v_pk_fma_f32 v[4:5], v[48:49], v[26:27], v[4:5] op_sel:[0,1,0]
	s_add_u32 s12, s12, 8
	s_waitcnt lgkmcnt(1)
	v_pk_fma_f32 v[4:5], v[50:51], v[28:29], v[4:5] op_sel_hi:[1,0,1]
	s_addc_u32 s13, s13, 0
	s_waitcnt lgkmcnt(0)
	v_pk_fma_f32 v[4:5], v[52:53], v[22:23], v[4:5] op_sel_hi:[1,0,1]
	v_mov_b32_e32 v22, v33
	v_pk_fma_f32 v[0:1], v[44:45], v[22:23], v[0:1] op_sel_hi:[1,0,1]
	v_mov_b32_e32 v22, v37
	v_pk_fma_f32 v[0:1], v[46:47], v[34:35], v[0:1] op_sel_hi:[1,0,1]
	v_cmp_lt_i64_e32 vcc, s[12:13], v[16:17]
	v_pk_fma_f32 v[0:1], v[48:49], v[34:35], v[0:1] op_sel:[0,1,0]
	v_lshl_add_u64 v[12:13], v[12:13], 0, s[18:19]
	v_pk_fma_f32 v[0:1], v[50:51], v[36:37], v[0:1] op_sel_hi:[1,0,1]
	v_lshl_add_u64 v[14:15], v[14:15], 0, s[2:3]
	v_pk_fma_f32 v[0:1], v[52:53], v[22:23], v[0:1] op_sel_hi:[1,0,1]
	s_barrier
	s_cbranch_vccz .LBB56_7
.LBB56_3:                               ; =>This Inner Loop Header: Depth=1
	v_lshl_add_u64 v[22:23], v[8:9], 0, s[12:13]
	v_cmp_gt_i64_e32 vcc, s[10:11], v[22:23]
	s_and_b64 s[16:17], s[6:7], vcc
	v_mov_b32_e32 v22, 0
	s_and_saveexec_b64 s[14:15], s[16:17]
	s_cbranch_execz .LBB56_5
; %bb.4:                                ;   in Loop: Header=BB56_3 Depth=1
	global_load_dword v22, v[14:15], off
.LBB56_5:                               ;   in Loop: Header=BB56_3 Depth=1
	s_or_b64 exec, exec, s[14:15]
	s_waitcnt vmcnt(0)
	ds_write_b32 v18, v22
	v_lshl_add_u64 v[22:23], v[10:11], 0, s[12:13]
	v_cmp_gt_i64_e32 vcc, s[10:11], v[22:23]
	s_and_b64 s[16:17], vcc, s[8:9]
	v_mov_b32_e32 v22, 0
	s_and_saveexec_b64 s[14:15], s[16:17]
	s_cbranch_execz .LBB56_2
; %bb.6:                                ;   in Loop: Header=BB56_3 Depth=1
	global_load_dword v22, v[12:13], off
	s_branch .LBB56_2
.LBB56_7:
	s_load_dwordx4 s[16:19], s[0:1], 0x78
	s_load_dword s24, s[0:1], 0x18
	s_load_dword s25, s[0:1], 0x50
	s_load_dwordx8 s[8:15], s[0:1], 0x58
	v_lshl_add_u64 v[6:7], s[30:31], 0, v[6:7]
	s_waitcnt lgkmcnt(0)
	s_mul_i32 s0, s19, s4
	s_mul_hi_u32 s1, s18, s4
	s_add_i32 s1, s1, s0
	s_mul_i32 s0, s18, s4
	s_lshl_b64 s[0:1], s[0:1], 2
	s_add_u32 s14, s14, s0
	v_cmp_neq_f32_e64 s[2:3], s25, 0
	s_addc_u32 s15, s15, s1
	v_cmp_gt_i64_e64 s[0:1], s[22:23], v[6:7]
	s_and_b64 vcc, exec, s[2:3]
	s_cbranch_vccnz .LBB56_20
; %bb.8:
	s_and_saveexec_b64 s[18:19], s[0:1]
	s_cbranch_execz .LBB56_18
; %bb.9:
	v_mul_lo_u32 v12, v7, s16
	v_mul_lo_u32 v13, v6, s17
	v_mad_u64_u32 v[10:11], s[2:3], v6, s16, 0
	v_add3_u32 v11, v11, v13, v12
	v_lshl_add_u64 v[8:9], s[28:29], 0, v[2:3]
	v_lshl_add_u64 v[10:11], v[10:11], 2, s[14:15]
	v_cmp_gt_i64_e32 vcc, s[20:21], v[8:9]
	v_lshl_add_u64 v[12:13], v[8:9], 2, v[10:11]
	s_and_saveexec_b64 s[2:3], vcc
	s_cbranch_execz .LBB56_11
; %bb.10:
	v_mul_f32_e32 v14, s24, v4
	global_store_dword v[12:13], v14, off
.LBB56_11:
	s_or_b64 exec, exec, s[2:3]
	v_lshl_add_u64 v[14:15], v[8:9], 0, 16
	v_cmp_gt_i64_e64 s[2:3], s[20:21], v[14:15]
	s_and_saveexec_b64 s[6:7], s[2:3]
	s_cbranch_execz .LBB56_13
; %bb.12:
	v_mul_f32_e32 v14, s24, v5
	global_store_dword v[12:13], v14, off offset:64
.LBB56_13:
	s_or_b64 exec, exec, s[6:7]
	v_lshl_add_u64 v[12:13], v[6:7], 0, 16
	v_cmp_gt_i64_e64 s[6:7], s[22:23], v[12:13]
	s_and_b64 exec, exec, s[6:7]
	s_cbranch_execz .LBB56_18
; %bb.14:
	s_lshl_b64 s[6:7], s[16:17], 6
	v_lshl_add_u64 v[10:11], v[10:11], 0, s[6:7]
	v_lshl_add_u64 v[8:9], v[8:9], 2, v[10:11]
	s_and_saveexec_b64 s[6:7], vcc
	s_cbranch_execz .LBB56_16
; %bb.15:
	v_mul_f32_e32 v10, s24, v0
	global_store_dword v[8:9], v10, off
.LBB56_16:
	s_or_b64 exec, exec, s[6:7]
	s_and_b64 exec, exec, s[2:3]
	s_cbranch_execz .LBB56_18
; %bb.17:
	v_mul_f32_e32 v10, s24, v1
	global_store_dword v[8:9], v10, off offset:64
.LBB56_18:
	s_or_b64 exec, exec, s[18:19]
	s_cbranch_execz .LBB56_21
.LBB56_19:
	s_endpgm
.LBB56_20:
.LBB56_21:
	s_and_saveexec_b64 s[2:3], s[0:1]
	s_cbranch_execz .LBB56_19
; %bb.22:
	s_mul_i32 s0, s13, s4
	s_mul_hi_u32 s1, s12, s4
	s_add_i32 s1, s1, s0
	s_mul_i32 s0, s12, s4
	s_lshl_b64 s[0:1], s[0:1], 2
	v_lshl_add_u64 v[12:13], s[28:29], 0, v[2:3]
	v_mul_lo_u32 v8, v7, s10
	v_mul_lo_u32 v9, v6, s11
	v_mad_u64_u32 v[2:3], s[2:3], v6, s10, 0
	s_add_u32 s0, s8, s0
	v_add3_u32 v3, v3, v9, v8
	v_mul_lo_u32 v10, v7, s16
	v_mul_lo_u32 v11, v6, s17
	v_mad_u64_u32 v[8:9], s[2:3], v6, s16, 0
	s_addc_u32 s1, s9, s1
	v_add3_u32 v9, v9, v11, v10
	v_cmp_gt_i64_e32 vcc, s[20:21], v[12:13]
	v_lshl_add_u64 v[10:11], v[2:3], 2, s[0:1]
	v_lshl_add_u64 v[8:9], v[8:9], 2, s[14:15]
	v_lshlrev_b64 v[2:3], 2, v[12:13]
	s_and_saveexec_b64 s[0:1], vcc
	s_cbranch_execz .LBB56_24
; %bb.23:
	v_lshl_add_u64 v[14:15], v[10:11], 0, v[2:3]
	global_load_dword v15, v[14:15], off
	v_mov_b32_e32 v14, v4
	s_waitcnt vmcnt(0)
	v_pk_mul_f32 v[14:15], s[24:25], v[14:15]
	s_nop 0
	v_add_f32_e32 v4, v14, v15
	v_lshl_add_u64 v[14:15], v[8:9], 0, v[2:3]
	global_store_dword v[14:15], v4, off
.LBB56_24:
	s_or_b64 exec, exec, s[0:1]
	v_lshl_add_u64 v[12:13], v[12:13], 0, 16
	v_cmp_gt_i64_e64 s[0:1], s[20:21], v[12:13]
	s_and_saveexec_b64 s[2:3], s[0:1]
	s_cbranch_execz .LBB56_26
; %bb.25:
	v_lshl_add_u64 v[12:13], v[10:11], 0, v[2:3]
	global_load_dword v13, v[12:13], off offset:64
	v_mov_b32_e32 v12, v5
	s_waitcnt vmcnt(0)
	v_pk_mul_f32 v[4:5], s[24:25], v[12:13]
	s_nop 0
	v_add_f32_e32 v12, v4, v5
	v_lshl_add_u64 v[4:5], v[8:9], 0, v[2:3]
	global_store_dword v[4:5], v12, off offset:64
.LBB56_26:
	s_or_b64 exec, exec, s[2:3]
	v_lshl_add_u64 v[4:5], v[6:7], 0, 16
	v_cmp_gt_i64_e64 s[2:3], s[22:23], v[4:5]
	s_and_b64 exec, exec, s[2:3]
	s_cbranch_execz .LBB56_19
; %bb.27:
	s_lshl_b64 s[2:3], s[10:11], 6
	v_lshl_add_u64 v[4:5], v[10:11], 0, s[2:3]
	s_lshl_b64 s[2:3], s[16:17], 6
	v_lshl_add_u64 v[6:7], v[8:9], 0, s[2:3]
	v_lshl_add_u64 v[4:5], v[4:5], 0, v[2:3]
	;; [unrolled: 1-line block ×3, first 2 shown]
	s_and_saveexec_b64 s[2:3], vcc
	s_cbranch_execz .LBB56_29
; %bb.28:
	global_load_dword v7, v[4:5], off
	v_mov_b32_e32 v6, v0
	s_waitcnt vmcnt(0)
	v_pk_mul_f32 v[6:7], s[24:25], v[6:7]
	s_nop 0
	v_add_f32_e32 v0, v6, v7
	global_store_dword v[2:3], v0, off
.LBB56_29:
	s_or_b64 exec, exec, s[2:3]
	s_and_b64 exec, exec, s[0:1]
	s_cbranch_execz .LBB56_19
; %bb.30:
	global_load_dword v5, v[4:5], off offset:64
	v_mov_b32_e32 v4, v1
	s_waitcnt vmcnt(0)
	v_pk_mul_f32 v[0:1], s[24:25], v[4:5]
	s_nop 0
	v_add_f32_e32 v0, v0, v1
	global_store_dword v[2:3], v0, off offset:64
	s_endpgm
	.section	.rodata,"a",@progbits
	.p2align	6, 0x0
	.amdhsa_kernel _ZN12_GLOBAL__N_135rocblas_gemm_batched_general_kernelIfLi16ELi16ELi32ELi32ELi8ELi32ELi8ELi8ELi32ELc78ELc67EKfS1_fEEvlllT_PT11_llS4_llS2_PT12_llPT13_lli
		.amdhsa_group_segment_fixed_size 2048
		.amdhsa_private_segment_fixed_size 0
		.amdhsa_kernarg_size 140
		.amdhsa_user_sgpr_count 2
		.amdhsa_user_sgpr_dispatch_ptr 0
		.amdhsa_user_sgpr_queue_ptr 0
		.amdhsa_user_sgpr_kernarg_segment_ptr 1
		.amdhsa_user_sgpr_dispatch_id 0
		.amdhsa_user_sgpr_kernarg_preload_length 0
		.amdhsa_user_sgpr_kernarg_preload_offset 0
		.amdhsa_user_sgpr_private_segment_size 0
		.amdhsa_uses_dynamic_stack 0
		.amdhsa_enable_private_segment 0
		.amdhsa_system_sgpr_workgroup_id_x 1
		.amdhsa_system_sgpr_workgroup_id_y 1
		.amdhsa_system_sgpr_workgroup_id_z 1
		.amdhsa_system_sgpr_workgroup_info 0
		.amdhsa_system_vgpr_workitem_id 1
		.amdhsa_next_free_vgpr 54
		.amdhsa_next_free_sgpr 38
		.amdhsa_accum_offset 56
		.amdhsa_reserve_vcc 1
		.amdhsa_float_round_mode_32 0
		.amdhsa_float_round_mode_16_64 0
		.amdhsa_float_denorm_mode_32 3
		.amdhsa_float_denorm_mode_16_64 3
		.amdhsa_dx10_clamp 1
		.amdhsa_ieee_mode 1
		.amdhsa_fp16_overflow 0
		.amdhsa_tg_split 0
		.amdhsa_exception_fp_ieee_invalid_op 0
		.amdhsa_exception_fp_denorm_src 0
		.amdhsa_exception_fp_ieee_div_zero 0
		.amdhsa_exception_fp_ieee_overflow 0
		.amdhsa_exception_fp_ieee_underflow 0
		.amdhsa_exception_fp_ieee_inexact 0
		.amdhsa_exception_int_div_zero 0
	.end_amdhsa_kernel
	.section	.text._ZN12_GLOBAL__N_135rocblas_gemm_batched_general_kernelIfLi16ELi16ELi32ELi32ELi8ELi32ELi8ELi8ELi32ELc78ELc67EKfS1_fEEvlllT_PT11_llS4_llS2_PT12_llPT13_lli,"axG",@progbits,_ZN12_GLOBAL__N_135rocblas_gemm_batched_general_kernelIfLi16ELi16ELi32ELi32ELi8ELi32ELi8ELi8ELi32ELc78ELc67EKfS1_fEEvlllT_PT11_llS4_llS2_PT12_llPT13_lli,comdat
.Lfunc_end56:
	.size	_ZN12_GLOBAL__N_135rocblas_gemm_batched_general_kernelIfLi16ELi16ELi32ELi32ELi8ELi32ELi8ELi8ELi32ELc78ELc67EKfS1_fEEvlllT_PT11_llS4_llS2_PT12_llPT13_lli, .Lfunc_end56-_ZN12_GLOBAL__N_135rocblas_gemm_batched_general_kernelIfLi16ELi16ELi32ELi32ELi8ELi32ELi8ELi8ELi32ELc78ELc67EKfS1_fEEvlllT_PT11_llS4_llS2_PT12_llPT13_lli
                                        ; -- End function
	.set _ZN12_GLOBAL__N_135rocblas_gemm_batched_general_kernelIfLi16ELi16ELi32ELi32ELi8ELi32ELi8ELi8ELi32ELc78ELc67EKfS1_fEEvlllT_PT11_llS4_llS2_PT12_llPT13_lli.num_vgpr, 54
	.set _ZN12_GLOBAL__N_135rocblas_gemm_batched_general_kernelIfLi16ELi16ELi32ELi32ELi8ELi32ELi8ELi8ELi32ELc78ELc67EKfS1_fEEvlllT_PT11_llS4_llS2_PT12_llPT13_lli.num_agpr, 0
	.set _ZN12_GLOBAL__N_135rocblas_gemm_batched_general_kernelIfLi16ELi16ELi32ELi32ELi8ELi32ELi8ELi8ELi32ELc78ELc67EKfS1_fEEvlllT_PT11_llS4_llS2_PT12_llPT13_lli.numbered_sgpr, 38
	.set _ZN12_GLOBAL__N_135rocblas_gemm_batched_general_kernelIfLi16ELi16ELi32ELi32ELi8ELi32ELi8ELi8ELi32ELc78ELc67EKfS1_fEEvlllT_PT11_llS4_llS2_PT12_llPT13_lli.num_named_barrier, 0
	.set _ZN12_GLOBAL__N_135rocblas_gemm_batched_general_kernelIfLi16ELi16ELi32ELi32ELi8ELi32ELi8ELi8ELi32ELc78ELc67EKfS1_fEEvlllT_PT11_llS4_llS2_PT12_llPT13_lli.private_seg_size, 0
	.set _ZN12_GLOBAL__N_135rocblas_gemm_batched_general_kernelIfLi16ELi16ELi32ELi32ELi8ELi32ELi8ELi8ELi32ELc78ELc67EKfS1_fEEvlllT_PT11_llS4_llS2_PT12_llPT13_lli.uses_vcc, 1
	.set _ZN12_GLOBAL__N_135rocblas_gemm_batched_general_kernelIfLi16ELi16ELi32ELi32ELi8ELi32ELi8ELi8ELi32ELc78ELc67EKfS1_fEEvlllT_PT11_llS4_llS2_PT12_llPT13_lli.uses_flat_scratch, 0
	.set _ZN12_GLOBAL__N_135rocblas_gemm_batched_general_kernelIfLi16ELi16ELi32ELi32ELi8ELi32ELi8ELi8ELi32ELc78ELc67EKfS1_fEEvlllT_PT11_llS4_llS2_PT12_llPT13_lli.has_dyn_sized_stack, 0
	.set _ZN12_GLOBAL__N_135rocblas_gemm_batched_general_kernelIfLi16ELi16ELi32ELi32ELi8ELi32ELi8ELi8ELi32ELc78ELc67EKfS1_fEEvlllT_PT11_llS4_llS2_PT12_llPT13_lli.has_recursion, 0
	.set _ZN12_GLOBAL__N_135rocblas_gemm_batched_general_kernelIfLi16ELi16ELi32ELi32ELi8ELi32ELi8ELi8ELi32ELc78ELc67EKfS1_fEEvlllT_PT11_llS4_llS2_PT12_llPT13_lli.has_indirect_call, 0
	.section	.AMDGPU.csdata,"",@progbits
; Kernel info:
; codeLenInByte = 1640
; TotalNumSgprs: 44
; NumVgprs: 54
; NumAgprs: 0
; TotalNumVgprs: 54
; ScratchSize: 0
; MemoryBound: 0
; FloatMode: 240
; IeeeMode: 1
; LDSByteSize: 2048 bytes/workgroup (compile time only)
; SGPRBlocks: 5
; VGPRBlocks: 6
; NumSGPRsForWavesPerEU: 44
; NumVGPRsForWavesPerEU: 54
; AccumOffset: 56
; Occupancy: 8
; WaveLimiterHint : 0
; COMPUTE_PGM_RSRC2:SCRATCH_EN: 0
; COMPUTE_PGM_RSRC2:USER_SGPR: 2
; COMPUTE_PGM_RSRC2:TRAP_HANDLER: 0
; COMPUTE_PGM_RSRC2:TGID_X_EN: 1
; COMPUTE_PGM_RSRC2:TGID_Y_EN: 1
; COMPUTE_PGM_RSRC2:TGID_Z_EN: 1
; COMPUTE_PGM_RSRC2:TIDIG_COMP_CNT: 1
; COMPUTE_PGM_RSRC3_GFX90A:ACCUM_OFFSET: 13
; COMPUTE_PGM_RSRC3_GFX90A:TG_SPLIT: 0
	.section	.text._ZN12_GLOBAL__N_135rocblas_gemm_batched_general_kernelIfLi16ELi16ELi32ELi32ELi8ELi32ELi8ELi8ELi32ELc84ELc67EKfS1_fEEvlllT_PT11_llS4_llS2_PT12_llPT13_lli,"axG",@progbits,_ZN12_GLOBAL__N_135rocblas_gemm_batched_general_kernelIfLi16ELi16ELi32ELi32ELi8ELi32ELi8ELi8ELi32ELc84ELc67EKfS1_fEEvlllT_PT11_llS4_llS2_PT12_llPT13_lli,comdat
	.globl	_ZN12_GLOBAL__N_135rocblas_gemm_batched_general_kernelIfLi16ELi16ELi32ELi32ELi8ELi32ELi8ELi8ELi32ELc84ELc67EKfS1_fEEvlllT_PT11_llS4_llS2_PT12_llPT13_lli ; -- Begin function _ZN12_GLOBAL__N_135rocblas_gemm_batched_general_kernelIfLi16ELi16ELi32ELi32ELi8ELi32ELi8ELi8ELi32ELc84ELc67EKfS1_fEEvlllT_PT11_llS4_llS2_PT12_llPT13_lli
	.p2align	8
	.type	_ZN12_GLOBAL__N_135rocblas_gemm_batched_general_kernelIfLi16ELi16ELi32ELi32ELi8ELi32ELi8ELi8ELi32ELc84ELc67EKfS1_fEEvlllT_PT11_llS4_llS2_PT12_llPT13_lli,@function
_ZN12_GLOBAL__N_135rocblas_gemm_batched_general_kernelIfLi16ELi16ELi32ELi32ELi8ELi32ELi8ELi8ELi32ELc84ELc67EKfS1_fEEvlllT_PT11_llS4_llS2_PT12_llPT13_lli: ; @_ZN12_GLOBAL__N_135rocblas_gemm_batched_general_kernelIfLi16ELi16ELi32ELi32ELi8ELi32ELi8ELi8ELi32ELc84ELc67EKfS1_fEEvlllT_PT11_llS4_llS2_PT12_llPT13_lli
; %bb.0:
	s_load_dwordx4 s[16:19], s[0:1], 0x0
	s_load_dwordx2 s[28:29], s[0:1], 0x10
	s_mov_b32 s30, s3
	s_ashr_i32 s3, s2, 31
	v_mov_b32_e32 v7, 0
	s_lshl_b64 s[24:25], s[2:3], 5
	s_ashr_i32 s31, s30, 31
	s_waitcnt lgkmcnt(0)
	v_cmp_lt_i64_e64 s[2:3], s[28:29], 1
	v_and_b32_e32 v2, 0x3ff, v0
	v_bfe_u32 v6, v0, 10, 10
	v_mov_b32_e32 v3, v7
	s_lshl_b64 s[26:27], s[30:31], 5
	s_and_b64 vcc, exec, s[2:3]
	v_mov_b32_e32 v5, v7
	v_mov_b32_e32 v4, v7
	;; [unrolled: 1-line block ×4, first 2 shown]
	s_cbranch_vccnz .LBB57_7
; %bb.1:
	s_load_dwordx8 s[8:15], s[0:1], 0x20
	s_load_dwordx4 s[20:23], s[0:1], 0x40
	v_lshl_add_u32 v12, v6, 4, v2
	v_mov_b32_e32 v9, 0
	v_lshrrev_b32_e32 v0, 3, v12
	v_mov_b32_e32 v1, v9
	v_and_b32_e32 v10, 7, v2
	v_lshl_add_u64 v[4:5], v[0:1], 0, s[26:27]
	v_and_b32_e32 v14, 31, v12
	s_waitcnt lgkmcnt(0)
	s_mul_i32 s5, s23, s4
	s_mul_hi_u32 s23, s22, s4
	v_lshrrev_b32_e32 v8, 5, v12
	v_or_b32_e32 v12, s24, v14
	v_mov_b32_e32 v13, s25
	v_lshlrev_b32_e32 v1, 2, v14
	v_cmp_gt_i64_e64 s[6:7], s[18:19], v[4:5]
	s_add_i32 s23, s23, s5
	s_mul_i32 s22, s22, s4
	v_mad_u64_u32 v[4:5], s[34:35], s20, v10, 0
	v_cmp_gt_i64_e64 s[2:3], s[16:17], v[12:13]
	v_lshl_or_b32 v18, v8, 7, v1
	v_lshlrev_b32_e32 v1, 2, v10
	s_lshl_b64 s[22:23], s[22:23], 2
	v_mov_b32_e32 v12, v5
	s_lshl_b64 s[30:31], s[30:31], 7
	v_lshl_or_b32 v1, v0, 5, v1
	v_mad_u64_u32 v[12:13], s[34:35], s21, v10, v[12:13]
	s_add_u32 s22, s30, s22
	v_add_u32_e32 v19, 0x400, v1
	v_mov_b32_e32 v1, 0x400
	v_mov_b32_e32 v5, v12
	s_addc_u32 s23, s31, s23
	v_lshl_add_u32 v21, v6, 5, v1
	v_lshl_add_u64 v[4:5], v[4:5], 2, s[22:23]
	v_lshlrev_b32_e32 v0, 2, v0
	v_mov_b32_e32 v1, v9
	v_mov_b32_e32 v15, v9
	v_lshl_add_u64 v[0:1], v[4:5], 0, v[0:1]
	v_lshl_add_u64 v[12:13], s[14:15], 0, v[0:1]
	;; [unrolled: 1-line block ×3, first 2 shown]
	v_mul_lo_u32 v4, s11, v0
	v_mul_lo_u32 v5, s10, v1
	v_mad_u64_u32 v[0:1], s[10:11], s10, v0, 0
	s_mul_i32 s5, s13, s4
	s_mul_hi_u32 s10, s12, s4
	s_add_i32 s11, s10, s5
	s_mul_i32 s10, s12, s4
	v_add3_u32 v1, v1, v5, v4
	s_lshl_b64 s[10:11], s[10:11], 2
	v_lshl_add_u64 v[0:1], v[0:1], 2, s[10:11]
	v_lshlrev_b32_e32 v4, 2, v8
	v_mov_b32_e32 v5, v9
	v_lshl_add_u64 v[0:1], v[0:1], 0, v[4:5]
	v_mov_b32_e32 v11, v9
	v_lshlrev_b32_e32 v20, 2, v2
	s_lshl_b64 s[14:15], s[20:21], 5
	v_lshl_add_u64 v[14:15], s[8:9], 0, v[0:1]
	s_mov_b64 s[8:9], 0
	v_mov_b64_e32 v[16:17], s[28:29]
	v_mov_b32_e32 v4, v9
	v_mov_b32_e32 v0, v9
	;; [unrolled: 1-line block ×3, first 2 shown]
	s_branch .LBB57_3
.LBB57_2:                               ;   in Loop: Header=BB57_3 Depth=1
	s_or_b64 exec, exec, s[10:11]
	s_waitcnt vmcnt(0)
	ds_write_b32 v19, v22
	s_waitcnt lgkmcnt(0)
	s_barrier
	ds_read_b128 v[22:25], v21
	ds_read_b128 v[26:29], v21 offset:16
	ds_read2_b32 v[38:39], v20 offset1:16
	ds_read2_b32 v[40:41], v20 offset0:32 offset1:48
	ds_read2_b32 v[42:43], v20 offset0:64 offset1:80
	;; [unrolled: 1-line block ×4, first 2 shown]
	ds_read_b128 v[30:33], v21 offset:512
	ds_read_b128 v[34:37], v21 offset:528
	ds_read2_b32 v[48:49], v20 offset0:160 offset1:176
	ds_read2_b32 v[50:51], v20 offset0:192 offset1:208
	;; [unrolled: 1-line block ×3, first 2 shown]
	s_waitcnt lgkmcnt(9)
	v_pk_fma_f32 v[4:5], v[38:39], v[22:23], v[4:5] op_sel_hi:[1,0,1]
	s_waitcnt lgkmcnt(4)
	v_pk_fma_f32 v[0:1], v[38:39], v[30:31], v[0:1] op_sel_hi:[1,0,1]
	v_pk_fma_f32 v[4:5], v[40:41], v[22:23], v[4:5] op_sel:[0,1,0]
	v_mov_b32_e32 v22, v25
	v_pk_fma_f32 v[4:5], v[42:43], v[24:25], v[4:5] op_sel_hi:[1,0,1]
	v_pk_fma_f32 v[0:1], v[40:41], v[30:31], v[0:1] op_sel:[0,1,0]
	v_pk_fma_f32 v[4:5], v[44:45], v[22:23], v[4:5] op_sel_hi:[1,0,1]
	v_mov_b32_e32 v22, v29
	v_pk_fma_f32 v[4:5], v[46:47], v[26:27], v[4:5] op_sel_hi:[1,0,1]
	v_pk_fma_f32 v[0:1], v[42:43], v[32:33], v[0:1] op_sel_hi:[1,0,1]
	s_waitcnt lgkmcnt(2)
	v_pk_fma_f32 v[4:5], v[48:49], v[26:27], v[4:5] op_sel:[0,1,0]
	s_add_u32 s8, s8, 8
	s_waitcnt lgkmcnt(1)
	v_pk_fma_f32 v[4:5], v[50:51], v[28:29], v[4:5] op_sel_hi:[1,0,1]
	s_addc_u32 s9, s9, 0
	s_waitcnt lgkmcnt(0)
	v_pk_fma_f32 v[4:5], v[52:53], v[22:23], v[4:5] op_sel_hi:[1,0,1]
	v_mov_b32_e32 v22, v33
	v_pk_fma_f32 v[0:1], v[44:45], v[22:23], v[0:1] op_sel_hi:[1,0,1]
	v_mov_b32_e32 v22, v37
	v_pk_fma_f32 v[0:1], v[46:47], v[34:35], v[0:1] op_sel_hi:[1,0,1]
	v_cmp_lt_i64_e32 vcc, s[8:9], v[16:17]
	v_pk_fma_f32 v[0:1], v[48:49], v[34:35], v[0:1] op_sel:[0,1,0]
	v_lshl_add_u64 v[12:13], v[12:13], 0, s[14:15]
	v_pk_fma_f32 v[0:1], v[50:51], v[36:37], v[0:1] op_sel_hi:[1,0,1]
	v_lshl_add_u64 v[14:15], v[14:15], 0, 32
	v_pk_fma_f32 v[0:1], v[52:53], v[22:23], v[0:1] op_sel_hi:[1,0,1]
	s_barrier
	s_cbranch_vccz .LBB57_7
.LBB57_3:                               ; =>This Inner Loop Header: Depth=1
	v_lshl_add_u64 v[22:23], v[8:9], 0, s[8:9]
	v_cmp_gt_i64_e32 vcc, s[28:29], v[22:23]
	s_and_b64 s[12:13], s[2:3], vcc
	v_mov_b32_e32 v22, 0
	s_and_saveexec_b64 s[10:11], s[12:13]
	s_cbranch_execz .LBB57_5
; %bb.4:                                ;   in Loop: Header=BB57_3 Depth=1
	global_load_dword v22, v[14:15], off
.LBB57_5:                               ;   in Loop: Header=BB57_3 Depth=1
	s_or_b64 exec, exec, s[10:11]
	s_waitcnt vmcnt(0)
	ds_write_b32 v18, v22
	v_lshl_add_u64 v[22:23], v[10:11], 0, s[8:9]
	v_cmp_gt_i64_e32 vcc, s[28:29], v[22:23]
	s_and_b64 s[12:13], vcc, s[6:7]
	v_mov_b32_e32 v22, 0
	s_and_saveexec_b64 s[10:11], s[12:13]
	s_cbranch_execz .LBB57_2
; %bb.6:                                ;   in Loop: Header=BB57_3 Depth=1
	global_load_dword v22, v[12:13], off
	s_branch .LBB57_2
.LBB57_7:
	s_load_dwordx4 s[20:23], s[0:1], 0x78
	s_load_dword s28, s[0:1], 0x18
	s_load_dword s29, s[0:1], 0x50
	s_load_dwordx8 s[8:15], s[0:1], 0x58
	v_lshl_add_u64 v[6:7], s[26:27], 0, v[6:7]
	s_waitcnt lgkmcnt(0)
	s_mul_i32 s0, s23, s4
	s_mul_hi_u32 s1, s22, s4
	s_add_i32 s1, s1, s0
	s_mul_i32 s0, s22, s4
	s_lshl_b64 s[0:1], s[0:1], 2
	s_add_u32 s14, s14, s0
	v_cmp_neq_f32_e64 s[2:3], s29, 0
	s_addc_u32 s15, s15, s1
	v_cmp_gt_i64_e64 s[0:1], s[18:19], v[6:7]
	s_and_b64 vcc, exec, s[2:3]
	s_cbranch_vccnz .LBB57_20
; %bb.8:
	s_and_saveexec_b64 s[22:23], s[0:1]
	s_cbranch_execz .LBB57_18
; %bb.9:
	v_mul_lo_u32 v12, v7, s20
	v_mul_lo_u32 v13, v6, s21
	v_mad_u64_u32 v[10:11], s[2:3], v6, s20, 0
	v_add3_u32 v11, v11, v13, v12
	v_lshl_add_u64 v[8:9], s[24:25], 0, v[2:3]
	v_lshl_add_u64 v[10:11], v[10:11], 2, s[14:15]
	v_cmp_gt_i64_e32 vcc, s[16:17], v[8:9]
	v_lshl_add_u64 v[12:13], v[8:9], 2, v[10:11]
	s_and_saveexec_b64 s[2:3], vcc
	s_cbranch_execz .LBB57_11
; %bb.10:
	v_mul_f32_e32 v14, s28, v4
	global_store_dword v[12:13], v14, off
.LBB57_11:
	s_or_b64 exec, exec, s[2:3]
	v_lshl_add_u64 v[14:15], v[8:9], 0, 16
	v_cmp_gt_i64_e64 s[2:3], s[16:17], v[14:15]
	s_and_saveexec_b64 s[6:7], s[2:3]
	s_cbranch_execz .LBB57_13
; %bb.12:
	v_mul_f32_e32 v14, s28, v5
	global_store_dword v[12:13], v14, off offset:64
.LBB57_13:
	s_or_b64 exec, exec, s[6:7]
	v_lshl_add_u64 v[12:13], v[6:7], 0, 16
	v_cmp_gt_i64_e64 s[6:7], s[18:19], v[12:13]
	s_and_b64 exec, exec, s[6:7]
	s_cbranch_execz .LBB57_18
; %bb.14:
	s_lshl_b64 s[6:7], s[20:21], 6
	v_lshl_add_u64 v[10:11], v[10:11], 0, s[6:7]
	v_lshl_add_u64 v[8:9], v[8:9], 2, v[10:11]
	s_and_saveexec_b64 s[6:7], vcc
	s_cbranch_execz .LBB57_16
; %bb.15:
	v_mul_f32_e32 v10, s28, v0
	global_store_dword v[8:9], v10, off
.LBB57_16:
	s_or_b64 exec, exec, s[6:7]
	s_and_b64 exec, exec, s[2:3]
	s_cbranch_execz .LBB57_18
; %bb.17:
	v_mul_f32_e32 v10, s28, v1
	global_store_dword v[8:9], v10, off offset:64
.LBB57_18:
	s_or_b64 exec, exec, s[22:23]
	s_cbranch_execz .LBB57_21
.LBB57_19:
	s_endpgm
.LBB57_20:
.LBB57_21:
	s_and_saveexec_b64 s[2:3], s[0:1]
	s_cbranch_execz .LBB57_19
; %bb.22:
	s_mul_i32 s0, s13, s4
	s_mul_hi_u32 s1, s12, s4
	s_add_i32 s1, s1, s0
	s_mul_i32 s0, s12, s4
	s_lshl_b64 s[0:1], s[0:1], 2
	v_lshl_add_u64 v[12:13], s[24:25], 0, v[2:3]
	v_mul_lo_u32 v8, v7, s10
	v_mul_lo_u32 v9, v6, s11
	v_mad_u64_u32 v[2:3], s[2:3], v6, s10, 0
	s_add_u32 s0, s8, s0
	v_add3_u32 v3, v3, v9, v8
	v_mul_lo_u32 v10, v7, s20
	v_mul_lo_u32 v11, v6, s21
	v_mad_u64_u32 v[8:9], s[2:3], v6, s20, 0
	s_addc_u32 s1, s9, s1
	v_add3_u32 v9, v9, v11, v10
	v_cmp_gt_i64_e32 vcc, s[16:17], v[12:13]
	v_lshl_add_u64 v[10:11], v[2:3], 2, s[0:1]
	v_lshl_add_u64 v[8:9], v[8:9], 2, s[14:15]
	v_lshlrev_b64 v[2:3], 2, v[12:13]
	s_and_saveexec_b64 s[0:1], vcc
	s_cbranch_execz .LBB57_24
; %bb.23:
	v_lshl_add_u64 v[14:15], v[10:11], 0, v[2:3]
	global_load_dword v15, v[14:15], off
	v_mov_b32_e32 v14, v4
	s_waitcnt vmcnt(0)
	v_pk_mul_f32 v[14:15], s[28:29], v[14:15]
	s_nop 0
	v_add_f32_e32 v4, v14, v15
	v_lshl_add_u64 v[14:15], v[8:9], 0, v[2:3]
	global_store_dword v[14:15], v4, off
.LBB57_24:
	s_or_b64 exec, exec, s[0:1]
	v_lshl_add_u64 v[12:13], v[12:13], 0, 16
	v_cmp_gt_i64_e64 s[0:1], s[16:17], v[12:13]
	s_and_saveexec_b64 s[2:3], s[0:1]
	s_cbranch_execz .LBB57_26
; %bb.25:
	v_lshl_add_u64 v[12:13], v[10:11], 0, v[2:3]
	global_load_dword v13, v[12:13], off offset:64
	v_mov_b32_e32 v12, v5
	s_waitcnt vmcnt(0)
	v_pk_mul_f32 v[4:5], s[28:29], v[12:13]
	s_nop 0
	v_add_f32_e32 v12, v4, v5
	v_lshl_add_u64 v[4:5], v[8:9], 0, v[2:3]
	global_store_dword v[4:5], v12, off offset:64
.LBB57_26:
	s_or_b64 exec, exec, s[2:3]
	v_lshl_add_u64 v[4:5], v[6:7], 0, 16
	v_cmp_gt_i64_e64 s[2:3], s[18:19], v[4:5]
	s_and_b64 exec, exec, s[2:3]
	s_cbranch_execz .LBB57_19
; %bb.27:
	s_lshl_b64 s[2:3], s[10:11], 6
	v_lshl_add_u64 v[4:5], v[10:11], 0, s[2:3]
	s_lshl_b64 s[2:3], s[20:21], 6
	v_lshl_add_u64 v[6:7], v[8:9], 0, s[2:3]
	v_lshl_add_u64 v[4:5], v[4:5], 0, v[2:3]
	;; [unrolled: 1-line block ×3, first 2 shown]
	s_and_saveexec_b64 s[2:3], vcc
	s_cbranch_execz .LBB57_29
; %bb.28:
	global_load_dword v7, v[4:5], off
	v_mov_b32_e32 v6, v0
	s_waitcnt vmcnt(0)
	v_pk_mul_f32 v[6:7], s[28:29], v[6:7]
	s_nop 0
	v_add_f32_e32 v0, v6, v7
	global_store_dword v[2:3], v0, off
.LBB57_29:
	s_or_b64 exec, exec, s[2:3]
	s_and_b64 exec, exec, s[0:1]
	s_cbranch_execz .LBB57_19
; %bb.30:
	global_load_dword v5, v[4:5], off offset:64
	v_mov_b32_e32 v4, v1
	s_waitcnt vmcnt(0)
	v_pk_mul_f32 v[0:1], s[28:29], v[4:5]
	s_nop 0
	v_add_f32_e32 v0, v0, v1
	global_store_dword v[2:3], v0, off offset:64
	s_endpgm
	.section	.rodata,"a",@progbits
	.p2align	6, 0x0
	.amdhsa_kernel _ZN12_GLOBAL__N_135rocblas_gemm_batched_general_kernelIfLi16ELi16ELi32ELi32ELi8ELi32ELi8ELi8ELi32ELc84ELc67EKfS1_fEEvlllT_PT11_llS4_llS2_PT12_llPT13_lli
		.amdhsa_group_segment_fixed_size 2048
		.amdhsa_private_segment_fixed_size 0
		.amdhsa_kernarg_size 140
		.amdhsa_user_sgpr_count 2
		.amdhsa_user_sgpr_dispatch_ptr 0
		.amdhsa_user_sgpr_queue_ptr 0
		.amdhsa_user_sgpr_kernarg_segment_ptr 1
		.amdhsa_user_sgpr_dispatch_id 0
		.amdhsa_user_sgpr_kernarg_preload_length 0
		.amdhsa_user_sgpr_kernarg_preload_offset 0
		.amdhsa_user_sgpr_private_segment_size 0
		.amdhsa_uses_dynamic_stack 0
		.amdhsa_enable_private_segment 0
		.amdhsa_system_sgpr_workgroup_id_x 1
		.amdhsa_system_sgpr_workgroup_id_y 1
		.amdhsa_system_sgpr_workgroup_id_z 1
		.amdhsa_system_sgpr_workgroup_info 0
		.amdhsa_system_vgpr_workitem_id 1
		.amdhsa_next_free_vgpr 54
		.amdhsa_next_free_sgpr 36
		.amdhsa_accum_offset 56
		.amdhsa_reserve_vcc 1
		.amdhsa_float_round_mode_32 0
		.amdhsa_float_round_mode_16_64 0
		.amdhsa_float_denorm_mode_32 3
		.amdhsa_float_denorm_mode_16_64 3
		.amdhsa_dx10_clamp 1
		.amdhsa_ieee_mode 1
		.amdhsa_fp16_overflow 0
		.amdhsa_tg_split 0
		.amdhsa_exception_fp_ieee_invalid_op 0
		.amdhsa_exception_fp_denorm_src 0
		.amdhsa_exception_fp_ieee_div_zero 0
		.amdhsa_exception_fp_ieee_overflow 0
		.amdhsa_exception_fp_ieee_underflow 0
		.amdhsa_exception_fp_ieee_inexact 0
		.amdhsa_exception_int_div_zero 0
	.end_amdhsa_kernel
	.section	.text._ZN12_GLOBAL__N_135rocblas_gemm_batched_general_kernelIfLi16ELi16ELi32ELi32ELi8ELi32ELi8ELi8ELi32ELc84ELc67EKfS1_fEEvlllT_PT11_llS4_llS2_PT12_llPT13_lli,"axG",@progbits,_ZN12_GLOBAL__N_135rocblas_gemm_batched_general_kernelIfLi16ELi16ELi32ELi32ELi8ELi32ELi8ELi8ELi32ELc84ELc67EKfS1_fEEvlllT_PT11_llS4_llS2_PT12_llPT13_lli,comdat
.Lfunc_end57:
	.size	_ZN12_GLOBAL__N_135rocblas_gemm_batched_general_kernelIfLi16ELi16ELi32ELi32ELi8ELi32ELi8ELi8ELi32ELc84ELc67EKfS1_fEEvlllT_PT11_llS4_llS2_PT12_llPT13_lli, .Lfunc_end57-_ZN12_GLOBAL__N_135rocblas_gemm_batched_general_kernelIfLi16ELi16ELi32ELi32ELi8ELi32ELi8ELi8ELi32ELc84ELc67EKfS1_fEEvlllT_PT11_llS4_llS2_PT12_llPT13_lli
                                        ; -- End function
	.set _ZN12_GLOBAL__N_135rocblas_gemm_batched_general_kernelIfLi16ELi16ELi32ELi32ELi8ELi32ELi8ELi8ELi32ELc84ELc67EKfS1_fEEvlllT_PT11_llS4_llS2_PT12_llPT13_lli.num_vgpr, 54
	.set _ZN12_GLOBAL__N_135rocblas_gemm_batched_general_kernelIfLi16ELi16ELi32ELi32ELi8ELi32ELi8ELi8ELi32ELc84ELc67EKfS1_fEEvlllT_PT11_llS4_llS2_PT12_llPT13_lli.num_agpr, 0
	.set _ZN12_GLOBAL__N_135rocblas_gemm_batched_general_kernelIfLi16ELi16ELi32ELi32ELi8ELi32ELi8ELi8ELi32ELc84ELc67EKfS1_fEEvlllT_PT11_llS4_llS2_PT12_llPT13_lli.numbered_sgpr, 36
	.set _ZN12_GLOBAL__N_135rocblas_gemm_batched_general_kernelIfLi16ELi16ELi32ELi32ELi8ELi32ELi8ELi8ELi32ELc84ELc67EKfS1_fEEvlllT_PT11_llS4_llS2_PT12_llPT13_lli.num_named_barrier, 0
	.set _ZN12_GLOBAL__N_135rocblas_gemm_batched_general_kernelIfLi16ELi16ELi32ELi32ELi8ELi32ELi8ELi8ELi32ELc84ELc67EKfS1_fEEvlllT_PT11_llS4_llS2_PT12_llPT13_lli.private_seg_size, 0
	.set _ZN12_GLOBAL__N_135rocblas_gemm_batched_general_kernelIfLi16ELi16ELi32ELi32ELi8ELi32ELi8ELi8ELi32ELc84ELc67EKfS1_fEEvlllT_PT11_llS4_llS2_PT12_llPT13_lli.uses_vcc, 1
	.set _ZN12_GLOBAL__N_135rocblas_gemm_batched_general_kernelIfLi16ELi16ELi32ELi32ELi8ELi32ELi8ELi8ELi32ELc84ELc67EKfS1_fEEvlllT_PT11_llS4_llS2_PT12_llPT13_lli.uses_flat_scratch, 0
	.set _ZN12_GLOBAL__N_135rocblas_gemm_batched_general_kernelIfLi16ELi16ELi32ELi32ELi8ELi32ELi8ELi8ELi32ELc84ELc67EKfS1_fEEvlllT_PT11_llS4_llS2_PT12_llPT13_lli.has_dyn_sized_stack, 0
	.set _ZN12_GLOBAL__N_135rocblas_gemm_batched_general_kernelIfLi16ELi16ELi32ELi32ELi8ELi32ELi8ELi8ELi32ELc84ELc67EKfS1_fEEvlllT_PT11_llS4_llS2_PT12_llPT13_lli.has_recursion, 0
	.set _ZN12_GLOBAL__N_135rocblas_gemm_batched_general_kernelIfLi16ELi16ELi32ELi32ELi8ELi32ELi8ELi8ELi32ELc84ELc67EKfS1_fEEvlllT_PT11_llS4_llS2_PT12_llPT13_lli.has_indirect_call, 0
	.section	.AMDGPU.csdata,"",@progbits
; Kernel info:
; codeLenInByte = 1644
; TotalNumSgprs: 42
; NumVgprs: 54
; NumAgprs: 0
; TotalNumVgprs: 54
; ScratchSize: 0
; MemoryBound: 0
; FloatMode: 240
; IeeeMode: 1
; LDSByteSize: 2048 bytes/workgroup (compile time only)
; SGPRBlocks: 5
; VGPRBlocks: 6
; NumSGPRsForWavesPerEU: 42
; NumVGPRsForWavesPerEU: 54
; AccumOffset: 56
; Occupancy: 8
; WaveLimiterHint : 0
; COMPUTE_PGM_RSRC2:SCRATCH_EN: 0
; COMPUTE_PGM_RSRC2:USER_SGPR: 2
; COMPUTE_PGM_RSRC2:TRAP_HANDLER: 0
; COMPUTE_PGM_RSRC2:TGID_X_EN: 1
; COMPUTE_PGM_RSRC2:TGID_Y_EN: 1
; COMPUTE_PGM_RSRC2:TGID_Z_EN: 1
; COMPUTE_PGM_RSRC2:TIDIG_COMP_CNT: 1
; COMPUTE_PGM_RSRC3_GFX90A:ACCUM_OFFSET: 13
; COMPUTE_PGM_RSRC3_GFX90A:TG_SPLIT: 0
	.section	.text._ZN12_GLOBAL__N_125rocblas_gemm_scale_kernelILi32ELi32EdPdEEviiT1_T2_llli,"axG",@progbits,_ZN12_GLOBAL__N_125rocblas_gemm_scale_kernelILi32ELi32EdPdEEviiT1_T2_llli,comdat
	.globl	_ZN12_GLOBAL__N_125rocblas_gemm_scale_kernelILi32ELi32EdPdEEviiT1_T2_llli ; -- Begin function _ZN12_GLOBAL__N_125rocblas_gemm_scale_kernelILi32ELi32EdPdEEviiT1_T2_llli
	.p2align	8
	.type	_ZN12_GLOBAL__N_125rocblas_gemm_scale_kernelILi32ELi32EdPdEEviiT1_T2_llli,@function
_ZN12_GLOBAL__N_125rocblas_gemm_scale_kernelILi32ELi32EdPdEEviiT1_T2_llli: ; @_ZN12_GLOBAL__N_125rocblas_gemm_scale_kernelILi32ELi32EdPdEEviiT1_T2_llli
; %bb.0:
	s_load_dwordx2 s[6:7], s[0:1], 0x0
	v_and_b32_e32 v1, 0x3ff, v0
	v_bfe_u32 v0, v0, 10, 10
	v_lshl_add_u32 v2, s2, 5, v1
	v_lshl_add_u32 v3, s3, 5, v0
	s_waitcnt lgkmcnt(0)
	v_cmp_gt_u32_e32 vcc, s6, v2
	v_cmp_gt_u32_e64 s[2:3], s7, v3
	s_and_b64 s[2:3], vcc, s[2:3]
	s_and_saveexec_b64 s[6:7], s[2:3]
	s_cbranch_execz .LBB58_4
; %bb.1:
	s_load_dwordx2 s[2:3], s[0:1], 0x28
	s_load_dwordx8 s[8:15], s[0:1], 0x8
	v_mov_b64_e32 v[0:1], 0
	s_waitcnt lgkmcnt(0)
	s_mul_i32 s1, s3, s4
	s_mul_hi_u32 s3, s2, s4
	s_mul_i32 s0, s2, s4
	s_add_i32 s1, s3, s1
	s_lshl_b64 s[0:1], s[0:1], 3
	s_add_u32 s2, s10, s0
	v_mad_u64_u32 v[4:5], s[4:5], s14, v3, 0
	s_addc_u32 s3, s11, s1
	s_lshl_b64 s[0:1], s[12:13], 3
	v_mov_b32_e32 v6, v5
	s_add_u32 s0, s2, s0
	v_mad_u64_u32 v[6:7], s[4:5], s15, v3, v[6:7]
	s_addc_u32 s1, s3, s1
	v_cmp_eq_f64_e64 s[2:3], s[8:9], 0
	v_mov_b32_e32 v5, v6
	v_mov_b32_e32 v3, 0
	s_and_b64 vcc, exec, s[2:3]
	v_lshl_add_u64 v[4:5], v[4:5], 3, s[0:1]
	s_cbranch_vccnz .LBB58_3
; %bb.2:
	v_lshl_add_u64 v[0:1], v[2:3], 3, v[4:5]
	global_load_dwordx2 v[0:1], v[0:1], off
	s_waitcnt vmcnt(0)
	v_mul_f64 v[0:1], s[8:9], v[0:1]
.LBB58_3:
	v_lshl_add_u64 v[2:3], v[2:3], 3, v[4:5]
	global_store_dwordx2 v[2:3], v[0:1], off
.LBB58_4:
	s_endpgm
	.section	.rodata,"a",@progbits
	.p2align	6, 0x0
	.amdhsa_kernel _ZN12_GLOBAL__N_125rocblas_gemm_scale_kernelILi32ELi32EdPdEEviiT1_T2_llli
		.amdhsa_group_segment_fixed_size 0
		.amdhsa_private_segment_fixed_size 0
		.amdhsa_kernarg_size 52
		.amdhsa_user_sgpr_count 2
		.amdhsa_user_sgpr_dispatch_ptr 0
		.amdhsa_user_sgpr_queue_ptr 0
		.amdhsa_user_sgpr_kernarg_segment_ptr 1
		.amdhsa_user_sgpr_dispatch_id 0
		.amdhsa_user_sgpr_kernarg_preload_length 0
		.amdhsa_user_sgpr_kernarg_preload_offset 0
		.amdhsa_user_sgpr_private_segment_size 0
		.amdhsa_uses_dynamic_stack 0
		.amdhsa_enable_private_segment 0
		.amdhsa_system_sgpr_workgroup_id_x 1
		.amdhsa_system_sgpr_workgroup_id_y 1
		.amdhsa_system_sgpr_workgroup_id_z 1
		.amdhsa_system_sgpr_workgroup_info 0
		.amdhsa_system_vgpr_workitem_id 1
		.amdhsa_next_free_vgpr 8
		.amdhsa_next_free_sgpr 16
		.amdhsa_accum_offset 8
		.amdhsa_reserve_vcc 1
		.amdhsa_float_round_mode_32 0
		.amdhsa_float_round_mode_16_64 0
		.amdhsa_float_denorm_mode_32 3
		.amdhsa_float_denorm_mode_16_64 3
		.amdhsa_dx10_clamp 1
		.amdhsa_ieee_mode 1
		.amdhsa_fp16_overflow 0
		.amdhsa_tg_split 0
		.amdhsa_exception_fp_ieee_invalid_op 0
		.amdhsa_exception_fp_denorm_src 0
		.amdhsa_exception_fp_ieee_div_zero 0
		.amdhsa_exception_fp_ieee_overflow 0
		.amdhsa_exception_fp_ieee_underflow 0
		.amdhsa_exception_fp_ieee_inexact 0
		.amdhsa_exception_int_div_zero 0
	.end_amdhsa_kernel
	.section	.text._ZN12_GLOBAL__N_125rocblas_gemm_scale_kernelILi32ELi32EdPdEEviiT1_T2_llli,"axG",@progbits,_ZN12_GLOBAL__N_125rocblas_gemm_scale_kernelILi32ELi32EdPdEEviiT1_T2_llli,comdat
.Lfunc_end58:
	.size	_ZN12_GLOBAL__N_125rocblas_gemm_scale_kernelILi32ELi32EdPdEEviiT1_T2_llli, .Lfunc_end58-_ZN12_GLOBAL__N_125rocblas_gemm_scale_kernelILi32ELi32EdPdEEviiT1_T2_llli
                                        ; -- End function
	.set _ZN12_GLOBAL__N_125rocblas_gemm_scale_kernelILi32ELi32EdPdEEviiT1_T2_llli.num_vgpr, 8
	.set _ZN12_GLOBAL__N_125rocblas_gemm_scale_kernelILi32ELi32EdPdEEviiT1_T2_llli.num_agpr, 0
	.set _ZN12_GLOBAL__N_125rocblas_gemm_scale_kernelILi32ELi32EdPdEEviiT1_T2_llli.numbered_sgpr, 16
	.set _ZN12_GLOBAL__N_125rocblas_gemm_scale_kernelILi32ELi32EdPdEEviiT1_T2_llli.num_named_barrier, 0
	.set _ZN12_GLOBAL__N_125rocblas_gemm_scale_kernelILi32ELi32EdPdEEviiT1_T2_llli.private_seg_size, 0
	.set _ZN12_GLOBAL__N_125rocblas_gemm_scale_kernelILi32ELi32EdPdEEviiT1_T2_llli.uses_vcc, 1
	.set _ZN12_GLOBAL__N_125rocblas_gemm_scale_kernelILi32ELi32EdPdEEviiT1_T2_llli.uses_flat_scratch, 0
	.set _ZN12_GLOBAL__N_125rocblas_gemm_scale_kernelILi32ELi32EdPdEEviiT1_T2_llli.has_dyn_sized_stack, 0
	.set _ZN12_GLOBAL__N_125rocblas_gemm_scale_kernelILi32ELi32EdPdEEviiT1_T2_llli.has_recursion, 0
	.set _ZN12_GLOBAL__N_125rocblas_gemm_scale_kernelILi32ELi32EdPdEEviiT1_T2_llli.has_indirect_call, 0
	.section	.AMDGPU.csdata,"",@progbits
; Kernel info:
; codeLenInByte = 232
; TotalNumSgprs: 22
; NumVgprs: 8
; NumAgprs: 0
; TotalNumVgprs: 8
; ScratchSize: 0
; MemoryBound: 0
; FloatMode: 240
; IeeeMode: 1
; LDSByteSize: 0 bytes/workgroup (compile time only)
; SGPRBlocks: 2
; VGPRBlocks: 0
; NumSGPRsForWavesPerEU: 22
; NumVGPRsForWavesPerEU: 8
; AccumOffset: 8
; Occupancy: 8
; WaveLimiterHint : 0
; COMPUTE_PGM_RSRC2:SCRATCH_EN: 0
; COMPUTE_PGM_RSRC2:USER_SGPR: 2
; COMPUTE_PGM_RSRC2:TRAP_HANDLER: 0
; COMPUTE_PGM_RSRC2:TGID_X_EN: 1
; COMPUTE_PGM_RSRC2:TGID_Y_EN: 1
; COMPUTE_PGM_RSRC2:TGID_Z_EN: 1
; COMPUTE_PGM_RSRC2:TIDIG_COMP_CNT: 1
; COMPUTE_PGM_RSRC3_GFX90A:ACCUM_OFFSET: 1
; COMPUTE_PGM_RSRC3_GFX90A:TG_SPLIT: 0
	.section	.text._ZN12_GLOBAL__N_120gemm_ex_scale_kernelILi32ELi32EdPKdPdEEviiT1_T2_lllT3_llli,"axG",@progbits,_ZN12_GLOBAL__N_120gemm_ex_scale_kernelILi32ELi32EdPKdPdEEviiT1_T2_lllT3_llli,comdat
	.globl	_ZN12_GLOBAL__N_120gemm_ex_scale_kernelILi32ELi32EdPKdPdEEviiT1_T2_lllT3_llli ; -- Begin function _ZN12_GLOBAL__N_120gemm_ex_scale_kernelILi32ELi32EdPKdPdEEviiT1_T2_lllT3_llli
	.p2align	8
	.type	_ZN12_GLOBAL__N_120gemm_ex_scale_kernelILi32ELi32EdPKdPdEEviiT1_T2_lllT3_llli,@function
_ZN12_GLOBAL__N_120gemm_ex_scale_kernelILi32ELi32EdPKdPdEEviiT1_T2_lllT3_llli: ; @_ZN12_GLOBAL__N_120gemm_ex_scale_kernelILi32ELi32EdPKdPdEEviiT1_T2_lllT3_llli
; %bb.0:
	s_load_dwordx2 s[6:7], s[0:1], 0x0
	v_and_b32_e32 v1, 0x3ff, v0
	v_bfe_u32 v0, v0, 10, 10
	v_lshl_add_u32 v2, s2, 5, v1
	v_lshl_add_u32 v4, s3, 5, v0
	s_waitcnt lgkmcnt(0)
	v_cmp_gt_u32_e32 vcc, s6, v2
	v_cmp_gt_u32_e64 s[2:3], s7, v4
	s_and_b64 s[2:3], vcc, s[2:3]
	s_and_saveexec_b64 s[6:7], s[2:3]
	s_cbranch_execz .LBB59_5
; %bb.1:
	s_load_dwordx16 s[8:23], s[0:1], 0x8
	s_mov_b64 s[2:3], 0
	v_mov_b32_e32 v3, 0
	s_waitcnt lgkmcnt(0)
	v_cmp_neq_f64_e64 s[6:7], s[8:9], 0
	s_and_b64 vcc, exec, s[6:7]
	s_cbranch_vccnz .LBB59_6
; %bb.2:
	s_andn2_b64 vcc, exec, s[2:3]
	v_mov_b64_e32 v[0:1], 0
	s_cbranch_vccnz .LBB59_4
.LBB59_3:
	s_mul_i32 s2, s17, s4
	s_mul_hi_u32 s3, s16, s4
	s_add_i32 s3, s3, s2
	s_mul_i32 s2, s16, s4
	s_lshl_b64 s[2:3], s[2:3], 3
	s_add_u32 s5, s10, s2
	s_addc_u32 s6, s11, s3
	s_lshl_b64 s[2:3], s[12:13], 3
	s_add_u32 s2, s5, s2
	s_addc_u32 s3, s6, s3
	v_mad_u64_u32 v[0:1], s[6:7], s14, v4, 0
	v_mov_b32_e32 v6, v1
	v_mad_u64_u32 v[6:7], s[6:7], s15, v4, v[6:7]
	v_mov_b32_e32 v1, v6
	v_lshl_add_u64 v[0:1], v[0:1], 3, s[2:3]
	v_lshl_add_u64 v[0:1], v[2:3], 3, v[0:1]
	global_load_dwordx2 v[0:1], v[0:1], off
	s_waitcnt vmcnt(0)
	v_mul_f64 v[0:1], s[8:9], v[0:1]
.LBB59_4:
	s_load_dwordx2 s[0:1], s[0:1], 0x48
	s_waitcnt lgkmcnt(0)
	s_mul_i32 s1, s1, s4
	s_mul_hi_u32 s2, s0, s4
	s_mul_i32 s0, s0, s4
	s_add_i32 s1, s2, s1
	s_lshl_b64 s[0:1], s[0:1], 3
	s_add_u32 s2, s18, s0
	s_addc_u32 s3, s19, s1
	s_lshl_b64 s[0:1], s[20:21], 3
	s_add_u32 s0, s2, s0
	s_addc_u32 s1, s3, s1
	v_mad_u64_u32 v[6:7], s[2:3], s22, v4, 0
	v_mov_b32_e32 v8, v7
	v_mad_u64_u32 v[4:5], s[2:3], s23, v4, v[8:9]
	v_mov_b32_e32 v7, v4
	v_lshl_add_u64 v[4:5], v[6:7], 3, s[0:1]
	v_lshl_add_u64 v[2:3], v[2:3], 3, v[4:5]
	global_store_dwordx2 v[2:3], v[0:1], off
.LBB59_5:
	s_endpgm
.LBB59_6:
	v_mov_b64_e32 v[0:1], 0
	s_branch .LBB59_3
	.section	.rodata,"a",@progbits
	.p2align	6, 0x0
	.amdhsa_kernel _ZN12_GLOBAL__N_120gemm_ex_scale_kernelILi32ELi32EdPKdPdEEviiT1_T2_lllT3_llli
		.amdhsa_group_segment_fixed_size 0
		.amdhsa_private_segment_fixed_size 0
		.amdhsa_kernarg_size 84
		.amdhsa_user_sgpr_count 2
		.amdhsa_user_sgpr_dispatch_ptr 0
		.amdhsa_user_sgpr_queue_ptr 0
		.amdhsa_user_sgpr_kernarg_segment_ptr 1
		.amdhsa_user_sgpr_dispatch_id 0
		.amdhsa_user_sgpr_kernarg_preload_length 0
		.amdhsa_user_sgpr_kernarg_preload_offset 0
		.amdhsa_user_sgpr_private_segment_size 0
		.amdhsa_uses_dynamic_stack 0
		.amdhsa_enable_private_segment 0
		.amdhsa_system_sgpr_workgroup_id_x 1
		.amdhsa_system_sgpr_workgroup_id_y 1
		.amdhsa_system_sgpr_workgroup_id_z 1
		.amdhsa_system_sgpr_workgroup_info 0
		.amdhsa_system_vgpr_workitem_id 1
		.amdhsa_next_free_vgpr 10
		.amdhsa_next_free_sgpr 24
		.amdhsa_accum_offset 12
		.amdhsa_reserve_vcc 1
		.amdhsa_float_round_mode_32 0
		.amdhsa_float_round_mode_16_64 0
		.amdhsa_float_denorm_mode_32 3
		.amdhsa_float_denorm_mode_16_64 3
		.amdhsa_dx10_clamp 1
		.amdhsa_ieee_mode 1
		.amdhsa_fp16_overflow 0
		.amdhsa_tg_split 0
		.amdhsa_exception_fp_ieee_invalid_op 0
		.amdhsa_exception_fp_denorm_src 0
		.amdhsa_exception_fp_ieee_div_zero 0
		.amdhsa_exception_fp_ieee_overflow 0
		.amdhsa_exception_fp_ieee_underflow 0
		.amdhsa_exception_fp_ieee_inexact 0
		.amdhsa_exception_int_div_zero 0
	.end_amdhsa_kernel
	.section	.text._ZN12_GLOBAL__N_120gemm_ex_scale_kernelILi32ELi32EdPKdPdEEviiT1_T2_lllT3_llli,"axG",@progbits,_ZN12_GLOBAL__N_120gemm_ex_scale_kernelILi32ELi32EdPKdPdEEviiT1_T2_lllT3_llli,comdat
.Lfunc_end59:
	.size	_ZN12_GLOBAL__N_120gemm_ex_scale_kernelILi32ELi32EdPKdPdEEviiT1_T2_lllT3_llli, .Lfunc_end59-_ZN12_GLOBAL__N_120gemm_ex_scale_kernelILi32ELi32EdPKdPdEEviiT1_T2_lllT3_llli
                                        ; -- End function
	.set _ZN12_GLOBAL__N_120gemm_ex_scale_kernelILi32ELi32EdPKdPdEEviiT1_T2_lllT3_llli.num_vgpr, 10
	.set _ZN12_GLOBAL__N_120gemm_ex_scale_kernelILi32ELi32EdPKdPdEEviiT1_T2_lllT3_llli.num_agpr, 0
	.set _ZN12_GLOBAL__N_120gemm_ex_scale_kernelILi32ELi32EdPKdPdEEviiT1_T2_lllT3_llli.numbered_sgpr, 24
	.set _ZN12_GLOBAL__N_120gemm_ex_scale_kernelILi32ELi32EdPKdPdEEviiT1_T2_lllT3_llli.num_named_barrier, 0
	.set _ZN12_GLOBAL__N_120gemm_ex_scale_kernelILi32ELi32EdPKdPdEEviiT1_T2_lllT3_llli.private_seg_size, 0
	.set _ZN12_GLOBAL__N_120gemm_ex_scale_kernelILi32ELi32EdPKdPdEEviiT1_T2_lllT3_llli.uses_vcc, 1
	.set _ZN12_GLOBAL__N_120gemm_ex_scale_kernelILi32ELi32EdPKdPdEEviiT1_T2_lllT3_llli.uses_flat_scratch, 0
	.set _ZN12_GLOBAL__N_120gemm_ex_scale_kernelILi32ELi32EdPKdPdEEviiT1_T2_lllT3_llli.has_dyn_sized_stack, 0
	.set _ZN12_GLOBAL__N_120gemm_ex_scale_kernelILi32ELi32EdPKdPdEEviiT1_T2_lllT3_llli.has_recursion, 0
	.set _ZN12_GLOBAL__N_120gemm_ex_scale_kernelILi32ELi32EdPKdPdEEviiT1_T2_lllT3_llli.has_indirect_call, 0
	.section	.AMDGPU.csdata,"",@progbits
; Kernel info:
; codeLenInByte = 328
; TotalNumSgprs: 30
; NumVgprs: 10
; NumAgprs: 0
; TotalNumVgprs: 10
; ScratchSize: 0
; MemoryBound: 0
; FloatMode: 240
; IeeeMode: 1
; LDSByteSize: 0 bytes/workgroup (compile time only)
; SGPRBlocks: 3
; VGPRBlocks: 1
; NumSGPRsForWavesPerEU: 30
; NumVGPRsForWavesPerEU: 10
; AccumOffset: 12
; Occupancy: 8
; WaveLimiterHint : 0
; COMPUTE_PGM_RSRC2:SCRATCH_EN: 0
; COMPUTE_PGM_RSRC2:USER_SGPR: 2
; COMPUTE_PGM_RSRC2:TRAP_HANDLER: 0
; COMPUTE_PGM_RSRC2:TGID_X_EN: 1
; COMPUTE_PGM_RSRC2:TGID_Y_EN: 1
; COMPUTE_PGM_RSRC2:TGID_Z_EN: 1
; COMPUTE_PGM_RSRC2:TIDIG_COMP_CNT: 1
; COMPUTE_PGM_RSRC3_GFX90A:ACCUM_OFFSET: 2
; COMPUTE_PGM_RSRC3_GFX90A:TG_SPLIT: 0
	.section	.text._ZN12_GLOBAL__N_127rocblas_gemm_batched_kernelIdLi16ELi16ELi64ELi64ELi4ELi64ELi4ELi4ELi64ELc78ELc78EKdS1_dEEvlllT_PT11_llS4_llS2_PT12_llPT13_lli,"axG",@progbits,_ZN12_GLOBAL__N_127rocblas_gemm_batched_kernelIdLi16ELi16ELi64ELi64ELi4ELi64ELi4ELi4ELi64ELc78ELc78EKdS1_dEEvlllT_PT11_llS4_llS2_PT12_llPT13_lli,comdat
	.globl	_ZN12_GLOBAL__N_127rocblas_gemm_batched_kernelIdLi16ELi16ELi64ELi64ELi4ELi64ELi4ELi4ELi64ELc78ELc78EKdS1_dEEvlllT_PT11_llS4_llS2_PT12_llPT13_lli ; -- Begin function _ZN12_GLOBAL__N_127rocblas_gemm_batched_kernelIdLi16ELi16ELi64ELi64ELi4ELi64ELi4ELi4ELi64ELc78ELc78EKdS1_dEEvlllT_PT11_llS4_llS2_PT12_llPT13_lli
	.p2align	8
	.type	_ZN12_GLOBAL__N_127rocblas_gemm_batched_kernelIdLi16ELi16ELi64ELi64ELi4ELi64ELi4ELi4ELi64ELc78ELc78EKdS1_dEEvlllT_PT11_llS4_llS2_PT12_llPT13_lli,@function
_ZN12_GLOBAL__N_127rocblas_gemm_batched_kernelIdLi16ELi16ELi64ELi64ELi4ELi64ELi4ELi4ELi64ELc78ELc78EKdS1_dEEvlllT_PT11_llS4_llS2_PT12_llPT13_lli: ; @_ZN12_GLOBAL__N_127rocblas_gemm_batched_kernelIdLi16ELi16ELi64ELi64ELi4ELi64ELi4ELi4ELi64ELc78ELc78EKdS1_dEEvlllT_PT11_llS4_llS2_PT12_llPT13_lli
; %bb.0:
	s_load_dwordx16 s[8:23], s[0:1], 0x10
	s_mov_b32 s6, s3
	v_mov_b32_e32 v35, 0
	s_ashr_i32 s3, s2, 31
	s_ashr_i32 s7, s6, 31
	s_waitcnt lgkmcnt(0)
	v_cmp_lt_i64_e64 s[24:25], s[8:9], 1
	v_bfe_u32 v34, v0, 10, 10
	v_and_b32_e32 v32, 0x3ff, v0
	v_mov_b32_e32 v33, v35
	s_lshl_b64 s[2:3], s[2:3], 6
	s_lshl_b64 s[6:7], s[6:7], 6
	s_and_b64 vcc, exec, s[24:25]
	s_cbranch_vccnz .LBB60_3
; %bb.1:
	v_lshl_add_u32 v6, v34, 4, v32
	v_lshrrev_b32_e32 v0, 2, v6
	v_mov_b32_e32 v1, v35
	v_and_b32_e32 v4, 63, v6
	v_lshl_add_u64 v[2:3], v[0:1], 0, s[6:7]
	v_and_b32_e32 v1, 3, v32
	v_lshrrev_b32_e32 v8, 6, v6
	v_lshlrev_b32_e32 v6, 3, v4
	v_lshl_or_b32 v42, v8, 9, v6
	v_lshlrev_b32_e32 v6, 3, v1
	v_lshl_or_b32 v0, v0, 5, v6
	v_add_u32_e32 v43, 0x800, v0
	v_mov_b32_e32 v0, 0x800
	v_lshl_add_u32 v45, v34, 5, v0
	v_mul_lo_u32 v7, s21, v2
	v_mul_lo_u32 v3, s20, v3
	v_mad_u64_u32 v[0:1], s[20:21], s20, v2, 0
	s_mul_i32 s5, s23, s4
	s_mul_hi_u32 s20, s22, s4
	s_add_i32 s21, s20, s5
	s_mul_i32 s20, s22, s4
	v_add3_u32 v1, v1, v3, v7
	s_lshl_b64 s[20:21], s[20:21], 3
	v_lshl_add_u64 v[0:1], v[0:1], 3, s[20:21]
	v_mov_b32_e32 v7, v35
	v_lshl_add_u64 v[0:1], v[0:1], 0, v[6:7]
	v_lshl_add_u64 v[36:37], s[18:19], 0, v[0:1]
	v_mov_b64_e32 v[0:1], s[2:3]
	s_mul_i32 s5, s17, s4
	s_mul_hi_u32 s17, s16, s4
	v_mad_u64_u32 v[0:1], s[18:19], s14, v8, v[0:1]
	s_add_i32 s17, s17, s5
	s_mul_i32 s16, s16, s4
	v_mov_b32_e32 v2, v1
	s_lshl_b64 s[16:17], s[16:17], 3
	v_mad_u64_u32 v[2:3], s[18:19], s15, v8, v[2:3]
	v_mov_b32_e32 v5, v35
	v_mov_b32_e32 v1, v2
	s_add_u32 s12, s12, s16
	v_lshl_add_u64 v[0:1], v[0:1], 0, v[4:5]
	s_addc_u32 s13, s13, s17
	v_lshlrev_b32_e32 v44, 3, v32
	v_lshl_add_u64 v[38:39], v[0:1], 3, s[12:13]
	s_lshl_b64 s[12:13], s[14:15], 5
	s_mov_b64 s[14:15], 0
	v_mov_b64_e32 v[0:1], 0
	v_mov_b64_e32 v[40:41], s[8:9]
	v_mov_b64_e32 v[2:3], 0
	v_mov_b64_e32 v[4:5], 0
	v_mov_b64_e32 v[6:7], 0
	v_mov_b64_e32 v[8:9], 0
	v_mov_b64_e32 v[10:11], 0
	v_mov_b64_e32 v[12:13], 0
	v_mov_b64_e32 v[14:15], 0
	v_mov_b64_e32 v[16:17], 0
	v_mov_b64_e32 v[18:19], 0
	v_mov_b64_e32 v[20:21], 0
	v_mov_b64_e32 v[22:23], 0
	v_mov_b64_e32 v[24:25], 0
	v_mov_b64_e32 v[26:27], 0
	v_mov_b64_e32 v[28:29], 0
	v_mov_b64_e32 v[30:31], 0
.LBB60_2:                               ; =>This Inner Loop Header: Depth=1
	global_load_dwordx2 v[46:47], v[38:39], off
	global_load_dwordx2 v[48:49], v[36:37], off
	s_add_u32 s14, s14, 4
	s_addc_u32 s15, s15, 0
	v_cmp_lt_i64_e32 vcc, s[14:15], v[40:41]
	v_lshl_add_u64 v[36:37], v[36:37], 0, 32
	v_lshl_add_u64 v[38:39], v[38:39], 0, s[12:13]
	s_and_b64 vcc, exec, vcc
	s_waitcnt vmcnt(1)
	ds_write_b64 v42, v[46:47]
	s_waitcnt vmcnt(0)
	ds_write_b64 v43, v[48:49]
	s_waitcnt lgkmcnt(0)
	s_barrier
	ds_read2_b64 v[46:49], v44 offset1:16
	ds_read_b128 v[50:53], v45 offset:1536
	ds_read_b128 v[54:57], v45
	ds_read_b128 v[58:61], v45 offset:16
	ds_read_b128 v[62:65], v45 offset:512
	ds_read_b128 v[66:69], v45 offset:528
	ds_read_b128 v[70:73], v45 offset:1024
	ds_read_b128 v[74:77], v45 offset:1040
	s_waitcnt lgkmcnt(5)
	v_fmac_f64_e32 v[30:31], v[46:47], v[54:55]
	v_fmac_f64_e32 v[28:29], v[48:49], v[54:55]
	s_waitcnt lgkmcnt(3)
	v_fmac_f64_e32 v[22:23], v[46:47], v[62:63]
	v_fmac_f64_e32 v[20:21], v[48:49], v[62:63]
	;; [unrolled: 3-line block ×3, first 2 shown]
	v_fmac_f64_e32 v[6:7], v[46:47], v[50:51]
	v_fmac_f64_e32 v[4:5], v[48:49], v[50:51]
	ds_read2_b64 v[46:49], v44 offset0:32 offset1:48
	ds_read2_b64 v[82:85], v44 offset0:96 offset1:112
	ds_read_b128 v[78:81], v45 offset:1552
	s_waitcnt lgkmcnt(2)
	v_fmac_f64_e32 v[26:27], v[46:47], v[54:55]
	v_fmac_f64_e32 v[24:25], v[48:49], v[54:55]
	;; [unrolled: 1-line block ×8, first 2 shown]
	ds_read2_b64 v[46:49], v44 offset0:64 offset1:80
	s_waitcnt lgkmcnt(2)
	v_fmac_f64_e32 v[26:27], v[82:83], v[56:57]
	v_fmac_f64_e32 v[24:25], v[84:85], v[56:57]
	;; [unrolled: 1-line block ×4, first 2 shown]
	s_waitcnt lgkmcnt(0)
	v_fmac_f64_e32 v[30:31], v[46:47], v[56:57]
	v_fmac_f64_e32 v[28:29], v[48:49], v[56:57]
	;; [unrolled: 1-line block ×6, first 2 shown]
	ds_read2_b64 v[54:57], v44 offset0:128 offset1:144
	v_fmac_f64_e32 v[6:7], v[46:47], v[52:53]
	v_fmac_f64_e32 v[4:5], v[48:49], v[52:53]
	ds_read2_b64 v[46:49], v44 offset0:160 offset1:176
	v_fmac_f64_e32 v[2:3], v[82:83], v[52:53]
	v_fmac_f64_e32 v[0:1], v[84:85], v[52:53]
	ds_read2_b64 v[50:53], v44 offset0:192 offset1:208
	ds_read2_b64 v[62:65], v44 offset0:224 offset1:240
	v_fmac_f64_e32 v[10:11], v[82:83], v[72:73]
	v_fmac_f64_e32 v[8:9], v[84:85], v[72:73]
	s_waitcnt lgkmcnt(3)
	v_fmac_f64_e32 v[30:31], v[54:55], v[58:59]
	v_fmac_f64_e32 v[28:29], v[56:57], v[58:59]
	;; [unrolled: 1-line block ×8, first 2 shown]
	s_waitcnt lgkmcnt(2)
	v_fmac_f64_e32 v[26:27], v[46:47], v[58:59]
	v_fmac_f64_e32 v[24:25], v[48:49], v[58:59]
	;; [unrolled: 1-line block ×8, first 2 shown]
	s_waitcnt lgkmcnt(1)
	v_fmac_f64_e32 v[30:31], v[50:51], v[60:61]
	v_fmac_f64_e32 v[28:29], v[52:53], v[60:61]
	s_waitcnt lgkmcnt(0)
	v_fmac_f64_e32 v[26:27], v[62:63], v[60:61]
	v_fmac_f64_e32 v[24:25], v[64:65], v[60:61]
	;; [unrolled: 1-line block ×14, first 2 shown]
	s_barrier
	s_cbranch_vccnz .LBB60_2
	s_branch .LBB60_4
.LBB60_3:
	v_mov_b64_e32 v[30:31], 0
	v_mov_b64_e32 v[28:29], 0
	;; [unrolled: 1-line block ×16, first 2 shown]
.LBB60_4:
	s_load_dwordx8 s[20:27], s[0:1], 0x70
	s_load_dwordx8 s[12:19], s[0:1], 0x50
	v_lshl_add_u64 v[34:35], s[6:7], 0, v[34:35]
	v_lshl_add_u64 v[32:33], s[2:3], 0, v[32:33]
	s_mov_b64 s[6:7], 0
	s_waitcnt lgkmcnt(0)
	s_mul_i32 s1, s25, s4
	s_mul_hi_u32 s5, s24, s4
	s_mul_i32 s0, s24, s4
	s_add_i32 s1, s5, s1
	s_lshl_b64 s[0:1], s[0:1], 3
	s_add_u32 s0, s20, s0
	v_cmp_neq_f64_e64 s[8:9], s[12:13], 0
	s_addc_u32 s1, s21, s1
	s_and_b64 vcc, exec, s[8:9]
	v_mul_lo_u32 v36, v35, s22
	v_mul_lo_u32 v37, v34, s23
	v_lshlrev_b64 v[32:33], 3, v[32:33]
	s_cbranch_vccnz .LBB60_8
; %bb.5:
	v_mad_u64_u32 v[38:39], s[2:3], v34, s22, 0
	v_add3_u32 v39, v39, v37, v36
	v_lshl_add_u64 v[38:39], v[38:39], 3, s[0:1]
	v_mul_f64 v[40:41], s[10:11], v[30:31]
	v_lshl_add_u64 v[42:43], v[38:39], 0, v[32:33]
	global_store_dwordx2 v[42:43], v[40:41], off
	v_mul_f64 v[40:41], s[10:11], v[28:29]
	global_store_dwordx2 v[42:43], v[40:41], off offset:128
	v_mul_f64 v[40:41], s[10:11], v[26:27]
	s_lshl_b64 s[2:3], s[22:23], 7
	global_store_dwordx2 v[42:43], v[40:41], off offset:256
	v_mul_f64 v[40:41], s[10:11], v[24:25]
	v_lshl_add_u64 v[38:39], v[38:39], 0, s[2:3]
	global_store_dwordx2 v[42:43], v[40:41], off offset:384
	v_mul_f64 v[40:41], s[10:11], v[22:23]
	v_lshl_add_u64 v[42:43], v[38:39], 0, v[32:33]
	global_store_dwordx2 v[42:43], v[40:41], off
	v_mul_f64 v[40:41], s[10:11], v[20:21]
	global_store_dwordx2 v[42:43], v[40:41], off offset:128
	v_mul_f64 v[40:41], s[10:11], v[18:19]
	global_store_dwordx2 v[42:43], v[40:41], off offset:256
	v_mul_f64 v[40:41], s[10:11], v[16:17]
	v_lshl_add_u64 v[38:39], v[38:39], 0, s[2:3]
	global_store_dwordx2 v[42:43], v[40:41], off offset:384
	v_mul_f64 v[40:41], s[10:11], v[14:15]
	v_lshl_add_u64 v[42:43], v[38:39], 0, v[32:33]
	global_store_dwordx2 v[42:43], v[40:41], off
	v_mul_f64 v[40:41], s[10:11], v[12:13]
	global_store_dwordx2 v[42:43], v[40:41], off offset:128
	v_mul_f64 v[40:41], s[10:11], v[10:11]
	;; [unrolled: 10-line block ×3, first 2 shown]
	global_store_dwordx2 v[38:39], v[40:41], off offset:256
	v_mul_f64 v[40:41], s[10:11], v[0:1]
	global_store_dwordx2 v[38:39], v[40:41], off offset:384
	s_andn2_b64 vcc, exec, s[6:7]
	s_cbranch_vccnz .LBB60_7
.LBB60_6:
	s_mul_i32 s2, s19, s4
	s_mul_hi_u32 s3, s18, s4
	s_add_i32 s3, s3, s2
	s_mul_i32 s2, s18, s4
	s_lshl_b64 s[2:3], s[2:3], 3
	s_add_u32 s2, s14, s2
	v_mul_lo_u32 v35, v35, s16
	v_mul_lo_u32 v40, v34, s17
	v_mad_u64_u32 v[38:39], s[4:5], v34, s16, 0
	s_addc_u32 s3, s15, s3
	v_add3_u32 v39, v39, v40, v35
	v_lshl_add_u64 v[38:39], v[38:39], 3, s[2:3]
	v_lshl_add_u64 v[40:41], v[38:39], 0, v[32:33]
	global_load_dwordx2 v[42:43], v[40:41], off
	v_mad_u64_u32 v[34:35], s[2:3], v34, s22, 0
	v_add3_u32 v35, v35, v37, v36
	v_lshl_add_u64 v[34:35], v[34:35], 3, s[0:1]
	v_lshl_add_u64 v[36:37], v[34:35], 0, v[32:33]
	s_lshl_b64 s[0:1], s[16:17], 7
	s_lshl_b64 s[2:3], s[22:23], 7
	s_waitcnt vmcnt(0)
	v_mul_f64 v[42:43], s[12:13], v[42:43]
	v_fmac_f64_e32 v[42:43], s[10:11], v[30:31]
	global_store_dwordx2 v[36:37], v[42:43], off
	global_load_dwordx2 v[30:31], v[40:41], off offset:128
	s_waitcnt vmcnt(0)
	v_mul_f64 v[30:31], s[12:13], v[30:31]
	v_fmac_f64_e32 v[30:31], s[10:11], v[28:29]
	global_store_dwordx2 v[36:37], v[30:31], off offset:128
	global_load_dwordx2 v[28:29], v[40:41], off offset:256
	s_waitcnt vmcnt(0)
	v_mul_f64 v[28:29], s[12:13], v[28:29]
	v_fmac_f64_e32 v[28:29], s[10:11], v[26:27]
	global_store_dwordx2 v[36:37], v[28:29], off offset:256
	global_load_dwordx2 v[26:27], v[40:41], off offset:384
	v_lshl_add_u64 v[28:29], v[38:39], 0, s[0:1]
	v_lshl_add_u64 v[30:31], v[28:29], 0, v[32:33]
	s_waitcnt vmcnt(0)
	v_mul_f64 v[26:27], s[12:13], v[26:27]
	v_fmac_f64_e32 v[26:27], s[10:11], v[24:25]
	global_store_dwordx2 v[36:37], v[26:27], off offset:384
	global_load_dwordx2 v[24:25], v[30:31], off
	v_lshl_add_u64 v[26:27], v[34:35], 0, s[2:3]
	v_lshl_add_u64 v[34:35], v[26:27], 0, v[32:33]
	s_waitcnt vmcnt(0)
	v_mul_f64 v[24:25], s[12:13], v[24:25]
	v_fmac_f64_e32 v[24:25], s[10:11], v[22:23]
	global_store_dwordx2 v[34:35], v[24:25], off
	global_load_dwordx2 v[22:23], v[30:31], off offset:128
	s_waitcnt vmcnt(0)
	v_mul_f64 v[22:23], s[12:13], v[22:23]
	v_fmac_f64_e32 v[22:23], s[10:11], v[20:21]
	global_store_dwordx2 v[34:35], v[22:23], off offset:128
	global_load_dwordx2 v[20:21], v[30:31], off offset:256
	s_waitcnt vmcnt(0)
	v_mul_f64 v[20:21], s[12:13], v[20:21]
	v_fmac_f64_e32 v[20:21], s[10:11], v[18:19]
	global_store_dwordx2 v[34:35], v[20:21], off offset:256
	global_load_dwordx2 v[18:19], v[30:31], off offset:384
	v_lshl_add_u64 v[20:21], v[28:29], 0, s[0:1]
	v_lshl_add_u64 v[22:23], v[20:21], 0, v[32:33]
	s_waitcnt vmcnt(0)
	v_mul_f64 v[18:19], s[12:13], v[18:19]
	v_fmac_f64_e32 v[18:19], s[10:11], v[16:17]
	global_store_dwordx2 v[34:35], v[18:19], off offset:384
	global_load_dwordx2 v[16:17], v[22:23], off
	v_lshl_add_u64 v[18:19], v[26:27], 0, s[2:3]
	v_lshl_add_u64 v[24:25], v[18:19], 0, v[32:33]
	s_waitcnt vmcnt(0)
	v_mul_f64 v[16:17], s[12:13], v[16:17]
	v_fmac_f64_e32 v[16:17], s[10:11], v[14:15]
	global_store_dwordx2 v[24:25], v[16:17], off
	global_load_dwordx2 v[14:15], v[22:23], off offset:128
	s_waitcnt vmcnt(0)
	v_mul_f64 v[14:15], s[12:13], v[14:15]
	v_fmac_f64_e32 v[14:15], s[10:11], v[12:13]
	global_store_dwordx2 v[24:25], v[14:15], off offset:128
	global_load_dwordx2 v[12:13], v[22:23], off offset:256
	s_waitcnt vmcnt(0)
	v_mul_f64 v[12:13], s[12:13], v[12:13]
	v_fmac_f64_e32 v[12:13], s[10:11], v[10:11]
	global_store_dwordx2 v[24:25], v[12:13], off offset:256
	global_load_dwordx2 v[10:11], v[22:23], off offset:384
	v_lshl_add_u64 v[12:13], v[20:21], 0, s[0:1]
	v_lshl_add_u64 v[12:13], v[12:13], 0, v[32:33]
	s_waitcnt vmcnt(0)
	v_mul_f64 v[10:11], s[12:13], v[10:11]
	v_fmac_f64_e32 v[10:11], s[10:11], v[8:9]
	global_store_dwordx2 v[24:25], v[10:11], off offset:384
	global_load_dwordx2 v[8:9], v[12:13], off
	v_lshl_add_u64 v[10:11], v[18:19], 0, s[2:3]
	s_waitcnt vmcnt(0)
	v_mul_f64 v[8:9], s[12:13], v[8:9]
	v_fmac_f64_e32 v[8:9], s[10:11], v[6:7]
	v_lshl_add_u64 v[6:7], v[10:11], 0, v[32:33]
	global_store_dwordx2 v[6:7], v[8:9], off
	global_load_dwordx2 v[8:9], v[12:13], off offset:128
	s_waitcnt vmcnt(0)
	v_mul_f64 v[8:9], s[12:13], v[8:9]
	v_fmac_f64_e32 v[8:9], s[10:11], v[4:5]
	global_store_dwordx2 v[6:7], v[8:9], off offset:128
	global_load_dwordx2 v[4:5], v[12:13], off offset:256
	s_waitcnt vmcnt(0)
	v_mul_f64 v[4:5], s[12:13], v[4:5]
	v_fmac_f64_e32 v[4:5], s[10:11], v[2:3]
	global_store_dwordx2 v[6:7], v[4:5], off offset:256
	;; [unrolled: 5-line block ×3, first 2 shown]
.LBB60_7:
	s_endpgm
.LBB60_8:
	s_branch .LBB60_6
	.section	.rodata,"a",@progbits
	.p2align	6, 0x0
	.amdhsa_kernel _ZN12_GLOBAL__N_127rocblas_gemm_batched_kernelIdLi16ELi16ELi64ELi64ELi4ELi64ELi4ELi4ELi64ELc78ELc78EKdS1_dEEvlllT_PT11_llS4_llS2_PT12_llPT13_lli
		.amdhsa_group_segment_fixed_size 4096
		.amdhsa_private_segment_fixed_size 0
		.amdhsa_kernarg_size 140
		.amdhsa_user_sgpr_count 2
		.amdhsa_user_sgpr_dispatch_ptr 0
		.amdhsa_user_sgpr_queue_ptr 0
		.amdhsa_user_sgpr_kernarg_segment_ptr 1
		.amdhsa_user_sgpr_dispatch_id 0
		.amdhsa_user_sgpr_kernarg_preload_length 0
		.amdhsa_user_sgpr_kernarg_preload_offset 0
		.amdhsa_user_sgpr_private_segment_size 0
		.amdhsa_uses_dynamic_stack 0
		.amdhsa_enable_private_segment 0
		.amdhsa_system_sgpr_workgroup_id_x 1
		.amdhsa_system_sgpr_workgroup_id_y 1
		.amdhsa_system_sgpr_workgroup_id_z 1
		.amdhsa_system_sgpr_workgroup_info 0
		.amdhsa_system_vgpr_workitem_id 1
		.amdhsa_next_free_vgpr 86
		.amdhsa_next_free_sgpr 28
		.amdhsa_accum_offset 88
		.amdhsa_reserve_vcc 1
		.amdhsa_float_round_mode_32 0
		.amdhsa_float_round_mode_16_64 0
		.amdhsa_float_denorm_mode_32 3
		.amdhsa_float_denorm_mode_16_64 3
		.amdhsa_dx10_clamp 1
		.amdhsa_ieee_mode 1
		.amdhsa_fp16_overflow 0
		.amdhsa_tg_split 0
		.amdhsa_exception_fp_ieee_invalid_op 0
		.amdhsa_exception_fp_denorm_src 0
		.amdhsa_exception_fp_ieee_div_zero 0
		.amdhsa_exception_fp_ieee_overflow 0
		.amdhsa_exception_fp_ieee_underflow 0
		.amdhsa_exception_fp_ieee_inexact 0
		.amdhsa_exception_int_div_zero 0
	.end_amdhsa_kernel
	.section	.text._ZN12_GLOBAL__N_127rocblas_gemm_batched_kernelIdLi16ELi16ELi64ELi64ELi4ELi64ELi4ELi4ELi64ELc78ELc78EKdS1_dEEvlllT_PT11_llS4_llS2_PT12_llPT13_lli,"axG",@progbits,_ZN12_GLOBAL__N_127rocblas_gemm_batched_kernelIdLi16ELi16ELi64ELi64ELi4ELi64ELi4ELi4ELi64ELc78ELc78EKdS1_dEEvlllT_PT11_llS4_llS2_PT12_llPT13_lli,comdat
.Lfunc_end60:
	.size	_ZN12_GLOBAL__N_127rocblas_gemm_batched_kernelIdLi16ELi16ELi64ELi64ELi4ELi64ELi4ELi4ELi64ELc78ELc78EKdS1_dEEvlllT_PT11_llS4_llS2_PT12_llPT13_lli, .Lfunc_end60-_ZN12_GLOBAL__N_127rocblas_gemm_batched_kernelIdLi16ELi16ELi64ELi64ELi4ELi64ELi4ELi4ELi64ELc78ELc78EKdS1_dEEvlllT_PT11_llS4_llS2_PT12_llPT13_lli
                                        ; -- End function
	.set _ZN12_GLOBAL__N_127rocblas_gemm_batched_kernelIdLi16ELi16ELi64ELi64ELi4ELi64ELi4ELi4ELi64ELc78ELc78EKdS1_dEEvlllT_PT11_llS4_llS2_PT12_llPT13_lli.num_vgpr, 86
	.set _ZN12_GLOBAL__N_127rocblas_gemm_batched_kernelIdLi16ELi16ELi64ELi64ELi4ELi64ELi4ELi4ELi64ELc78ELc78EKdS1_dEEvlllT_PT11_llS4_llS2_PT12_llPT13_lli.num_agpr, 0
	.set _ZN12_GLOBAL__N_127rocblas_gemm_batched_kernelIdLi16ELi16ELi64ELi64ELi4ELi64ELi4ELi4ELi64ELc78ELc78EKdS1_dEEvlllT_PT11_llS4_llS2_PT12_llPT13_lli.numbered_sgpr, 28
	.set _ZN12_GLOBAL__N_127rocblas_gemm_batched_kernelIdLi16ELi16ELi64ELi64ELi4ELi64ELi4ELi4ELi64ELc78ELc78EKdS1_dEEvlllT_PT11_llS4_llS2_PT12_llPT13_lli.num_named_barrier, 0
	.set _ZN12_GLOBAL__N_127rocblas_gemm_batched_kernelIdLi16ELi16ELi64ELi64ELi4ELi64ELi4ELi4ELi64ELc78ELc78EKdS1_dEEvlllT_PT11_llS4_llS2_PT12_llPT13_lli.private_seg_size, 0
	.set _ZN12_GLOBAL__N_127rocblas_gemm_batched_kernelIdLi16ELi16ELi64ELi64ELi4ELi64ELi4ELi4ELi64ELc78ELc78EKdS1_dEEvlllT_PT11_llS4_llS2_PT12_llPT13_lli.uses_vcc, 1
	.set _ZN12_GLOBAL__N_127rocblas_gemm_batched_kernelIdLi16ELi16ELi64ELi64ELi4ELi64ELi4ELi4ELi64ELc78ELc78EKdS1_dEEvlllT_PT11_llS4_llS2_PT12_llPT13_lli.uses_flat_scratch, 0
	.set _ZN12_GLOBAL__N_127rocblas_gemm_batched_kernelIdLi16ELi16ELi64ELi64ELi4ELi64ELi4ELi4ELi64ELc78ELc78EKdS1_dEEvlllT_PT11_llS4_llS2_PT12_llPT13_lli.has_dyn_sized_stack, 0
	.set _ZN12_GLOBAL__N_127rocblas_gemm_batched_kernelIdLi16ELi16ELi64ELi64ELi4ELi64ELi4ELi4ELi64ELc78ELc78EKdS1_dEEvlllT_PT11_llS4_llS2_PT12_llPT13_lli.has_recursion, 0
	.set _ZN12_GLOBAL__N_127rocblas_gemm_batched_kernelIdLi16ELi16ELi64ELi64ELi4ELi64ELi4ELi4ELi64ELc78ELc78EKdS1_dEEvlllT_PT11_llS4_llS2_PT12_llPT13_lli.has_indirect_call, 0
	.section	.AMDGPU.csdata,"",@progbits
; Kernel info:
; codeLenInByte = 2160
; TotalNumSgprs: 34
; NumVgprs: 86
; NumAgprs: 0
; TotalNumVgprs: 86
; ScratchSize: 0
; MemoryBound: 0
; FloatMode: 240
; IeeeMode: 1
; LDSByteSize: 4096 bytes/workgroup (compile time only)
; SGPRBlocks: 4
; VGPRBlocks: 10
; NumSGPRsForWavesPerEU: 34
; NumVGPRsForWavesPerEU: 86
; AccumOffset: 88
; Occupancy: 5
; WaveLimiterHint : 1
; COMPUTE_PGM_RSRC2:SCRATCH_EN: 0
; COMPUTE_PGM_RSRC2:USER_SGPR: 2
; COMPUTE_PGM_RSRC2:TRAP_HANDLER: 0
; COMPUTE_PGM_RSRC2:TGID_X_EN: 1
; COMPUTE_PGM_RSRC2:TGID_Y_EN: 1
; COMPUTE_PGM_RSRC2:TGID_Z_EN: 1
; COMPUTE_PGM_RSRC2:TIDIG_COMP_CNT: 1
; COMPUTE_PGM_RSRC3_GFX90A:ACCUM_OFFSET: 21
; COMPUTE_PGM_RSRC3_GFX90A:TG_SPLIT: 0
	.section	.text._ZN12_GLOBAL__N_127rocblas_gemm_batched_kernelIdLi16ELi16ELi64ELi64ELi4ELi64ELi4ELi4ELi64ELc84ELc78EKdS1_dEEvlllT_PT11_llS4_llS2_PT12_llPT13_lli,"axG",@progbits,_ZN12_GLOBAL__N_127rocblas_gemm_batched_kernelIdLi16ELi16ELi64ELi64ELi4ELi64ELi4ELi4ELi64ELc84ELc78EKdS1_dEEvlllT_PT11_llS4_llS2_PT12_llPT13_lli,comdat
	.globl	_ZN12_GLOBAL__N_127rocblas_gemm_batched_kernelIdLi16ELi16ELi64ELi64ELi4ELi64ELi4ELi4ELi64ELc84ELc78EKdS1_dEEvlllT_PT11_llS4_llS2_PT12_llPT13_lli ; -- Begin function _ZN12_GLOBAL__N_127rocblas_gemm_batched_kernelIdLi16ELi16ELi64ELi64ELi4ELi64ELi4ELi4ELi64ELc84ELc78EKdS1_dEEvlllT_PT11_llS4_llS2_PT12_llPT13_lli
	.p2align	8
	.type	_ZN12_GLOBAL__N_127rocblas_gemm_batched_kernelIdLi16ELi16ELi64ELi64ELi4ELi64ELi4ELi4ELi64ELc84ELc78EKdS1_dEEvlllT_PT11_llS4_llS2_PT12_llPT13_lli,@function
_ZN12_GLOBAL__N_127rocblas_gemm_batched_kernelIdLi16ELi16ELi64ELi64ELi4ELi64ELi4ELi4ELi64ELc84ELc78EKdS1_dEEvlllT_PT11_llS4_llS2_PT12_llPT13_lli: ; @_ZN12_GLOBAL__N_127rocblas_gemm_batched_kernelIdLi16ELi16ELi64ELi64ELi4ELi64ELi4ELi4ELi64ELc84ELc78EKdS1_dEEvlllT_PT11_llS4_llS2_PT12_llPT13_lli
; %bb.0:
	s_load_dwordx16 s[8:23], s[0:1], 0x10
	s_mov_b32 s6, s3
	v_mov_b32_e32 v35, 0
	s_ashr_i32 s3, s2, 31
	s_ashr_i32 s7, s6, 31
	s_waitcnt lgkmcnt(0)
	v_cmp_lt_i64_e64 s[24:25], s[8:9], 1
	v_bfe_u32 v34, v0, 10, 10
	v_and_b32_e32 v32, 0x3ff, v0
	v_mov_b32_e32 v33, v35
	s_lshl_b64 s[2:3], s[2:3], 6
	s_lshl_b64 s[6:7], s[6:7], 6
	s_and_b64 vcc, exec, s[24:25]
	s_cbranch_vccnz .LBB61_3
; %bb.1:
	v_lshl_add_u32 v6, v34, 4, v32
	v_lshrrev_b32_e32 v0, 2, v6
	v_mov_b32_e32 v1, v35
	v_and_b32_e32 v4, 63, v6
	v_lshl_add_u64 v[2:3], v[0:1], 0, s[6:7]
	v_and_b32_e32 v1, 3, v32
	v_lshrrev_b32_e32 v8, 6, v6
	v_lshlrev_b32_e32 v6, 3, v4
	v_lshl_or_b32 v42, v8, 9, v6
	v_lshlrev_b32_e32 v6, 3, v1
	v_lshl_or_b32 v0, v0, 5, v6
	v_add_u32_e32 v43, 0x800, v0
	v_mov_b32_e32 v0, 0x800
	v_lshl_add_u32 v45, v34, 5, v0
	v_mul_lo_u32 v7, s21, v2
	v_mul_lo_u32 v3, s20, v3
	v_mad_u64_u32 v[0:1], s[20:21], s20, v2, 0
	s_mul_i32 s5, s23, s4
	s_mul_hi_u32 s20, s22, s4
	s_add_i32 s21, s20, s5
	s_mul_i32 s20, s22, s4
	v_add3_u32 v1, v1, v3, v7
	s_lshl_b64 s[20:21], s[20:21], 3
	v_lshl_add_u64 v[0:1], v[0:1], 3, s[20:21]
	v_mov_b32_e32 v7, v35
	v_mov_b32_e32 v5, v35
	v_lshl_add_u64 v[0:1], v[0:1], 0, v[6:7]
	v_lshl_add_u64 v[36:37], s[18:19], 0, v[0:1]
	;; [unrolled: 1-line block ×3, first 2 shown]
	v_mul_lo_u32 v2, s15, v0
	v_mul_lo_u32 v3, s14, v1
	v_mad_u64_u32 v[0:1], s[14:15], s14, v0, 0
	s_mul_i32 s5, s17, s4
	s_mul_hi_u32 s14, s16, s4
	s_add_i32 s15, s14, s5
	s_mul_i32 s14, s16, s4
	v_add3_u32 v1, v1, v3, v2
	s_lshl_b64 s[14:15], s[14:15], 3
	v_lshl_add_u64 v[0:1], v[0:1], 3, s[14:15]
	v_lshlrev_b32_e32 v2, 3, v8
	v_mov_b32_e32 v3, v35
	v_lshl_add_u64 v[0:1], v[0:1], 0, v[2:3]
	v_lshlrev_b32_e32 v44, 3, v32
	v_lshl_add_u64 v[38:39], s[12:13], 0, v[0:1]
	s_mov_b64 s[12:13], 0
	v_mov_b64_e32 v[0:1], 0
	v_mov_b64_e32 v[40:41], s[8:9]
	v_mov_b64_e32 v[2:3], 0
	v_mov_b64_e32 v[4:5], 0
	v_mov_b64_e32 v[6:7], 0
	v_mov_b64_e32 v[8:9], 0
	v_mov_b64_e32 v[10:11], 0
	v_mov_b64_e32 v[12:13], 0
	v_mov_b64_e32 v[14:15], 0
	v_mov_b64_e32 v[16:17], 0
	v_mov_b64_e32 v[18:19], 0
	v_mov_b64_e32 v[20:21], 0
	v_mov_b64_e32 v[22:23], 0
	v_mov_b64_e32 v[24:25], 0
	v_mov_b64_e32 v[26:27], 0
	v_mov_b64_e32 v[28:29], 0
	v_mov_b64_e32 v[30:31], 0
.LBB61_2:                               ; =>This Inner Loop Header: Depth=1
	global_load_dwordx2 v[46:47], v[38:39], off
	global_load_dwordx2 v[48:49], v[36:37], off
	s_add_u32 s12, s12, 4
	s_addc_u32 s13, s13, 0
	v_cmp_lt_i64_e32 vcc, s[12:13], v[40:41]
	v_lshl_add_u64 v[36:37], v[36:37], 0, 32
	v_lshl_add_u64 v[38:39], v[38:39], 0, 32
	s_and_b64 vcc, exec, vcc
	s_waitcnt vmcnt(1)
	ds_write_b64 v42, v[46:47]
	s_waitcnt vmcnt(0)
	ds_write_b64 v43, v[48:49]
	s_waitcnt lgkmcnt(0)
	s_barrier
	ds_read2_b64 v[46:49], v44 offset1:16
	ds_read_b128 v[50:53], v45 offset:1536
	ds_read_b128 v[54:57], v45
	ds_read_b128 v[58:61], v45 offset:16
	ds_read_b128 v[62:65], v45 offset:512
	;; [unrolled: 1-line block ×5, first 2 shown]
	s_waitcnt lgkmcnt(5)
	v_fmac_f64_e32 v[30:31], v[46:47], v[54:55]
	v_fmac_f64_e32 v[28:29], v[48:49], v[54:55]
	s_waitcnt lgkmcnt(3)
	v_fmac_f64_e32 v[22:23], v[46:47], v[62:63]
	v_fmac_f64_e32 v[20:21], v[48:49], v[62:63]
	s_waitcnt lgkmcnt(1)
	v_fmac_f64_e32 v[14:15], v[46:47], v[70:71]
	v_fmac_f64_e32 v[12:13], v[48:49], v[70:71]
	v_fmac_f64_e32 v[6:7], v[46:47], v[50:51]
	v_fmac_f64_e32 v[4:5], v[48:49], v[50:51]
	ds_read2_b64 v[46:49], v44 offset0:32 offset1:48
	ds_read2_b64 v[82:85], v44 offset0:96 offset1:112
	ds_read_b128 v[78:81], v45 offset:1552
	s_waitcnt lgkmcnt(2)
	v_fmac_f64_e32 v[26:27], v[46:47], v[54:55]
	v_fmac_f64_e32 v[24:25], v[48:49], v[54:55]
	;; [unrolled: 1-line block ×8, first 2 shown]
	ds_read2_b64 v[46:49], v44 offset0:64 offset1:80
	s_waitcnt lgkmcnt(2)
	v_fmac_f64_e32 v[26:27], v[82:83], v[56:57]
	v_fmac_f64_e32 v[24:25], v[84:85], v[56:57]
	;; [unrolled: 1-line block ×4, first 2 shown]
	s_waitcnt lgkmcnt(0)
	v_fmac_f64_e32 v[30:31], v[46:47], v[56:57]
	v_fmac_f64_e32 v[28:29], v[48:49], v[56:57]
	;; [unrolled: 1-line block ×6, first 2 shown]
	ds_read2_b64 v[54:57], v44 offset0:128 offset1:144
	v_fmac_f64_e32 v[6:7], v[46:47], v[52:53]
	v_fmac_f64_e32 v[4:5], v[48:49], v[52:53]
	ds_read2_b64 v[46:49], v44 offset0:160 offset1:176
	v_fmac_f64_e32 v[2:3], v[82:83], v[52:53]
	v_fmac_f64_e32 v[0:1], v[84:85], v[52:53]
	ds_read2_b64 v[50:53], v44 offset0:192 offset1:208
	ds_read2_b64 v[62:65], v44 offset0:224 offset1:240
	v_fmac_f64_e32 v[10:11], v[82:83], v[72:73]
	v_fmac_f64_e32 v[8:9], v[84:85], v[72:73]
	s_waitcnt lgkmcnt(3)
	v_fmac_f64_e32 v[30:31], v[54:55], v[58:59]
	v_fmac_f64_e32 v[28:29], v[56:57], v[58:59]
	v_fmac_f64_e32 v[22:23], v[54:55], v[66:67]
	v_fmac_f64_e32 v[20:21], v[56:57], v[66:67]
	v_fmac_f64_e32 v[14:15], v[54:55], v[74:75]
	v_fmac_f64_e32 v[12:13], v[56:57], v[74:75]
	v_fmac_f64_e32 v[6:7], v[54:55], v[78:79]
	v_fmac_f64_e32 v[4:5], v[56:57], v[78:79]
	s_waitcnt lgkmcnt(2)
	v_fmac_f64_e32 v[26:27], v[46:47], v[58:59]
	v_fmac_f64_e32 v[24:25], v[48:49], v[58:59]
	;; [unrolled: 1-line block ×8, first 2 shown]
	s_waitcnt lgkmcnt(1)
	v_fmac_f64_e32 v[30:31], v[50:51], v[60:61]
	v_fmac_f64_e32 v[28:29], v[52:53], v[60:61]
	s_waitcnt lgkmcnt(0)
	v_fmac_f64_e32 v[26:27], v[62:63], v[60:61]
	v_fmac_f64_e32 v[24:25], v[64:65], v[60:61]
	v_fmac_f64_e32 v[22:23], v[50:51], v[68:69]
	v_fmac_f64_e32 v[20:21], v[52:53], v[68:69]
	v_fmac_f64_e32 v[18:19], v[62:63], v[68:69]
	v_fmac_f64_e32 v[16:17], v[64:65], v[68:69]
	v_fmac_f64_e32 v[14:15], v[50:51], v[76:77]
	v_fmac_f64_e32 v[12:13], v[52:53], v[76:77]
	v_fmac_f64_e32 v[10:11], v[62:63], v[76:77]
	v_fmac_f64_e32 v[8:9], v[64:65], v[76:77]
	v_fmac_f64_e32 v[6:7], v[50:51], v[80:81]
	v_fmac_f64_e32 v[4:5], v[52:53], v[80:81]
	v_fmac_f64_e32 v[2:3], v[62:63], v[80:81]
	v_fmac_f64_e32 v[0:1], v[64:65], v[80:81]
	s_barrier
	s_cbranch_vccnz .LBB61_2
	s_branch .LBB61_4
.LBB61_3:
	v_mov_b64_e32 v[30:31], 0
	v_mov_b64_e32 v[28:29], 0
	;; [unrolled: 1-line block ×16, first 2 shown]
.LBB61_4:
	s_load_dwordx8 s[20:27], s[0:1], 0x70
	s_load_dwordx8 s[12:19], s[0:1], 0x50
	v_lshl_add_u64 v[34:35], s[6:7], 0, v[34:35]
	v_lshl_add_u64 v[32:33], s[2:3], 0, v[32:33]
	s_mov_b64 s[6:7], 0
	s_waitcnt lgkmcnt(0)
	s_mul_i32 s1, s25, s4
	s_mul_hi_u32 s5, s24, s4
	s_mul_i32 s0, s24, s4
	s_add_i32 s1, s5, s1
	s_lshl_b64 s[0:1], s[0:1], 3
	s_add_u32 s0, s20, s0
	v_cmp_neq_f64_e64 s[8:9], s[12:13], 0
	s_addc_u32 s1, s21, s1
	s_and_b64 vcc, exec, s[8:9]
	v_mul_lo_u32 v36, v35, s22
	v_mul_lo_u32 v37, v34, s23
	v_lshlrev_b64 v[32:33], 3, v[32:33]
	s_cbranch_vccnz .LBB61_8
; %bb.5:
	v_mad_u64_u32 v[38:39], s[2:3], v34, s22, 0
	v_add3_u32 v39, v39, v37, v36
	v_lshl_add_u64 v[38:39], v[38:39], 3, s[0:1]
	v_mul_f64 v[40:41], s[10:11], v[30:31]
	v_lshl_add_u64 v[42:43], v[38:39], 0, v[32:33]
	global_store_dwordx2 v[42:43], v[40:41], off
	v_mul_f64 v[40:41], s[10:11], v[28:29]
	global_store_dwordx2 v[42:43], v[40:41], off offset:128
	v_mul_f64 v[40:41], s[10:11], v[26:27]
	s_lshl_b64 s[2:3], s[22:23], 7
	global_store_dwordx2 v[42:43], v[40:41], off offset:256
	v_mul_f64 v[40:41], s[10:11], v[24:25]
	v_lshl_add_u64 v[38:39], v[38:39], 0, s[2:3]
	global_store_dwordx2 v[42:43], v[40:41], off offset:384
	v_mul_f64 v[40:41], s[10:11], v[22:23]
	v_lshl_add_u64 v[42:43], v[38:39], 0, v[32:33]
	global_store_dwordx2 v[42:43], v[40:41], off
	v_mul_f64 v[40:41], s[10:11], v[20:21]
	global_store_dwordx2 v[42:43], v[40:41], off offset:128
	v_mul_f64 v[40:41], s[10:11], v[18:19]
	global_store_dwordx2 v[42:43], v[40:41], off offset:256
	v_mul_f64 v[40:41], s[10:11], v[16:17]
	v_lshl_add_u64 v[38:39], v[38:39], 0, s[2:3]
	global_store_dwordx2 v[42:43], v[40:41], off offset:384
	v_mul_f64 v[40:41], s[10:11], v[14:15]
	v_lshl_add_u64 v[42:43], v[38:39], 0, v[32:33]
	global_store_dwordx2 v[42:43], v[40:41], off
	v_mul_f64 v[40:41], s[10:11], v[12:13]
	global_store_dwordx2 v[42:43], v[40:41], off offset:128
	v_mul_f64 v[40:41], s[10:11], v[10:11]
	;; [unrolled: 10-line block ×3, first 2 shown]
	global_store_dwordx2 v[38:39], v[40:41], off offset:256
	v_mul_f64 v[40:41], s[10:11], v[0:1]
	global_store_dwordx2 v[38:39], v[40:41], off offset:384
	s_andn2_b64 vcc, exec, s[6:7]
	s_cbranch_vccnz .LBB61_7
.LBB61_6:
	s_mul_i32 s2, s19, s4
	s_mul_hi_u32 s3, s18, s4
	s_add_i32 s3, s3, s2
	s_mul_i32 s2, s18, s4
	s_lshl_b64 s[2:3], s[2:3], 3
	s_add_u32 s2, s14, s2
	v_mul_lo_u32 v35, v35, s16
	v_mul_lo_u32 v40, v34, s17
	v_mad_u64_u32 v[38:39], s[4:5], v34, s16, 0
	s_addc_u32 s3, s15, s3
	v_add3_u32 v39, v39, v40, v35
	v_lshl_add_u64 v[38:39], v[38:39], 3, s[2:3]
	v_lshl_add_u64 v[40:41], v[38:39], 0, v[32:33]
	global_load_dwordx2 v[42:43], v[40:41], off
	v_mad_u64_u32 v[34:35], s[2:3], v34, s22, 0
	v_add3_u32 v35, v35, v37, v36
	v_lshl_add_u64 v[34:35], v[34:35], 3, s[0:1]
	v_lshl_add_u64 v[36:37], v[34:35], 0, v[32:33]
	s_lshl_b64 s[0:1], s[16:17], 7
	s_lshl_b64 s[2:3], s[22:23], 7
	s_waitcnt vmcnt(0)
	v_mul_f64 v[42:43], s[12:13], v[42:43]
	v_fmac_f64_e32 v[42:43], s[10:11], v[30:31]
	global_store_dwordx2 v[36:37], v[42:43], off
	global_load_dwordx2 v[30:31], v[40:41], off offset:128
	s_waitcnt vmcnt(0)
	v_mul_f64 v[30:31], s[12:13], v[30:31]
	v_fmac_f64_e32 v[30:31], s[10:11], v[28:29]
	global_store_dwordx2 v[36:37], v[30:31], off offset:128
	global_load_dwordx2 v[28:29], v[40:41], off offset:256
	s_waitcnt vmcnt(0)
	v_mul_f64 v[28:29], s[12:13], v[28:29]
	v_fmac_f64_e32 v[28:29], s[10:11], v[26:27]
	global_store_dwordx2 v[36:37], v[28:29], off offset:256
	global_load_dwordx2 v[26:27], v[40:41], off offset:384
	v_lshl_add_u64 v[28:29], v[38:39], 0, s[0:1]
	v_lshl_add_u64 v[30:31], v[28:29], 0, v[32:33]
	s_waitcnt vmcnt(0)
	v_mul_f64 v[26:27], s[12:13], v[26:27]
	v_fmac_f64_e32 v[26:27], s[10:11], v[24:25]
	global_store_dwordx2 v[36:37], v[26:27], off offset:384
	global_load_dwordx2 v[24:25], v[30:31], off
	v_lshl_add_u64 v[26:27], v[34:35], 0, s[2:3]
	v_lshl_add_u64 v[34:35], v[26:27], 0, v[32:33]
	s_waitcnt vmcnt(0)
	v_mul_f64 v[24:25], s[12:13], v[24:25]
	v_fmac_f64_e32 v[24:25], s[10:11], v[22:23]
	global_store_dwordx2 v[34:35], v[24:25], off
	global_load_dwordx2 v[22:23], v[30:31], off offset:128
	s_waitcnt vmcnt(0)
	v_mul_f64 v[22:23], s[12:13], v[22:23]
	v_fmac_f64_e32 v[22:23], s[10:11], v[20:21]
	global_store_dwordx2 v[34:35], v[22:23], off offset:128
	global_load_dwordx2 v[20:21], v[30:31], off offset:256
	s_waitcnt vmcnt(0)
	v_mul_f64 v[20:21], s[12:13], v[20:21]
	v_fmac_f64_e32 v[20:21], s[10:11], v[18:19]
	global_store_dwordx2 v[34:35], v[20:21], off offset:256
	global_load_dwordx2 v[18:19], v[30:31], off offset:384
	v_lshl_add_u64 v[20:21], v[28:29], 0, s[0:1]
	v_lshl_add_u64 v[22:23], v[20:21], 0, v[32:33]
	s_waitcnt vmcnt(0)
	v_mul_f64 v[18:19], s[12:13], v[18:19]
	v_fmac_f64_e32 v[18:19], s[10:11], v[16:17]
	global_store_dwordx2 v[34:35], v[18:19], off offset:384
	global_load_dwordx2 v[16:17], v[22:23], off
	v_lshl_add_u64 v[18:19], v[26:27], 0, s[2:3]
	v_lshl_add_u64 v[24:25], v[18:19], 0, v[32:33]
	s_waitcnt vmcnt(0)
	v_mul_f64 v[16:17], s[12:13], v[16:17]
	v_fmac_f64_e32 v[16:17], s[10:11], v[14:15]
	global_store_dwordx2 v[24:25], v[16:17], off
	global_load_dwordx2 v[14:15], v[22:23], off offset:128
	s_waitcnt vmcnt(0)
	v_mul_f64 v[14:15], s[12:13], v[14:15]
	v_fmac_f64_e32 v[14:15], s[10:11], v[12:13]
	global_store_dwordx2 v[24:25], v[14:15], off offset:128
	global_load_dwordx2 v[12:13], v[22:23], off offset:256
	s_waitcnt vmcnt(0)
	v_mul_f64 v[12:13], s[12:13], v[12:13]
	v_fmac_f64_e32 v[12:13], s[10:11], v[10:11]
	global_store_dwordx2 v[24:25], v[12:13], off offset:256
	global_load_dwordx2 v[10:11], v[22:23], off offset:384
	v_lshl_add_u64 v[12:13], v[20:21], 0, s[0:1]
	v_lshl_add_u64 v[12:13], v[12:13], 0, v[32:33]
	s_waitcnt vmcnt(0)
	v_mul_f64 v[10:11], s[12:13], v[10:11]
	v_fmac_f64_e32 v[10:11], s[10:11], v[8:9]
	global_store_dwordx2 v[24:25], v[10:11], off offset:384
	global_load_dwordx2 v[8:9], v[12:13], off
	v_lshl_add_u64 v[10:11], v[18:19], 0, s[2:3]
	s_waitcnt vmcnt(0)
	v_mul_f64 v[8:9], s[12:13], v[8:9]
	v_fmac_f64_e32 v[8:9], s[10:11], v[6:7]
	v_lshl_add_u64 v[6:7], v[10:11], 0, v[32:33]
	global_store_dwordx2 v[6:7], v[8:9], off
	global_load_dwordx2 v[8:9], v[12:13], off offset:128
	s_waitcnt vmcnt(0)
	v_mul_f64 v[8:9], s[12:13], v[8:9]
	v_fmac_f64_e32 v[8:9], s[10:11], v[4:5]
	global_store_dwordx2 v[6:7], v[8:9], off offset:128
	global_load_dwordx2 v[4:5], v[12:13], off offset:256
	s_waitcnt vmcnt(0)
	v_mul_f64 v[4:5], s[12:13], v[4:5]
	v_fmac_f64_e32 v[4:5], s[10:11], v[2:3]
	global_store_dwordx2 v[6:7], v[4:5], off offset:256
	;; [unrolled: 5-line block ×3, first 2 shown]
.LBB61_7:
	s_endpgm
.LBB61_8:
	s_branch .LBB61_6
	.section	.rodata,"a",@progbits
	.p2align	6, 0x0
	.amdhsa_kernel _ZN12_GLOBAL__N_127rocblas_gemm_batched_kernelIdLi16ELi16ELi64ELi64ELi4ELi64ELi4ELi4ELi64ELc84ELc78EKdS1_dEEvlllT_PT11_llS4_llS2_PT12_llPT13_lli
		.amdhsa_group_segment_fixed_size 4096
		.amdhsa_private_segment_fixed_size 0
		.amdhsa_kernarg_size 140
		.amdhsa_user_sgpr_count 2
		.amdhsa_user_sgpr_dispatch_ptr 0
		.amdhsa_user_sgpr_queue_ptr 0
		.amdhsa_user_sgpr_kernarg_segment_ptr 1
		.amdhsa_user_sgpr_dispatch_id 0
		.amdhsa_user_sgpr_kernarg_preload_length 0
		.amdhsa_user_sgpr_kernarg_preload_offset 0
		.amdhsa_user_sgpr_private_segment_size 0
		.amdhsa_uses_dynamic_stack 0
		.amdhsa_enable_private_segment 0
		.amdhsa_system_sgpr_workgroup_id_x 1
		.amdhsa_system_sgpr_workgroup_id_y 1
		.amdhsa_system_sgpr_workgroup_id_z 1
		.amdhsa_system_sgpr_workgroup_info 0
		.amdhsa_system_vgpr_workitem_id 1
		.amdhsa_next_free_vgpr 86
		.amdhsa_next_free_sgpr 28
		.amdhsa_accum_offset 88
		.amdhsa_reserve_vcc 1
		.amdhsa_float_round_mode_32 0
		.amdhsa_float_round_mode_16_64 0
		.amdhsa_float_denorm_mode_32 3
		.amdhsa_float_denorm_mode_16_64 3
		.amdhsa_dx10_clamp 1
		.amdhsa_ieee_mode 1
		.amdhsa_fp16_overflow 0
		.amdhsa_tg_split 0
		.amdhsa_exception_fp_ieee_invalid_op 0
		.amdhsa_exception_fp_denorm_src 0
		.amdhsa_exception_fp_ieee_div_zero 0
		.amdhsa_exception_fp_ieee_overflow 0
		.amdhsa_exception_fp_ieee_underflow 0
		.amdhsa_exception_fp_ieee_inexact 0
		.amdhsa_exception_int_div_zero 0
	.end_amdhsa_kernel
	.section	.text._ZN12_GLOBAL__N_127rocblas_gemm_batched_kernelIdLi16ELi16ELi64ELi64ELi4ELi64ELi4ELi4ELi64ELc84ELc78EKdS1_dEEvlllT_PT11_llS4_llS2_PT12_llPT13_lli,"axG",@progbits,_ZN12_GLOBAL__N_127rocblas_gemm_batched_kernelIdLi16ELi16ELi64ELi64ELi4ELi64ELi4ELi4ELi64ELc84ELc78EKdS1_dEEvlllT_PT11_llS4_llS2_PT12_llPT13_lli,comdat
.Lfunc_end61:
	.size	_ZN12_GLOBAL__N_127rocblas_gemm_batched_kernelIdLi16ELi16ELi64ELi64ELi4ELi64ELi4ELi4ELi64ELc84ELc78EKdS1_dEEvlllT_PT11_llS4_llS2_PT12_llPT13_lli, .Lfunc_end61-_ZN12_GLOBAL__N_127rocblas_gemm_batched_kernelIdLi16ELi16ELi64ELi64ELi4ELi64ELi4ELi4ELi64ELc84ELc78EKdS1_dEEvlllT_PT11_llS4_llS2_PT12_llPT13_lli
                                        ; -- End function
	.set _ZN12_GLOBAL__N_127rocblas_gemm_batched_kernelIdLi16ELi16ELi64ELi64ELi4ELi64ELi4ELi4ELi64ELc84ELc78EKdS1_dEEvlllT_PT11_llS4_llS2_PT12_llPT13_lli.num_vgpr, 86
	.set _ZN12_GLOBAL__N_127rocblas_gemm_batched_kernelIdLi16ELi16ELi64ELi64ELi4ELi64ELi4ELi4ELi64ELc84ELc78EKdS1_dEEvlllT_PT11_llS4_llS2_PT12_llPT13_lli.num_agpr, 0
	.set _ZN12_GLOBAL__N_127rocblas_gemm_batched_kernelIdLi16ELi16ELi64ELi64ELi4ELi64ELi4ELi4ELi64ELc84ELc78EKdS1_dEEvlllT_PT11_llS4_llS2_PT12_llPT13_lli.numbered_sgpr, 28
	.set _ZN12_GLOBAL__N_127rocblas_gemm_batched_kernelIdLi16ELi16ELi64ELi64ELi4ELi64ELi4ELi4ELi64ELc84ELc78EKdS1_dEEvlllT_PT11_llS4_llS2_PT12_llPT13_lli.num_named_barrier, 0
	.set _ZN12_GLOBAL__N_127rocblas_gemm_batched_kernelIdLi16ELi16ELi64ELi64ELi4ELi64ELi4ELi4ELi64ELc84ELc78EKdS1_dEEvlllT_PT11_llS4_llS2_PT12_llPT13_lli.private_seg_size, 0
	.set _ZN12_GLOBAL__N_127rocblas_gemm_batched_kernelIdLi16ELi16ELi64ELi64ELi4ELi64ELi4ELi4ELi64ELc84ELc78EKdS1_dEEvlllT_PT11_llS4_llS2_PT12_llPT13_lli.uses_vcc, 1
	.set _ZN12_GLOBAL__N_127rocblas_gemm_batched_kernelIdLi16ELi16ELi64ELi64ELi4ELi64ELi4ELi4ELi64ELc84ELc78EKdS1_dEEvlllT_PT11_llS4_llS2_PT12_llPT13_lli.uses_flat_scratch, 0
	.set _ZN12_GLOBAL__N_127rocblas_gemm_batched_kernelIdLi16ELi16ELi64ELi64ELi4ELi64ELi4ELi4ELi64ELc84ELc78EKdS1_dEEvlllT_PT11_llS4_llS2_PT12_llPT13_lli.has_dyn_sized_stack, 0
	.set _ZN12_GLOBAL__N_127rocblas_gemm_batched_kernelIdLi16ELi16ELi64ELi64ELi4ELi64ELi4ELi4ELi64ELc84ELc78EKdS1_dEEvlllT_PT11_llS4_llS2_PT12_llPT13_lli.has_recursion, 0
	.set _ZN12_GLOBAL__N_127rocblas_gemm_batched_kernelIdLi16ELi16ELi64ELi64ELi4ELi64ELi4ELi4ELi64ELc84ELc78EKdS1_dEEvlllT_PT11_llS4_llS2_PT12_llPT13_lli.has_indirect_call, 0
	.section	.AMDGPU.csdata,"",@progbits
; Kernel info:
; codeLenInByte = 2176
; TotalNumSgprs: 34
; NumVgprs: 86
; NumAgprs: 0
; TotalNumVgprs: 86
; ScratchSize: 0
; MemoryBound: 0
; FloatMode: 240
; IeeeMode: 1
; LDSByteSize: 4096 bytes/workgroup (compile time only)
; SGPRBlocks: 4
; VGPRBlocks: 10
; NumSGPRsForWavesPerEU: 34
; NumVGPRsForWavesPerEU: 86
; AccumOffset: 88
; Occupancy: 5
; WaveLimiterHint : 1
; COMPUTE_PGM_RSRC2:SCRATCH_EN: 0
; COMPUTE_PGM_RSRC2:USER_SGPR: 2
; COMPUTE_PGM_RSRC2:TRAP_HANDLER: 0
; COMPUTE_PGM_RSRC2:TGID_X_EN: 1
; COMPUTE_PGM_RSRC2:TGID_Y_EN: 1
; COMPUTE_PGM_RSRC2:TGID_Z_EN: 1
; COMPUTE_PGM_RSRC2:TIDIG_COMP_CNT: 1
; COMPUTE_PGM_RSRC3_GFX90A:ACCUM_OFFSET: 21
; COMPUTE_PGM_RSRC3_GFX90A:TG_SPLIT: 0
	.section	.text._ZN12_GLOBAL__N_127rocblas_gemm_batched_kernelIdLi16ELi16ELi64ELi64ELi4ELi64ELi4ELi4ELi64ELc78ELc84EKdS1_dEEvlllT_PT11_llS4_llS2_PT12_llPT13_lli,"axG",@progbits,_ZN12_GLOBAL__N_127rocblas_gemm_batched_kernelIdLi16ELi16ELi64ELi64ELi4ELi64ELi4ELi4ELi64ELc78ELc84EKdS1_dEEvlllT_PT11_llS4_llS2_PT12_llPT13_lli,comdat
	.globl	_ZN12_GLOBAL__N_127rocblas_gemm_batched_kernelIdLi16ELi16ELi64ELi64ELi4ELi64ELi4ELi4ELi64ELc78ELc84EKdS1_dEEvlllT_PT11_llS4_llS2_PT12_llPT13_lli ; -- Begin function _ZN12_GLOBAL__N_127rocblas_gemm_batched_kernelIdLi16ELi16ELi64ELi64ELi4ELi64ELi4ELi4ELi64ELc78ELc84EKdS1_dEEvlllT_PT11_llS4_llS2_PT12_llPT13_lli
	.p2align	8
	.type	_ZN12_GLOBAL__N_127rocblas_gemm_batched_kernelIdLi16ELi16ELi64ELi64ELi4ELi64ELi4ELi4ELi64ELc78ELc84EKdS1_dEEvlllT_PT11_llS4_llS2_PT12_llPT13_lli,@function
_ZN12_GLOBAL__N_127rocblas_gemm_batched_kernelIdLi16ELi16ELi64ELi64ELi4ELi64ELi4ELi4ELi64ELc78ELc84EKdS1_dEEvlllT_PT11_llS4_llS2_PT12_llPT13_lli: ; @_ZN12_GLOBAL__N_127rocblas_gemm_batched_kernelIdLi16ELi16ELi64ELi64ELi4ELi64ELi4ELi4ELi64ELc78ELc84EKdS1_dEEvlllT_PT11_llS4_llS2_PT12_llPT13_lli
; %bb.0:
	s_load_dwordx16 s[8:23], s[0:1], 0x10
	s_mov_b32 s6, s3
	v_mov_b32_e32 v35, 0
	s_ashr_i32 s3, s2, 31
	s_ashr_i32 s7, s6, 31
	s_waitcnt lgkmcnt(0)
	v_cmp_lt_i64_e64 s[24:25], s[8:9], 1
	v_bfe_u32 v34, v0, 10, 10
	v_and_b32_e32 v30, 0x3ff, v0
	v_mov_b32_e32 v31, v35
	s_lshl_b64 s[2:3], s[2:3], 6
	s_lshl_b64 s[6:7], s[6:7], 6
	s_and_b64 vcc, exec, s[24:25]
	s_cbranch_vccnz .LBB62_3
; %bb.1:
	v_lshl_add_u32 v4, v34, 4, v30
	v_and_b32_e32 v2, 63, v4
	v_lshrrev_b32_e32 v0, 2, v4
	v_and_b32_e32 v5, 3, v30
	v_lshrrev_b32_e32 v6, 6, v4
	v_lshlrev_b32_e32 v4, 3, v2
	v_lshl_or_b32 v42, v6, 9, v4
	v_lshlrev_b32_e32 v4, 3, v5
	v_mov_b32_e32 v1, v35
	v_lshl_or_b32 v4, v0, 5, v4
	v_add_u32_e32 v43, 0x800, v4
	v_mov_b32_e32 v4, 0x800
	s_mul_i32 s5, s23, s4
	s_mul_hi_u32 s23, s22, s4
	v_mad_u64_u32 v[0:1], s[24:25], s20, v5, v[0:1]
	v_lshl_add_u32 v45, v34, 5, v4
	s_add_i32 s23, s23, s5
	s_mul_i32 s22, s22, s4
	v_mov_b32_e32 v4, v1
	s_lshl_b64 s[22:23], s[22:23], 3
	v_mad_u64_u32 v[4:5], s[24:25], s21, v5, v[4:5]
	v_mov_b32_e32 v1, v4
	s_add_u32 s18, s18, s22
	v_lshl_add_u64 v[0:1], v[0:1], 0, s[6:7]
	s_addc_u32 s19, s19, s23
	v_lshl_add_u64 v[36:37], v[0:1], 3, s[18:19]
	v_mov_b64_e32 v[0:1], s[2:3]
	s_lshl_b64 s[18:19], s[20:21], 5
	s_mul_i32 s5, s17, s4
	s_mul_hi_u32 s17, s16, s4
	v_mad_u64_u32 v[0:1], s[20:21], s14, v6, v[0:1]
	s_add_i32 s17, s17, s5
	s_mul_i32 s16, s16, s4
	v_mov_b32_e32 v4, v1
	s_lshl_b64 s[16:17], s[16:17], 3
	v_mad_u64_u32 v[4:5], s[20:21], s15, v6, v[4:5]
	v_mov_b32_e32 v3, v35
	v_mov_b32_e32 v1, v4
	s_add_u32 s12, s12, s16
	v_lshl_add_u64 v[0:1], v[0:1], 0, v[2:3]
	s_addc_u32 s13, s13, s17
	v_lshlrev_b32_e32 v44, 3, v30
	v_lshl_add_u64 v[38:39], v[0:1], 3, s[12:13]
	s_lshl_b64 s[12:13], s[14:15], 5
	s_mov_b64 s[14:15], 0
	v_mov_b64_e32 v[0:1], 0
	v_mov_b64_e32 v[40:41], s[8:9]
	;; [unrolled: 1-line block ×17, first 2 shown]
.LBB62_2:                               ; =>This Inner Loop Header: Depth=1
	global_load_dwordx2 v[46:47], v[38:39], off
	global_load_dwordx2 v[48:49], v[36:37], off
	s_add_u32 s14, s14, 4
	s_addc_u32 s15, s15, 0
	v_cmp_lt_i64_e32 vcc, s[14:15], v[40:41]
	v_lshl_add_u64 v[36:37], v[36:37], 0, s[18:19]
	v_lshl_add_u64 v[38:39], v[38:39], 0, s[12:13]
	s_and_b64 vcc, exec, vcc
	s_waitcnt vmcnt(1)
	ds_write_b64 v42, v[46:47]
	s_waitcnt vmcnt(0)
	ds_write_b64 v43, v[48:49]
	s_waitcnt lgkmcnt(0)
	s_barrier
	ds_read2_b64 v[46:49], v44 offset1:16
	ds_read_b128 v[50:53], v45 offset:1536
	ds_read_b128 v[54:57], v45
	ds_read_b128 v[58:61], v45 offset:16
	ds_read_b128 v[62:65], v45 offset:512
	;; [unrolled: 1-line block ×5, first 2 shown]
	s_waitcnt lgkmcnt(5)
	v_fmac_f64_e32 v[32:33], v[46:47], v[54:55]
	v_fmac_f64_e32 v[28:29], v[48:49], v[54:55]
	s_waitcnt lgkmcnt(3)
	v_fmac_f64_e32 v[22:23], v[46:47], v[62:63]
	v_fmac_f64_e32 v[20:21], v[48:49], v[62:63]
	s_waitcnt lgkmcnt(1)
	v_fmac_f64_e32 v[14:15], v[46:47], v[70:71]
	v_fmac_f64_e32 v[12:13], v[48:49], v[70:71]
	v_fmac_f64_e32 v[6:7], v[46:47], v[50:51]
	v_fmac_f64_e32 v[4:5], v[48:49], v[50:51]
	ds_read2_b64 v[46:49], v44 offset0:32 offset1:48
	ds_read2_b64 v[82:85], v44 offset0:96 offset1:112
	ds_read_b128 v[78:81], v45 offset:1552
	s_waitcnt lgkmcnt(2)
	v_fmac_f64_e32 v[26:27], v[46:47], v[54:55]
	v_fmac_f64_e32 v[24:25], v[48:49], v[54:55]
	;; [unrolled: 1-line block ×8, first 2 shown]
	ds_read2_b64 v[46:49], v44 offset0:64 offset1:80
	s_waitcnt lgkmcnt(2)
	v_fmac_f64_e32 v[26:27], v[82:83], v[56:57]
	v_fmac_f64_e32 v[24:25], v[84:85], v[56:57]
	;; [unrolled: 1-line block ×4, first 2 shown]
	s_waitcnt lgkmcnt(0)
	v_fmac_f64_e32 v[32:33], v[46:47], v[56:57]
	v_fmac_f64_e32 v[28:29], v[48:49], v[56:57]
	;; [unrolled: 1-line block ×6, first 2 shown]
	ds_read2_b64 v[54:57], v44 offset0:128 offset1:144
	v_fmac_f64_e32 v[6:7], v[46:47], v[52:53]
	v_fmac_f64_e32 v[4:5], v[48:49], v[52:53]
	ds_read2_b64 v[46:49], v44 offset0:160 offset1:176
	v_fmac_f64_e32 v[2:3], v[82:83], v[52:53]
	v_fmac_f64_e32 v[0:1], v[84:85], v[52:53]
	ds_read2_b64 v[50:53], v44 offset0:192 offset1:208
	ds_read2_b64 v[62:65], v44 offset0:224 offset1:240
	v_fmac_f64_e32 v[10:11], v[82:83], v[72:73]
	v_fmac_f64_e32 v[8:9], v[84:85], v[72:73]
	s_waitcnt lgkmcnt(3)
	v_fmac_f64_e32 v[32:33], v[54:55], v[58:59]
	v_fmac_f64_e32 v[28:29], v[56:57], v[58:59]
	;; [unrolled: 1-line block ×8, first 2 shown]
	s_waitcnt lgkmcnt(2)
	v_fmac_f64_e32 v[26:27], v[46:47], v[58:59]
	v_fmac_f64_e32 v[24:25], v[48:49], v[58:59]
	;; [unrolled: 1-line block ×8, first 2 shown]
	s_waitcnt lgkmcnt(1)
	v_fmac_f64_e32 v[32:33], v[50:51], v[60:61]
	v_fmac_f64_e32 v[28:29], v[52:53], v[60:61]
	s_waitcnt lgkmcnt(0)
	v_fmac_f64_e32 v[26:27], v[62:63], v[60:61]
	v_fmac_f64_e32 v[24:25], v[64:65], v[60:61]
	v_fmac_f64_e32 v[22:23], v[50:51], v[68:69]
	v_fmac_f64_e32 v[20:21], v[52:53], v[68:69]
	v_fmac_f64_e32 v[18:19], v[62:63], v[68:69]
	v_fmac_f64_e32 v[16:17], v[64:65], v[68:69]
	v_fmac_f64_e32 v[14:15], v[50:51], v[76:77]
	v_fmac_f64_e32 v[12:13], v[52:53], v[76:77]
	v_fmac_f64_e32 v[10:11], v[62:63], v[76:77]
	v_fmac_f64_e32 v[8:9], v[64:65], v[76:77]
	v_fmac_f64_e32 v[6:7], v[50:51], v[80:81]
	v_fmac_f64_e32 v[4:5], v[52:53], v[80:81]
	v_fmac_f64_e32 v[2:3], v[62:63], v[80:81]
	v_fmac_f64_e32 v[0:1], v[64:65], v[80:81]
	s_barrier
	s_cbranch_vccnz .LBB62_2
	s_branch .LBB62_4
.LBB62_3:
	v_mov_b64_e32 v[32:33], 0
	v_mov_b64_e32 v[28:29], 0
	;; [unrolled: 1-line block ×16, first 2 shown]
.LBB62_4:
	s_load_dwordx8 s[20:27], s[0:1], 0x70
	s_load_dwordx8 s[12:19], s[0:1], 0x50
	v_lshl_add_u64 v[34:35], s[6:7], 0, v[34:35]
	v_lshl_add_u64 v[30:31], s[2:3], 0, v[30:31]
	s_mov_b64 s[6:7], 0
	s_waitcnt lgkmcnt(0)
	s_mul_i32 s1, s25, s4
	s_mul_hi_u32 s5, s24, s4
	s_mul_i32 s0, s24, s4
	s_add_i32 s1, s5, s1
	s_lshl_b64 s[0:1], s[0:1], 3
	s_add_u32 s0, s20, s0
	v_cmp_neq_f64_e64 s[8:9], s[12:13], 0
	s_addc_u32 s1, s21, s1
	s_and_b64 vcc, exec, s[8:9]
	v_mul_lo_u32 v36, v35, s22
	v_mul_lo_u32 v37, v34, s23
	v_lshlrev_b64 v[30:31], 3, v[30:31]
	s_cbranch_vccnz .LBB62_8
; %bb.5:
	v_mad_u64_u32 v[38:39], s[2:3], v34, s22, 0
	v_add3_u32 v39, v39, v37, v36
	v_lshl_add_u64 v[38:39], v[38:39], 3, s[0:1]
	v_mul_f64 v[40:41], s[10:11], v[32:33]
	v_lshl_add_u64 v[42:43], v[38:39], 0, v[30:31]
	global_store_dwordx2 v[42:43], v[40:41], off
	v_mul_f64 v[40:41], s[10:11], v[28:29]
	global_store_dwordx2 v[42:43], v[40:41], off offset:128
	v_mul_f64 v[40:41], s[10:11], v[26:27]
	s_lshl_b64 s[2:3], s[22:23], 7
	global_store_dwordx2 v[42:43], v[40:41], off offset:256
	v_mul_f64 v[40:41], s[10:11], v[24:25]
	v_lshl_add_u64 v[38:39], v[38:39], 0, s[2:3]
	global_store_dwordx2 v[42:43], v[40:41], off offset:384
	v_mul_f64 v[40:41], s[10:11], v[22:23]
	v_lshl_add_u64 v[42:43], v[38:39], 0, v[30:31]
	global_store_dwordx2 v[42:43], v[40:41], off
	v_mul_f64 v[40:41], s[10:11], v[20:21]
	global_store_dwordx2 v[42:43], v[40:41], off offset:128
	v_mul_f64 v[40:41], s[10:11], v[18:19]
	global_store_dwordx2 v[42:43], v[40:41], off offset:256
	v_mul_f64 v[40:41], s[10:11], v[16:17]
	v_lshl_add_u64 v[38:39], v[38:39], 0, s[2:3]
	global_store_dwordx2 v[42:43], v[40:41], off offset:384
	v_mul_f64 v[40:41], s[10:11], v[14:15]
	v_lshl_add_u64 v[42:43], v[38:39], 0, v[30:31]
	global_store_dwordx2 v[42:43], v[40:41], off
	v_mul_f64 v[40:41], s[10:11], v[12:13]
	global_store_dwordx2 v[42:43], v[40:41], off offset:128
	v_mul_f64 v[40:41], s[10:11], v[10:11]
	;; [unrolled: 10-line block ×3, first 2 shown]
	global_store_dwordx2 v[38:39], v[40:41], off offset:256
	v_mul_f64 v[40:41], s[10:11], v[0:1]
	global_store_dwordx2 v[38:39], v[40:41], off offset:384
	s_andn2_b64 vcc, exec, s[6:7]
	s_cbranch_vccnz .LBB62_7
.LBB62_6:
	s_mul_i32 s2, s19, s4
	s_mul_hi_u32 s3, s18, s4
	s_add_i32 s3, s3, s2
	s_mul_i32 s2, s18, s4
	s_lshl_b64 s[2:3], s[2:3], 3
	s_add_u32 s2, s14, s2
	v_mul_lo_u32 v35, v35, s16
	v_mul_lo_u32 v40, v34, s17
	v_mad_u64_u32 v[38:39], s[4:5], v34, s16, 0
	s_addc_u32 s3, s15, s3
	v_add3_u32 v39, v39, v40, v35
	v_lshl_add_u64 v[38:39], v[38:39], 3, s[2:3]
	v_lshl_add_u64 v[40:41], v[38:39], 0, v[30:31]
	global_load_dwordx2 v[42:43], v[40:41], off
	v_mad_u64_u32 v[34:35], s[2:3], v34, s22, 0
	v_add3_u32 v35, v35, v37, v36
	v_lshl_add_u64 v[34:35], v[34:35], 3, s[0:1]
	v_lshl_add_u64 v[36:37], v[34:35], 0, v[30:31]
	s_lshl_b64 s[0:1], s[16:17], 7
	s_lshl_b64 s[2:3], s[22:23], 7
	s_waitcnt vmcnt(0)
	v_mul_f64 v[42:43], s[12:13], v[42:43]
	v_fmac_f64_e32 v[42:43], s[10:11], v[32:33]
	global_store_dwordx2 v[36:37], v[42:43], off
	global_load_dwordx2 v[32:33], v[40:41], off offset:128
	s_waitcnt vmcnt(0)
	v_mul_f64 v[32:33], s[12:13], v[32:33]
	v_fmac_f64_e32 v[32:33], s[10:11], v[28:29]
	global_store_dwordx2 v[36:37], v[32:33], off offset:128
	global_load_dwordx2 v[28:29], v[40:41], off offset:256
	s_waitcnt vmcnt(0)
	v_mul_f64 v[28:29], s[12:13], v[28:29]
	v_fmac_f64_e32 v[28:29], s[10:11], v[26:27]
	global_store_dwordx2 v[36:37], v[28:29], off offset:256
	global_load_dwordx2 v[26:27], v[40:41], off offset:384
	v_lshl_add_u64 v[28:29], v[38:39], 0, s[0:1]
	v_lshl_add_u64 v[32:33], v[28:29], 0, v[30:31]
	s_waitcnt vmcnt(0)
	v_mul_f64 v[26:27], s[12:13], v[26:27]
	v_fmac_f64_e32 v[26:27], s[10:11], v[24:25]
	global_store_dwordx2 v[36:37], v[26:27], off offset:384
	global_load_dwordx2 v[24:25], v[32:33], off
	v_lshl_add_u64 v[26:27], v[34:35], 0, s[2:3]
	v_lshl_add_u64 v[34:35], v[26:27], 0, v[30:31]
	s_waitcnt vmcnt(0)
	v_mul_f64 v[24:25], s[12:13], v[24:25]
	v_fmac_f64_e32 v[24:25], s[10:11], v[22:23]
	global_store_dwordx2 v[34:35], v[24:25], off
	global_load_dwordx2 v[22:23], v[32:33], off offset:128
	s_waitcnt vmcnt(0)
	v_mul_f64 v[22:23], s[12:13], v[22:23]
	v_fmac_f64_e32 v[22:23], s[10:11], v[20:21]
	global_store_dwordx2 v[34:35], v[22:23], off offset:128
	global_load_dwordx2 v[20:21], v[32:33], off offset:256
	s_waitcnt vmcnt(0)
	v_mul_f64 v[20:21], s[12:13], v[20:21]
	v_fmac_f64_e32 v[20:21], s[10:11], v[18:19]
	global_store_dwordx2 v[34:35], v[20:21], off offset:256
	global_load_dwordx2 v[18:19], v[32:33], off offset:384
	v_lshl_add_u64 v[20:21], v[28:29], 0, s[0:1]
	v_lshl_add_u64 v[22:23], v[20:21], 0, v[30:31]
	s_waitcnt vmcnt(0)
	v_mul_f64 v[18:19], s[12:13], v[18:19]
	v_fmac_f64_e32 v[18:19], s[10:11], v[16:17]
	global_store_dwordx2 v[34:35], v[18:19], off offset:384
	global_load_dwordx2 v[16:17], v[22:23], off
	v_lshl_add_u64 v[18:19], v[26:27], 0, s[2:3]
	v_lshl_add_u64 v[24:25], v[18:19], 0, v[30:31]
	s_waitcnt vmcnt(0)
	v_mul_f64 v[16:17], s[12:13], v[16:17]
	v_fmac_f64_e32 v[16:17], s[10:11], v[14:15]
	global_store_dwordx2 v[24:25], v[16:17], off
	global_load_dwordx2 v[14:15], v[22:23], off offset:128
	s_waitcnt vmcnt(0)
	v_mul_f64 v[14:15], s[12:13], v[14:15]
	v_fmac_f64_e32 v[14:15], s[10:11], v[12:13]
	global_store_dwordx2 v[24:25], v[14:15], off offset:128
	global_load_dwordx2 v[12:13], v[22:23], off offset:256
	s_waitcnt vmcnt(0)
	v_mul_f64 v[12:13], s[12:13], v[12:13]
	v_fmac_f64_e32 v[12:13], s[10:11], v[10:11]
	global_store_dwordx2 v[24:25], v[12:13], off offset:256
	global_load_dwordx2 v[10:11], v[22:23], off offset:384
	v_lshl_add_u64 v[12:13], v[20:21], 0, s[0:1]
	v_lshl_add_u64 v[12:13], v[12:13], 0, v[30:31]
	s_waitcnt vmcnt(0)
	v_mul_f64 v[10:11], s[12:13], v[10:11]
	v_fmac_f64_e32 v[10:11], s[10:11], v[8:9]
	global_store_dwordx2 v[24:25], v[10:11], off offset:384
	global_load_dwordx2 v[8:9], v[12:13], off
	v_lshl_add_u64 v[10:11], v[18:19], 0, s[2:3]
	s_waitcnt vmcnt(0)
	v_mul_f64 v[8:9], s[12:13], v[8:9]
	v_fmac_f64_e32 v[8:9], s[10:11], v[6:7]
	v_lshl_add_u64 v[6:7], v[10:11], 0, v[30:31]
	global_store_dwordx2 v[6:7], v[8:9], off
	global_load_dwordx2 v[8:9], v[12:13], off offset:128
	s_waitcnt vmcnt(0)
	v_mul_f64 v[8:9], s[12:13], v[8:9]
	v_fmac_f64_e32 v[8:9], s[10:11], v[4:5]
	global_store_dwordx2 v[6:7], v[8:9], off offset:128
	global_load_dwordx2 v[4:5], v[12:13], off offset:256
	s_waitcnt vmcnt(0)
	v_mul_f64 v[4:5], s[12:13], v[4:5]
	v_fmac_f64_e32 v[4:5], s[10:11], v[2:3]
	global_store_dwordx2 v[6:7], v[4:5], off offset:256
	;; [unrolled: 5-line block ×3, first 2 shown]
.LBB62_7:
	s_endpgm
.LBB62_8:
	s_branch .LBB62_6
	.section	.rodata,"a",@progbits
	.p2align	6, 0x0
	.amdhsa_kernel _ZN12_GLOBAL__N_127rocblas_gemm_batched_kernelIdLi16ELi16ELi64ELi64ELi4ELi64ELi4ELi4ELi64ELc78ELc84EKdS1_dEEvlllT_PT11_llS4_llS2_PT12_llPT13_lli
		.amdhsa_group_segment_fixed_size 4096
		.amdhsa_private_segment_fixed_size 0
		.amdhsa_kernarg_size 140
		.amdhsa_user_sgpr_count 2
		.amdhsa_user_sgpr_dispatch_ptr 0
		.amdhsa_user_sgpr_queue_ptr 0
		.amdhsa_user_sgpr_kernarg_segment_ptr 1
		.amdhsa_user_sgpr_dispatch_id 0
		.amdhsa_user_sgpr_kernarg_preload_length 0
		.amdhsa_user_sgpr_kernarg_preload_offset 0
		.amdhsa_user_sgpr_private_segment_size 0
		.amdhsa_uses_dynamic_stack 0
		.amdhsa_enable_private_segment 0
		.amdhsa_system_sgpr_workgroup_id_x 1
		.amdhsa_system_sgpr_workgroup_id_y 1
		.amdhsa_system_sgpr_workgroup_id_z 1
		.amdhsa_system_sgpr_workgroup_info 0
		.amdhsa_system_vgpr_workitem_id 1
		.amdhsa_next_free_vgpr 86
		.amdhsa_next_free_sgpr 28
		.amdhsa_accum_offset 88
		.amdhsa_reserve_vcc 1
		.amdhsa_float_round_mode_32 0
		.amdhsa_float_round_mode_16_64 0
		.amdhsa_float_denorm_mode_32 3
		.amdhsa_float_denorm_mode_16_64 3
		.amdhsa_dx10_clamp 1
		.amdhsa_ieee_mode 1
		.amdhsa_fp16_overflow 0
		.amdhsa_tg_split 0
		.amdhsa_exception_fp_ieee_invalid_op 0
		.amdhsa_exception_fp_denorm_src 0
		.amdhsa_exception_fp_ieee_div_zero 0
		.amdhsa_exception_fp_ieee_overflow 0
		.amdhsa_exception_fp_ieee_underflow 0
		.amdhsa_exception_fp_ieee_inexact 0
		.amdhsa_exception_int_div_zero 0
	.end_amdhsa_kernel
	.section	.text._ZN12_GLOBAL__N_127rocblas_gemm_batched_kernelIdLi16ELi16ELi64ELi64ELi4ELi64ELi4ELi4ELi64ELc78ELc84EKdS1_dEEvlllT_PT11_llS4_llS2_PT12_llPT13_lli,"axG",@progbits,_ZN12_GLOBAL__N_127rocblas_gemm_batched_kernelIdLi16ELi16ELi64ELi64ELi4ELi64ELi4ELi4ELi64ELc78ELc84EKdS1_dEEvlllT_PT11_llS4_llS2_PT12_llPT13_lli,comdat
.Lfunc_end62:
	.size	_ZN12_GLOBAL__N_127rocblas_gemm_batched_kernelIdLi16ELi16ELi64ELi64ELi4ELi64ELi4ELi4ELi64ELc78ELc84EKdS1_dEEvlllT_PT11_llS4_llS2_PT12_llPT13_lli, .Lfunc_end62-_ZN12_GLOBAL__N_127rocblas_gemm_batched_kernelIdLi16ELi16ELi64ELi64ELi4ELi64ELi4ELi4ELi64ELc78ELc84EKdS1_dEEvlllT_PT11_llS4_llS2_PT12_llPT13_lli
                                        ; -- End function
	.set _ZN12_GLOBAL__N_127rocblas_gemm_batched_kernelIdLi16ELi16ELi64ELi64ELi4ELi64ELi4ELi4ELi64ELc78ELc84EKdS1_dEEvlllT_PT11_llS4_llS2_PT12_llPT13_lli.num_vgpr, 86
	.set _ZN12_GLOBAL__N_127rocblas_gemm_batched_kernelIdLi16ELi16ELi64ELi64ELi4ELi64ELi4ELi4ELi64ELc78ELc84EKdS1_dEEvlllT_PT11_llS4_llS2_PT12_llPT13_lli.num_agpr, 0
	.set _ZN12_GLOBAL__N_127rocblas_gemm_batched_kernelIdLi16ELi16ELi64ELi64ELi4ELi64ELi4ELi4ELi64ELc78ELc84EKdS1_dEEvlllT_PT11_llS4_llS2_PT12_llPT13_lli.numbered_sgpr, 28
	.set _ZN12_GLOBAL__N_127rocblas_gemm_batched_kernelIdLi16ELi16ELi64ELi64ELi4ELi64ELi4ELi4ELi64ELc78ELc84EKdS1_dEEvlllT_PT11_llS4_llS2_PT12_llPT13_lli.num_named_barrier, 0
	.set _ZN12_GLOBAL__N_127rocblas_gemm_batched_kernelIdLi16ELi16ELi64ELi64ELi4ELi64ELi4ELi4ELi64ELc78ELc84EKdS1_dEEvlllT_PT11_llS4_llS2_PT12_llPT13_lli.private_seg_size, 0
	.set _ZN12_GLOBAL__N_127rocblas_gemm_batched_kernelIdLi16ELi16ELi64ELi64ELi4ELi64ELi4ELi4ELi64ELc78ELc84EKdS1_dEEvlllT_PT11_llS4_llS2_PT12_llPT13_lli.uses_vcc, 1
	.set _ZN12_GLOBAL__N_127rocblas_gemm_batched_kernelIdLi16ELi16ELi64ELi64ELi4ELi64ELi4ELi4ELi64ELc78ELc84EKdS1_dEEvlllT_PT11_llS4_llS2_PT12_llPT13_lli.uses_flat_scratch, 0
	.set _ZN12_GLOBAL__N_127rocblas_gemm_batched_kernelIdLi16ELi16ELi64ELi64ELi4ELi64ELi4ELi4ELi64ELc78ELc84EKdS1_dEEvlllT_PT11_llS4_llS2_PT12_llPT13_lli.has_dyn_sized_stack, 0
	.set _ZN12_GLOBAL__N_127rocblas_gemm_batched_kernelIdLi16ELi16ELi64ELi64ELi4ELi64ELi4ELi4ELi64ELc78ELc84EKdS1_dEEvlllT_PT11_llS4_llS2_PT12_llPT13_lli.has_recursion, 0
	.set _ZN12_GLOBAL__N_127rocblas_gemm_batched_kernelIdLi16ELi16ELi64ELi64ELi4ELi64ELi4ELi4ELi64ELc78ELc84EKdS1_dEEvlllT_PT11_llS4_llS2_PT12_llPT13_lli.has_indirect_call, 0
	.section	.AMDGPU.csdata,"",@progbits
; Kernel info:
; codeLenInByte = 2144
; TotalNumSgprs: 34
; NumVgprs: 86
; NumAgprs: 0
; TotalNumVgprs: 86
; ScratchSize: 0
; MemoryBound: 0
; FloatMode: 240
; IeeeMode: 1
; LDSByteSize: 4096 bytes/workgroup (compile time only)
; SGPRBlocks: 4
; VGPRBlocks: 10
; NumSGPRsForWavesPerEU: 34
; NumVGPRsForWavesPerEU: 86
; AccumOffset: 88
; Occupancy: 5
; WaveLimiterHint : 1
; COMPUTE_PGM_RSRC2:SCRATCH_EN: 0
; COMPUTE_PGM_RSRC2:USER_SGPR: 2
; COMPUTE_PGM_RSRC2:TRAP_HANDLER: 0
; COMPUTE_PGM_RSRC2:TGID_X_EN: 1
; COMPUTE_PGM_RSRC2:TGID_Y_EN: 1
; COMPUTE_PGM_RSRC2:TGID_Z_EN: 1
; COMPUTE_PGM_RSRC2:TIDIG_COMP_CNT: 1
; COMPUTE_PGM_RSRC3_GFX90A:ACCUM_OFFSET: 21
; COMPUTE_PGM_RSRC3_GFX90A:TG_SPLIT: 0
	.section	.text._ZN12_GLOBAL__N_127rocblas_gemm_batched_kernelIdLi16ELi16ELi64ELi64ELi4ELi64ELi4ELi4ELi64ELc84ELc84EKdS1_dEEvlllT_PT11_llS4_llS2_PT12_llPT13_lli,"axG",@progbits,_ZN12_GLOBAL__N_127rocblas_gemm_batched_kernelIdLi16ELi16ELi64ELi64ELi4ELi64ELi4ELi4ELi64ELc84ELc84EKdS1_dEEvlllT_PT11_llS4_llS2_PT12_llPT13_lli,comdat
	.globl	_ZN12_GLOBAL__N_127rocblas_gemm_batched_kernelIdLi16ELi16ELi64ELi64ELi4ELi64ELi4ELi4ELi64ELc84ELc84EKdS1_dEEvlllT_PT11_llS4_llS2_PT12_llPT13_lli ; -- Begin function _ZN12_GLOBAL__N_127rocblas_gemm_batched_kernelIdLi16ELi16ELi64ELi64ELi4ELi64ELi4ELi4ELi64ELc84ELc84EKdS1_dEEvlllT_PT11_llS4_llS2_PT12_llPT13_lli
	.p2align	8
	.type	_ZN12_GLOBAL__N_127rocblas_gemm_batched_kernelIdLi16ELi16ELi64ELi64ELi4ELi64ELi4ELi4ELi64ELc84ELc84EKdS1_dEEvlllT_PT11_llS4_llS2_PT12_llPT13_lli,@function
_ZN12_GLOBAL__N_127rocblas_gemm_batched_kernelIdLi16ELi16ELi64ELi64ELi4ELi64ELi4ELi4ELi64ELc84ELc84EKdS1_dEEvlllT_PT11_llS4_llS2_PT12_llPT13_lli: ; @_ZN12_GLOBAL__N_127rocblas_gemm_batched_kernelIdLi16ELi16ELi64ELi64ELi4ELi64ELi4ELi4ELi64ELc84ELc84EKdS1_dEEvlllT_PT11_llS4_llS2_PT12_llPT13_lli
; %bb.0:
	s_load_dwordx16 s[8:23], s[0:1], 0x10
	s_mov_b32 s6, s3
	v_mov_b32_e32 v35, 0
	s_ashr_i32 s3, s2, 31
	s_ashr_i32 s7, s6, 31
	s_waitcnt lgkmcnt(0)
	v_cmp_lt_i64_e64 s[24:25], s[8:9], 1
	v_bfe_u32 v34, v0, 10, 10
	v_and_b32_e32 v32, 0x3ff, v0
	v_mov_b32_e32 v33, v35
	s_lshl_b64 s[2:3], s[2:3], 6
	s_lshl_b64 s[6:7], s[6:7], 6
	s_and_b64 vcc, exec, s[24:25]
	s_cbranch_vccnz .LBB63_3
; %bb.1:
	v_lshl_add_u32 v4, v34, 4, v32
	v_and_b32_e32 v2, 63, v4
	v_lshrrev_b32_e32 v0, 2, v4
	v_and_b32_e32 v5, 3, v32
	v_lshrrev_b32_e32 v6, 6, v4
	v_lshlrev_b32_e32 v4, 3, v2
	v_lshl_or_b32 v42, v6, 9, v4
	v_lshlrev_b32_e32 v4, 3, v5
	v_mov_b32_e32 v1, v35
	v_lshl_or_b32 v4, v0, 5, v4
	v_add_u32_e32 v43, 0x800, v4
	v_mov_b32_e32 v4, 0x800
	s_mul_i32 s5, s23, s4
	s_mul_hi_u32 s23, s22, s4
	v_mad_u64_u32 v[0:1], s[24:25], s20, v5, v[0:1]
	v_lshl_add_u32 v45, v34, 5, v4
	s_add_i32 s23, s23, s5
	s_mul_i32 s22, s22, s4
	v_mov_b32_e32 v4, v1
	s_lshl_b64 s[22:23], s[22:23], 3
	v_mad_u64_u32 v[4:5], s[24:25], s21, v5, v[4:5]
	v_mov_b32_e32 v1, v4
	s_add_u32 s18, s18, s22
	v_mov_b32_e32 v3, v35
	v_lshl_add_u64 v[0:1], v[0:1], 0, s[6:7]
	s_addc_u32 s19, s19, s23
	v_lshl_add_u64 v[36:37], v[0:1], 3, s[18:19]
	v_lshl_add_u64 v[0:1], s[2:3], 0, v[2:3]
	v_mul_lo_u32 v2, s15, v0
	v_mul_lo_u32 v3, s14, v1
	v_mad_u64_u32 v[0:1], s[14:15], s14, v0, 0
	s_mul_i32 s5, s17, s4
	s_mul_hi_u32 s14, s16, s4
	s_add_i32 s15, s14, s5
	s_mul_i32 s14, s16, s4
	v_add3_u32 v1, v1, v3, v2
	s_lshl_b64 s[14:15], s[14:15], 3
	v_lshl_add_u64 v[0:1], v[0:1], 3, s[14:15]
	v_lshlrev_b32_e32 v2, 3, v6
	v_mov_b32_e32 v3, v35
	v_lshl_add_u64 v[0:1], v[0:1], 0, v[2:3]
	v_lshlrev_b32_e32 v44, 3, v32
	s_lshl_b64 s[18:19], s[20:21], 5
	v_lshl_add_u64 v[38:39], s[12:13], 0, v[0:1]
	s_mov_b64 s[12:13], 0
	v_mov_b64_e32 v[0:1], 0
	v_mov_b64_e32 v[40:41], s[8:9]
	;; [unrolled: 1-line block ×17, first 2 shown]
.LBB63_2:                               ; =>This Inner Loop Header: Depth=1
	global_load_dwordx2 v[46:47], v[38:39], off
	global_load_dwordx2 v[48:49], v[36:37], off
	s_add_u32 s12, s12, 4
	s_addc_u32 s13, s13, 0
	v_cmp_lt_i64_e32 vcc, s[12:13], v[40:41]
	v_lshl_add_u64 v[36:37], v[36:37], 0, s[18:19]
	v_lshl_add_u64 v[38:39], v[38:39], 0, 32
	s_and_b64 vcc, exec, vcc
	s_waitcnt vmcnt(1)
	ds_write_b64 v42, v[46:47]
	s_waitcnt vmcnt(0)
	ds_write_b64 v43, v[48:49]
	s_waitcnt lgkmcnt(0)
	s_barrier
	ds_read2_b64 v[46:49], v44 offset1:16
	ds_read_b128 v[50:53], v45 offset:1536
	ds_read_b128 v[54:57], v45
	ds_read_b128 v[58:61], v45 offset:16
	ds_read_b128 v[62:65], v45 offset:512
	;; [unrolled: 1-line block ×5, first 2 shown]
	s_waitcnt lgkmcnt(5)
	v_fmac_f64_e32 v[30:31], v[46:47], v[54:55]
	v_fmac_f64_e32 v[28:29], v[48:49], v[54:55]
	s_waitcnt lgkmcnt(3)
	v_fmac_f64_e32 v[22:23], v[46:47], v[62:63]
	v_fmac_f64_e32 v[20:21], v[48:49], v[62:63]
	;; [unrolled: 3-line block ×3, first 2 shown]
	v_fmac_f64_e32 v[6:7], v[46:47], v[50:51]
	v_fmac_f64_e32 v[4:5], v[48:49], v[50:51]
	ds_read2_b64 v[46:49], v44 offset0:32 offset1:48
	ds_read2_b64 v[82:85], v44 offset0:96 offset1:112
	ds_read_b128 v[78:81], v45 offset:1552
	s_waitcnt lgkmcnt(2)
	v_fmac_f64_e32 v[26:27], v[46:47], v[54:55]
	v_fmac_f64_e32 v[24:25], v[48:49], v[54:55]
	;; [unrolled: 1-line block ×8, first 2 shown]
	ds_read2_b64 v[46:49], v44 offset0:64 offset1:80
	s_waitcnt lgkmcnt(2)
	v_fmac_f64_e32 v[26:27], v[82:83], v[56:57]
	v_fmac_f64_e32 v[24:25], v[84:85], v[56:57]
	;; [unrolled: 1-line block ×4, first 2 shown]
	s_waitcnt lgkmcnt(0)
	v_fmac_f64_e32 v[30:31], v[46:47], v[56:57]
	v_fmac_f64_e32 v[28:29], v[48:49], v[56:57]
	;; [unrolled: 1-line block ×6, first 2 shown]
	ds_read2_b64 v[54:57], v44 offset0:128 offset1:144
	v_fmac_f64_e32 v[6:7], v[46:47], v[52:53]
	v_fmac_f64_e32 v[4:5], v[48:49], v[52:53]
	ds_read2_b64 v[46:49], v44 offset0:160 offset1:176
	v_fmac_f64_e32 v[2:3], v[82:83], v[52:53]
	v_fmac_f64_e32 v[0:1], v[84:85], v[52:53]
	ds_read2_b64 v[50:53], v44 offset0:192 offset1:208
	ds_read2_b64 v[62:65], v44 offset0:224 offset1:240
	v_fmac_f64_e32 v[10:11], v[82:83], v[72:73]
	v_fmac_f64_e32 v[8:9], v[84:85], v[72:73]
	s_waitcnt lgkmcnt(3)
	v_fmac_f64_e32 v[30:31], v[54:55], v[58:59]
	v_fmac_f64_e32 v[28:29], v[56:57], v[58:59]
	v_fmac_f64_e32 v[22:23], v[54:55], v[66:67]
	v_fmac_f64_e32 v[20:21], v[56:57], v[66:67]
	v_fmac_f64_e32 v[14:15], v[54:55], v[74:75]
	v_fmac_f64_e32 v[12:13], v[56:57], v[74:75]
	v_fmac_f64_e32 v[6:7], v[54:55], v[78:79]
	v_fmac_f64_e32 v[4:5], v[56:57], v[78:79]
	s_waitcnt lgkmcnt(2)
	v_fmac_f64_e32 v[26:27], v[46:47], v[58:59]
	v_fmac_f64_e32 v[24:25], v[48:49], v[58:59]
	;; [unrolled: 1-line block ×8, first 2 shown]
	s_waitcnt lgkmcnt(1)
	v_fmac_f64_e32 v[30:31], v[50:51], v[60:61]
	v_fmac_f64_e32 v[28:29], v[52:53], v[60:61]
	s_waitcnt lgkmcnt(0)
	v_fmac_f64_e32 v[26:27], v[62:63], v[60:61]
	v_fmac_f64_e32 v[24:25], v[64:65], v[60:61]
	;; [unrolled: 1-line block ×14, first 2 shown]
	s_barrier
	s_cbranch_vccnz .LBB63_2
	s_branch .LBB63_4
.LBB63_3:
	v_mov_b64_e32 v[30:31], 0
	v_mov_b64_e32 v[28:29], 0
	;; [unrolled: 1-line block ×16, first 2 shown]
.LBB63_4:
	s_load_dwordx8 s[20:27], s[0:1], 0x70
	s_load_dwordx8 s[12:19], s[0:1], 0x50
	v_lshl_add_u64 v[34:35], s[6:7], 0, v[34:35]
	v_lshl_add_u64 v[32:33], s[2:3], 0, v[32:33]
	s_mov_b64 s[6:7], 0
	s_waitcnt lgkmcnt(0)
	s_mul_i32 s1, s25, s4
	s_mul_hi_u32 s5, s24, s4
	s_mul_i32 s0, s24, s4
	s_add_i32 s1, s5, s1
	s_lshl_b64 s[0:1], s[0:1], 3
	s_add_u32 s0, s20, s0
	v_cmp_neq_f64_e64 s[8:9], s[12:13], 0
	s_addc_u32 s1, s21, s1
	s_and_b64 vcc, exec, s[8:9]
	v_mul_lo_u32 v36, v35, s22
	v_mul_lo_u32 v37, v34, s23
	v_lshlrev_b64 v[32:33], 3, v[32:33]
	s_cbranch_vccnz .LBB63_8
; %bb.5:
	v_mad_u64_u32 v[38:39], s[2:3], v34, s22, 0
	v_add3_u32 v39, v39, v37, v36
	v_lshl_add_u64 v[38:39], v[38:39], 3, s[0:1]
	v_mul_f64 v[40:41], s[10:11], v[30:31]
	v_lshl_add_u64 v[42:43], v[38:39], 0, v[32:33]
	global_store_dwordx2 v[42:43], v[40:41], off
	v_mul_f64 v[40:41], s[10:11], v[28:29]
	global_store_dwordx2 v[42:43], v[40:41], off offset:128
	v_mul_f64 v[40:41], s[10:11], v[26:27]
	s_lshl_b64 s[2:3], s[22:23], 7
	global_store_dwordx2 v[42:43], v[40:41], off offset:256
	v_mul_f64 v[40:41], s[10:11], v[24:25]
	v_lshl_add_u64 v[38:39], v[38:39], 0, s[2:3]
	global_store_dwordx2 v[42:43], v[40:41], off offset:384
	v_mul_f64 v[40:41], s[10:11], v[22:23]
	v_lshl_add_u64 v[42:43], v[38:39], 0, v[32:33]
	global_store_dwordx2 v[42:43], v[40:41], off
	v_mul_f64 v[40:41], s[10:11], v[20:21]
	global_store_dwordx2 v[42:43], v[40:41], off offset:128
	v_mul_f64 v[40:41], s[10:11], v[18:19]
	global_store_dwordx2 v[42:43], v[40:41], off offset:256
	v_mul_f64 v[40:41], s[10:11], v[16:17]
	v_lshl_add_u64 v[38:39], v[38:39], 0, s[2:3]
	global_store_dwordx2 v[42:43], v[40:41], off offset:384
	v_mul_f64 v[40:41], s[10:11], v[14:15]
	v_lshl_add_u64 v[42:43], v[38:39], 0, v[32:33]
	global_store_dwordx2 v[42:43], v[40:41], off
	v_mul_f64 v[40:41], s[10:11], v[12:13]
	global_store_dwordx2 v[42:43], v[40:41], off offset:128
	v_mul_f64 v[40:41], s[10:11], v[10:11]
	;; [unrolled: 10-line block ×3, first 2 shown]
	global_store_dwordx2 v[38:39], v[40:41], off offset:256
	v_mul_f64 v[40:41], s[10:11], v[0:1]
	global_store_dwordx2 v[38:39], v[40:41], off offset:384
	s_andn2_b64 vcc, exec, s[6:7]
	s_cbranch_vccnz .LBB63_7
.LBB63_6:
	s_mul_i32 s2, s19, s4
	s_mul_hi_u32 s3, s18, s4
	s_add_i32 s3, s3, s2
	s_mul_i32 s2, s18, s4
	s_lshl_b64 s[2:3], s[2:3], 3
	s_add_u32 s2, s14, s2
	v_mul_lo_u32 v35, v35, s16
	v_mul_lo_u32 v40, v34, s17
	v_mad_u64_u32 v[38:39], s[4:5], v34, s16, 0
	s_addc_u32 s3, s15, s3
	v_add3_u32 v39, v39, v40, v35
	v_lshl_add_u64 v[38:39], v[38:39], 3, s[2:3]
	v_lshl_add_u64 v[40:41], v[38:39], 0, v[32:33]
	global_load_dwordx2 v[42:43], v[40:41], off
	v_mad_u64_u32 v[34:35], s[2:3], v34, s22, 0
	v_add3_u32 v35, v35, v37, v36
	v_lshl_add_u64 v[34:35], v[34:35], 3, s[0:1]
	v_lshl_add_u64 v[36:37], v[34:35], 0, v[32:33]
	s_lshl_b64 s[0:1], s[16:17], 7
	s_lshl_b64 s[2:3], s[22:23], 7
	s_waitcnt vmcnt(0)
	v_mul_f64 v[42:43], s[12:13], v[42:43]
	v_fmac_f64_e32 v[42:43], s[10:11], v[30:31]
	global_store_dwordx2 v[36:37], v[42:43], off
	global_load_dwordx2 v[30:31], v[40:41], off offset:128
	s_waitcnt vmcnt(0)
	v_mul_f64 v[30:31], s[12:13], v[30:31]
	v_fmac_f64_e32 v[30:31], s[10:11], v[28:29]
	global_store_dwordx2 v[36:37], v[30:31], off offset:128
	global_load_dwordx2 v[28:29], v[40:41], off offset:256
	s_waitcnt vmcnt(0)
	v_mul_f64 v[28:29], s[12:13], v[28:29]
	v_fmac_f64_e32 v[28:29], s[10:11], v[26:27]
	global_store_dwordx2 v[36:37], v[28:29], off offset:256
	global_load_dwordx2 v[26:27], v[40:41], off offset:384
	v_lshl_add_u64 v[28:29], v[38:39], 0, s[0:1]
	v_lshl_add_u64 v[30:31], v[28:29], 0, v[32:33]
	s_waitcnt vmcnt(0)
	v_mul_f64 v[26:27], s[12:13], v[26:27]
	v_fmac_f64_e32 v[26:27], s[10:11], v[24:25]
	global_store_dwordx2 v[36:37], v[26:27], off offset:384
	global_load_dwordx2 v[24:25], v[30:31], off
	v_lshl_add_u64 v[26:27], v[34:35], 0, s[2:3]
	v_lshl_add_u64 v[34:35], v[26:27], 0, v[32:33]
	s_waitcnt vmcnt(0)
	v_mul_f64 v[24:25], s[12:13], v[24:25]
	v_fmac_f64_e32 v[24:25], s[10:11], v[22:23]
	global_store_dwordx2 v[34:35], v[24:25], off
	global_load_dwordx2 v[22:23], v[30:31], off offset:128
	s_waitcnt vmcnt(0)
	v_mul_f64 v[22:23], s[12:13], v[22:23]
	v_fmac_f64_e32 v[22:23], s[10:11], v[20:21]
	global_store_dwordx2 v[34:35], v[22:23], off offset:128
	global_load_dwordx2 v[20:21], v[30:31], off offset:256
	s_waitcnt vmcnt(0)
	v_mul_f64 v[20:21], s[12:13], v[20:21]
	v_fmac_f64_e32 v[20:21], s[10:11], v[18:19]
	global_store_dwordx2 v[34:35], v[20:21], off offset:256
	global_load_dwordx2 v[18:19], v[30:31], off offset:384
	v_lshl_add_u64 v[20:21], v[28:29], 0, s[0:1]
	v_lshl_add_u64 v[22:23], v[20:21], 0, v[32:33]
	s_waitcnt vmcnt(0)
	v_mul_f64 v[18:19], s[12:13], v[18:19]
	v_fmac_f64_e32 v[18:19], s[10:11], v[16:17]
	global_store_dwordx2 v[34:35], v[18:19], off offset:384
	global_load_dwordx2 v[16:17], v[22:23], off
	v_lshl_add_u64 v[18:19], v[26:27], 0, s[2:3]
	v_lshl_add_u64 v[24:25], v[18:19], 0, v[32:33]
	s_waitcnt vmcnt(0)
	v_mul_f64 v[16:17], s[12:13], v[16:17]
	v_fmac_f64_e32 v[16:17], s[10:11], v[14:15]
	global_store_dwordx2 v[24:25], v[16:17], off
	global_load_dwordx2 v[14:15], v[22:23], off offset:128
	s_waitcnt vmcnt(0)
	v_mul_f64 v[14:15], s[12:13], v[14:15]
	v_fmac_f64_e32 v[14:15], s[10:11], v[12:13]
	global_store_dwordx2 v[24:25], v[14:15], off offset:128
	global_load_dwordx2 v[12:13], v[22:23], off offset:256
	s_waitcnt vmcnt(0)
	v_mul_f64 v[12:13], s[12:13], v[12:13]
	v_fmac_f64_e32 v[12:13], s[10:11], v[10:11]
	global_store_dwordx2 v[24:25], v[12:13], off offset:256
	global_load_dwordx2 v[10:11], v[22:23], off offset:384
	v_lshl_add_u64 v[12:13], v[20:21], 0, s[0:1]
	v_lshl_add_u64 v[12:13], v[12:13], 0, v[32:33]
	s_waitcnt vmcnt(0)
	v_mul_f64 v[10:11], s[12:13], v[10:11]
	v_fmac_f64_e32 v[10:11], s[10:11], v[8:9]
	global_store_dwordx2 v[24:25], v[10:11], off offset:384
	global_load_dwordx2 v[8:9], v[12:13], off
	v_lshl_add_u64 v[10:11], v[18:19], 0, s[2:3]
	s_waitcnt vmcnt(0)
	v_mul_f64 v[8:9], s[12:13], v[8:9]
	v_fmac_f64_e32 v[8:9], s[10:11], v[6:7]
	v_lshl_add_u64 v[6:7], v[10:11], 0, v[32:33]
	global_store_dwordx2 v[6:7], v[8:9], off
	global_load_dwordx2 v[8:9], v[12:13], off offset:128
	s_waitcnt vmcnt(0)
	v_mul_f64 v[8:9], s[12:13], v[8:9]
	v_fmac_f64_e32 v[8:9], s[10:11], v[4:5]
	global_store_dwordx2 v[6:7], v[8:9], off offset:128
	global_load_dwordx2 v[4:5], v[12:13], off offset:256
	s_waitcnt vmcnt(0)
	v_mul_f64 v[4:5], s[12:13], v[4:5]
	v_fmac_f64_e32 v[4:5], s[10:11], v[2:3]
	global_store_dwordx2 v[6:7], v[4:5], off offset:256
	;; [unrolled: 5-line block ×3, first 2 shown]
.LBB63_7:
	s_endpgm
.LBB63_8:
	s_branch .LBB63_6
	.section	.rodata,"a",@progbits
	.p2align	6, 0x0
	.amdhsa_kernel _ZN12_GLOBAL__N_127rocblas_gemm_batched_kernelIdLi16ELi16ELi64ELi64ELi4ELi64ELi4ELi4ELi64ELc84ELc84EKdS1_dEEvlllT_PT11_llS4_llS2_PT12_llPT13_lli
		.amdhsa_group_segment_fixed_size 4096
		.amdhsa_private_segment_fixed_size 0
		.amdhsa_kernarg_size 140
		.amdhsa_user_sgpr_count 2
		.amdhsa_user_sgpr_dispatch_ptr 0
		.amdhsa_user_sgpr_queue_ptr 0
		.amdhsa_user_sgpr_kernarg_segment_ptr 1
		.amdhsa_user_sgpr_dispatch_id 0
		.amdhsa_user_sgpr_kernarg_preload_length 0
		.amdhsa_user_sgpr_kernarg_preload_offset 0
		.amdhsa_user_sgpr_private_segment_size 0
		.amdhsa_uses_dynamic_stack 0
		.amdhsa_enable_private_segment 0
		.amdhsa_system_sgpr_workgroup_id_x 1
		.amdhsa_system_sgpr_workgroup_id_y 1
		.amdhsa_system_sgpr_workgroup_id_z 1
		.amdhsa_system_sgpr_workgroup_info 0
		.amdhsa_system_vgpr_workitem_id 1
		.amdhsa_next_free_vgpr 86
		.amdhsa_next_free_sgpr 28
		.amdhsa_accum_offset 88
		.amdhsa_reserve_vcc 1
		.amdhsa_float_round_mode_32 0
		.amdhsa_float_round_mode_16_64 0
		.amdhsa_float_denorm_mode_32 3
		.amdhsa_float_denorm_mode_16_64 3
		.amdhsa_dx10_clamp 1
		.amdhsa_ieee_mode 1
		.amdhsa_fp16_overflow 0
		.amdhsa_tg_split 0
		.amdhsa_exception_fp_ieee_invalid_op 0
		.amdhsa_exception_fp_denorm_src 0
		.amdhsa_exception_fp_ieee_div_zero 0
		.amdhsa_exception_fp_ieee_overflow 0
		.amdhsa_exception_fp_ieee_underflow 0
		.amdhsa_exception_fp_ieee_inexact 0
		.amdhsa_exception_int_div_zero 0
	.end_amdhsa_kernel
	.section	.text._ZN12_GLOBAL__N_127rocblas_gemm_batched_kernelIdLi16ELi16ELi64ELi64ELi4ELi64ELi4ELi4ELi64ELc84ELc84EKdS1_dEEvlllT_PT11_llS4_llS2_PT12_llPT13_lli,"axG",@progbits,_ZN12_GLOBAL__N_127rocblas_gemm_batched_kernelIdLi16ELi16ELi64ELi64ELi4ELi64ELi4ELi4ELi64ELc84ELc84EKdS1_dEEvlllT_PT11_llS4_llS2_PT12_llPT13_lli,comdat
.Lfunc_end63:
	.size	_ZN12_GLOBAL__N_127rocblas_gemm_batched_kernelIdLi16ELi16ELi64ELi64ELi4ELi64ELi4ELi4ELi64ELc84ELc84EKdS1_dEEvlllT_PT11_llS4_llS2_PT12_llPT13_lli, .Lfunc_end63-_ZN12_GLOBAL__N_127rocblas_gemm_batched_kernelIdLi16ELi16ELi64ELi64ELi4ELi64ELi4ELi4ELi64ELc84ELc84EKdS1_dEEvlllT_PT11_llS4_llS2_PT12_llPT13_lli
                                        ; -- End function
	.set _ZN12_GLOBAL__N_127rocblas_gemm_batched_kernelIdLi16ELi16ELi64ELi64ELi4ELi64ELi4ELi4ELi64ELc84ELc84EKdS1_dEEvlllT_PT11_llS4_llS2_PT12_llPT13_lli.num_vgpr, 86
	.set _ZN12_GLOBAL__N_127rocblas_gemm_batched_kernelIdLi16ELi16ELi64ELi64ELi4ELi64ELi4ELi4ELi64ELc84ELc84EKdS1_dEEvlllT_PT11_llS4_llS2_PT12_llPT13_lli.num_agpr, 0
	.set _ZN12_GLOBAL__N_127rocblas_gemm_batched_kernelIdLi16ELi16ELi64ELi64ELi4ELi64ELi4ELi4ELi64ELc84ELc84EKdS1_dEEvlllT_PT11_llS4_llS2_PT12_llPT13_lli.numbered_sgpr, 28
	.set _ZN12_GLOBAL__N_127rocblas_gemm_batched_kernelIdLi16ELi16ELi64ELi64ELi4ELi64ELi4ELi4ELi64ELc84ELc84EKdS1_dEEvlllT_PT11_llS4_llS2_PT12_llPT13_lli.num_named_barrier, 0
	.set _ZN12_GLOBAL__N_127rocblas_gemm_batched_kernelIdLi16ELi16ELi64ELi64ELi4ELi64ELi4ELi4ELi64ELc84ELc84EKdS1_dEEvlllT_PT11_llS4_llS2_PT12_llPT13_lli.private_seg_size, 0
	.set _ZN12_GLOBAL__N_127rocblas_gemm_batched_kernelIdLi16ELi16ELi64ELi64ELi4ELi64ELi4ELi4ELi64ELc84ELc84EKdS1_dEEvlllT_PT11_llS4_llS2_PT12_llPT13_lli.uses_vcc, 1
	.set _ZN12_GLOBAL__N_127rocblas_gemm_batched_kernelIdLi16ELi16ELi64ELi64ELi4ELi64ELi4ELi4ELi64ELc84ELc84EKdS1_dEEvlllT_PT11_llS4_llS2_PT12_llPT13_lli.uses_flat_scratch, 0
	.set _ZN12_GLOBAL__N_127rocblas_gemm_batched_kernelIdLi16ELi16ELi64ELi64ELi4ELi64ELi4ELi4ELi64ELc84ELc84EKdS1_dEEvlllT_PT11_llS4_llS2_PT12_llPT13_lli.has_dyn_sized_stack, 0
	.set _ZN12_GLOBAL__N_127rocblas_gemm_batched_kernelIdLi16ELi16ELi64ELi64ELi4ELi64ELi4ELi4ELi64ELc84ELc84EKdS1_dEEvlllT_PT11_llS4_llS2_PT12_llPT13_lli.has_recursion, 0
	.set _ZN12_GLOBAL__N_127rocblas_gemm_batched_kernelIdLi16ELi16ELi64ELi64ELi4ELi64ELi4ELi4ELi64ELc84ELc84EKdS1_dEEvlllT_PT11_llS4_llS2_PT12_llPT13_lli.has_indirect_call, 0
	.section	.AMDGPU.csdata,"",@progbits
; Kernel info:
; codeLenInByte = 2160
; TotalNumSgprs: 34
; NumVgprs: 86
; NumAgprs: 0
; TotalNumVgprs: 86
; ScratchSize: 0
; MemoryBound: 0
; FloatMode: 240
; IeeeMode: 1
; LDSByteSize: 4096 bytes/workgroup (compile time only)
; SGPRBlocks: 4
; VGPRBlocks: 10
; NumSGPRsForWavesPerEU: 34
; NumVGPRsForWavesPerEU: 86
; AccumOffset: 88
; Occupancy: 5
; WaveLimiterHint : 1
; COMPUTE_PGM_RSRC2:SCRATCH_EN: 0
; COMPUTE_PGM_RSRC2:USER_SGPR: 2
; COMPUTE_PGM_RSRC2:TRAP_HANDLER: 0
; COMPUTE_PGM_RSRC2:TGID_X_EN: 1
; COMPUTE_PGM_RSRC2:TGID_Y_EN: 1
; COMPUTE_PGM_RSRC2:TGID_Z_EN: 1
; COMPUTE_PGM_RSRC2:TIDIG_COMP_CNT: 1
; COMPUTE_PGM_RSRC3_GFX90A:ACCUM_OFFSET: 21
; COMPUTE_PGM_RSRC3_GFX90A:TG_SPLIT: 0
	.section	.text._ZN12_GLOBAL__N_127rocblas_gemm_batched_kernelIdLi16ELi16ELi64ELi64ELi4ELi64ELi4ELi4ELi64ELc67ELc67EKdS1_dEEvlllT_PT11_llS4_llS2_PT12_llPT13_lli,"axG",@progbits,_ZN12_GLOBAL__N_127rocblas_gemm_batched_kernelIdLi16ELi16ELi64ELi64ELi4ELi64ELi4ELi4ELi64ELc67ELc67EKdS1_dEEvlllT_PT11_llS4_llS2_PT12_llPT13_lli,comdat
	.globl	_ZN12_GLOBAL__N_127rocblas_gemm_batched_kernelIdLi16ELi16ELi64ELi64ELi4ELi64ELi4ELi4ELi64ELc67ELc67EKdS1_dEEvlllT_PT11_llS4_llS2_PT12_llPT13_lli ; -- Begin function _ZN12_GLOBAL__N_127rocblas_gemm_batched_kernelIdLi16ELi16ELi64ELi64ELi4ELi64ELi4ELi4ELi64ELc67ELc67EKdS1_dEEvlllT_PT11_llS4_llS2_PT12_llPT13_lli
	.p2align	8
	.type	_ZN12_GLOBAL__N_127rocblas_gemm_batched_kernelIdLi16ELi16ELi64ELi64ELi4ELi64ELi4ELi4ELi64ELc67ELc67EKdS1_dEEvlllT_PT11_llS4_llS2_PT12_llPT13_lli,@function
_ZN12_GLOBAL__N_127rocblas_gemm_batched_kernelIdLi16ELi16ELi64ELi64ELi4ELi64ELi4ELi4ELi64ELc67ELc67EKdS1_dEEvlllT_PT11_llS4_llS2_PT12_llPT13_lli: ; @_ZN12_GLOBAL__N_127rocblas_gemm_batched_kernelIdLi16ELi16ELi64ELi64ELi4ELi64ELi4ELi4ELi64ELc67ELc67EKdS1_dEEvlllT_PT11_llS4_llS2_PT12_llPT13_lli
; %bb.0:
	s_load_dwordx16 s[8:23], s[0:1], 0x10
	s_mov_b32 s6, s3
	v_mov_b32_e32 v35, 0
	s_ashr_i32 s3, s2, 31
	s_ashr_i32 s7, s6, 31
	s_waitcnt lgkmcnt(0)
	v_cmp_lt_i64_e64 s[24:25], s[8:9], 1
	v_bfe_u32 v34, v0, 10, 10
	v_and_b32_e32 v32, 0x3ff, v0
	v_mov_b32_e32 v33, v35
	s_lshl_b64 s[2:3], s[2:3], 6
	s_lshl_b64 s[6:7], s[6:7], 6
	s_and_b64 vcc, exec, s[24:25]
	s_cbranch_vccnz .LBB64_3
; %bb.1:
	v_lshl_add_u32 v4, v34, 4, v32
	v_and_b32_e32 v2, 63, v4
	v_lshrrev_b32_e32 v0, 2, v4
	v_and_b32_e32 v5, 3, v32
	v_lshrrev_b32_e32 v6, 6, v4
	v_lshlrev_b32_e32 v4, 3, v2
	v_lshl_or_b32 v42, v6, 9, v4
	v_lshlrev_b32_e32 v4, 3, v5
	v_mov_b32_e32 v1, v35
	v_lshl_or_b32 v4, v0, 5, v4
	v_add_u32_e32 v43, 0x800, v4
	v_mov_b32_e32 v4, 0x800
	s_mul_i32 s5, s23, s4
	s_mul_hi_u32 s23, s22, s4
	v_mad_u64_u32 v[0:1], s[24:25], s20, v5, v[0:1]
	v_lshl_add_u32 v45, v34, 5, v4
	s_add_i32 s23, s23, s5
	s_mul_i32 s22, s22, s4
	v_mov_b32_e32 v4, v1
	s_lshl_b64 s[22:23], s[22:23], 3
	v_mad_u64_u32 v[4:5], s[24:25], s21, v5, v[4:5]
	v_mov_b32_e32 v1, v4
	s_add_u32 s18, s18, s22
	v_mov_b32_e32 v3, v35
	v_lshl_add_u64 v[0:1], v[0:1], 0, s[6:7]
	s_addc_u32 s19, s19, s23
	v_lshl_add_u64 v[36:37], v[0:1], 3, s[18:19]
	v_lshl_add_u64 v[0:1], s[2:3], 0, v[2:3]
	v_mul_lo_u32 v2, s15, v0
	v_mul_lo_u32 v3, s14, v1
	v_mad_u64_u32 v[0:1], s[14:15], s14, v0, 0
	s_mul_i32 s5, s17, s4
	s_mul_hi_u32 s14, s16, s4
	s_add_i32 s15, s14, s5
	s_mul_i32 s14, s16, s4
	v_add3_u32 v1, v1, v3, v2
	s_lshl_b64 s[14:15], s[14:15], 3
	v_lshl_add_u64 v[0:1], v[0:1], 3, s[14:15]
	v_lshlrev_b32_e32 v2, 3, v6
	v_mov_b32_e32 v3, v35
	v_lshl_add_u64 v[0:1], v[0:1], 0, v[2:3]
	v_lshlrev_b32_e32 v44, 3, v32
	s_lshl_b64 s[18:19], s[20:21], 5
	v_lshl_add_u64 v[38:39], s[12:13], 0, v[0:1]
	s_mov_b64 s[12:13], 0
	v_mov_b64_e32 v[0:1], 0
	v_mov_b64_e32 v[40:41], s[8:9]
	;; [unrolled: 1-line block ×17, first 2 shown]
.LBB64_2:                               ; =>This Inner Loop Header: Depth=1
	global_load_dwordx2 v[46:47], v[38:39], off
	global_load_dwordx2 v[48:49], v[36:37], off
	s_add_u32 s12, s12, 4
	s_addc_u32 s13, s13, 0
	v_cmp_lt_i64_e32 vcc, s[12:13], v[40:41]
	v_lshl_add_u64 v[36:37], v[36:37], 0, s[18:19]
	v_lshl_add_u64 v[38:39], v[38:39], 0, 32
	s_and_b64 vcc, exec, vcc
	s_waitcnt vmcnt(1)
	ds_write_b64 v42, v[46:47]
	s_waitcnt vmcnt(0)
	ds_write_b64 v43, v[48:49]
	s_waitcnt lgkmcnt(0)
	s_barrier
	ds_read2_b64 v[46:49], v44 offset1:16
	ds_read_b128 v[50:53], v45 offset:1536
	ds_read_b128 v[54:57], v45
	ds_read_b128 v[58:61], v45 offset:16
	ds_read_b128 v[62:65], v45 offset:512
	;; [unrolled: 1-line block ×5, first 2 shown]
	s_waitcnt lgkmcnt(5)
	v_fmac_f64_e32 v[30:31], v[46:47], v[54:55]
	v_fmac_f64_e32 v[28:29], v[48:49], v[54:55]
	s_waitcnt lgkmcnt(3)
	v_fmac_f64_e32 v[22:23], v[46:47], v[62:63]
	v_fmac_f64_e32 v[20:21], v[48:49], v[62:63]
	;; [unrolled: 3-line block ×3, first 2 shown]
	v_fmac_f64_e32 v[6:7], v[46:47], v[50:51]
	v_fmac_f64_e32 v[4:5], v[48:49], v[50:51]
	ds_read2_b64 v[46:49], v44 offset0:32 offset1:48
	ds_read2_b64 v[82:85], v44 offset0:96 offset1:112
	ds_read_b128 v[78:81], v45 offset:1552
	s_waitcnt lgkmcnt(2)
	v_fmac_f64_e32 v[26:27], v[46:47], v[54:55]
	v_fmac_f64_e32 v[24:25], v[48:49], v[54:55]
	;; [unrolled: 1-line block ×8, first 2 shown]
	ds_read2_b64 v[46:49], v44 offset0:64 offset1:80
	s_waitcnt lgkmcnt(2)
	v_fmac_f64_e32 v[26:27], v[82:83], v[56:57]
	v_fmac_f64_e32 v[24:25], v[84:85], v[56:57]
	;; [unrolled: 1-line block ×4, first 2 shown]
	s_waitcnt lgkmcnt(0)
	v_fmac_f64_e32 v[30:31], v[46:47], v[56:57]
	v_fmac_f64_e32 v[28:29], v[48:49], v[56:57]
	;; [unrolled: 1-line block ×6, first 2 shown]
	ds_read2_b64 v[54:57], v44 offset0:128 offset1:144
	v_fmac_f64_e32 v[6:7], v[46:47], v[52:53]
	v_fmac_f64_e32 v[4:5], v[48:49], v[52:53]
	ds_read2_b64 v[46:49], v44 offset0:160 offset1:176
	v_fmac_f64_e32 v[2:3], v[82:83], v[52:53]
	v_fmac_f64_e32 v[0:1], v[84:85], v[52:53]
	ds_read2_b64 v[50:53], v44 offset0:192 offset1:208
	ds_read2_b64 v[62:65], v44 offset0:224 offset1:240
	v_fmac_f64_e32 v[10:11], v[82:83], v[72:73]
	v_fmac_f64_e32 v[8:9], v[84:85], v[72:73]
	s_waitcnt lgkmcnt(3)
	v_fmac_f64_e32 v[30:31], v[54:55], v[58:59]
	v_fmac_f64_e32 v[28:29], v[56:57], v[58:59]
	;; [unrolled: 1-line block ×8, first 2 shown]
	s_waitcnt lgkmcnt(2)
	v_fmac_f64_e32 v[26:27], v[46:47], v[58:59]
	v_fmac_f64_e32 v[24:25], v[48:49], v[58:59]
	;; [unrolled: 1-line block ×8, first 2 shown]
	s_waitcnt lgkmcnt(1)
	v_fmac_f64_e32 v[30:31], v[50:51], v[60:61]
	v_fmac_f64_e32 v[28:29], v[52:53], v[60:61]
	s_waitcnt lgkmcnt(0)
	v_fmac_f64_e32 v[26:27], v[62:63], v[60:61]
	v_fmac_f64_e32 v[24:25], v[64:65], v[60:61]
	v_fmac_f64_e32 v[22:23], v[50:51], v[68:69]
	v_fmac_f64_e32 v[20:21], v[52:53], v[68:69]
	v_fmac_f64_e32 v[18:19], v[62:63], v[68:69]
	v_fmac_f64_e32 v[16:17], v[64:65], v[68:69]
	v_fmac_f64_e32 v[14:15], v[50:51], v[76:77]
	v_fmac_f64_e32 v[12:13], v[52:53], v[76:77]
	v_fmac_f64_e32 v[10:11], v[62:63], v[76:77]
	v_fmac_f64_e32 v[8:9], v[64:65], v[76:77]
	v_fmac_f64_e32 v[6:7], v[50:51], v[80:81]
	v_fmac_f64_e32 v[4:5], v[52:53], v[80:81]
	v_fmac_f64_e32 v[2:3], v[62:63], v[80:81]
	v_fmac_f64_e32 v[0:1], v[64:65], v[80:81]
	s_barrier
	s_cbranch_vccnz .LBB64_2
	s_branch .LBB64_4
.LBB64_3:
	v_mov_b64_e32 v[30:31], 0
	v_mov_b64_e32 v[28:29], 0
	;; [unrolled: 1-line block ×16, first 2 shown]
.LBB64_4:
	s_load_dwordx8 s[20:27], s[0:1], 0x70
	s_load_dwordx8 s[12:19], s[0:1], 0x50
	v_lshl_add_u64 v[34:35], s[6:7], 0, v[34:35]
	v_lshl_add_u64 v[32:33], s[2:3], 0, v[32:33]
	s_mov_b64 s[6:7], 0
	s_waitcnt lgkmcnt(0)
	s_mul_i32 s1, s25, s4
	s_mul_hi_u32 s5, s24, s4
	s_mul_i32 s0, s24, s4
	s_add_i32 s1, s5, s1
	s_lshl_b64 s[0:1], s[0:1], 3
	s_add_u32 s0, s20, s0
	v_cmp_neq_f64_e64 s[8:9], s[12:13], 0
	s_addc_u32 s1, s21, s1
	s_and_b64 vcc, exec, s[8:9]
	v_mul_lo_u32 v36, v35, s22
	v_mul_lo_u32 v37, v34, s23
	v_lshlrev_b64 v[32:33], 3, v[32:33]
	s_cbranch_vccnz .LBB64_8
; %bb.5:
	v_mad_u64_u32 v[38:39], s[2:3], v34, s22, 0
	v_add3_u32 v39, v39, v37, v36
	v_lshl_add_u64 v[38:39], v[38:39], 3, s[0:1]
	v_mul_f64 v[40:41], s[10:11], v[30:31]
	v_lshl_add_u64 v[42:43], v[38:39], 0, v[32:33]
	global_store_dwordx2 v[42:43], v[40:41], off
	v_mul_f64 v[40:41], s[10:11], v[28:29]
	global_store_dwordx2 v[42:43], v[40:41], off offset:128
	v_mul_f64 v[40:41], s[10:11], v[26:27]
	s_lshl_b64 s[2:3], s[22:23], 7
	global_store_dwordx2 v[42:43], v[40:41], off offset:256
	v_mul_f64 v[40:41], s[10:11], v[24:25]
	v_lshl_add_u64 v[38:39], v[38:39], 0, s[2:3]
	global_store_dwordx2 v[42:43], v[40:41], off offset:384
	v_mul_f64 v[40:41], s[10:11], v[22:23]
	v_lshl_add_u64 v[42:43], v[38:39], 0, v[32:33]
	global_store_dwordx2 v[42:43], v[40:41], off
	v_mul_f64 v[40:41], s[10:11], v[20:21]
	global_store_dwordx2 v[42:43], v[40:41], off offset:128
	v_mul_f64 v[40:41], s[10:11], v[18:19]
	global_store_dwordx2 v[42:43], v[40:41], off offset:256
	v_mul_f64 v[40:41], s[10:11], v[16:17]
	v_lshl_add_u64 v[38:39], v[38:39], 0, s[2:3]
	global_store_dwordx2 v[42:43], v[40:41], off offset:384
	v_mul_f64 v[40:41], s[10:11], v[14:15]
	v_lshl_add_u64 v[42:43], v[38:39], 0, v[32:33]
	global_store_dwordx2 v[42:43], v[40:41], off
	v_mul_f64 v[40:41], s[10:11], v[12:13]
	global_store_dwordx2 v[42:43], v[40:41], off offset:128
	v_mul_f64 v[40:41], s[10:11], v[10:11]
	;; [unrolled: 10-line block ×3, first 2 shown]
	global_store_dwordx2 v[38:39], v[40:41], off offset:256
	v_mul_f64 v[40:41], s[10:11], v[0:1]
	global_store_dwordx2 v[38:39], v[40:41], off offset:384
	s_andn2_b64 vcc, exec, s[6:7]
	s_cbranch_vccnz .LBB64_7
.LBB64_6:
	s_mul_i32 s2, s19, s4
	s_mul_hi_u32 s3, s18, s4
	s_add_i32 s3, s3, s2
	s_mul_i32 s2, s18, s4
	s_lshl_b64 s[2:3], s[2:3], 3
	s_add_u32 s2, s14, s2
	v_mul_lo_u32 v35, v35, s16
	v_mul_lo_u32 v40, v34, s17
	v_mad_u64_u32 v[38:39], s[4:5], v34, s16, 0
	s_addc_u32 s3, s15, s3
	v_add3_u32 v39, v39, v40, v35
	v_lshl_add_u64 v[38:39], v[38:39], 3, s[2:3]
	v_lshl_add_u64 v[40:41], v[38:39], 0, v[32:33]
	global_load_dwordx2 v[42:43], v[40:41], off
	v_mad_u64_u32 v[34:35], s[2:3], v34, s22, 0
	v_add3_u32 v35, v35, v37, v36
	v_lshl_add_u64 v[34:35], v[34:35], 3, s[0:1]
	v_lshl_add_u64 v[36:37], v[34:35], 0, v[32:33]
	s_lshl_b64 s[0:1], s[16:17], 7
	s_lshl_b64 s[2:3], s[22:23], 7
	s_waitcnt vmcnt(0)
	v_mul_f64 v[42:43], s[12:13], v[42:43]
	v_fmac_f64_e32 v[42:43], s[10:11], v[30:31]
	global_store_dwordx2 v[36:37], v[42:43], off
	global_load_dwordx2 v[30:31], v[40:41], off offset:128
	s_waitcnt vmcnt(0)
	v_mul_f64 v[30:31], s[12:13], v[30:31]
	v_fmac_f64_e32 v[30:31], s[10:11], v[28:29]
	global_store_dwordx2 v[36:37], v[30:31], off offset:128
	global_load_dwordx2 v[28:29], v[40:41], off offset:256
	s_waitcnt vmcnt(0)
	v_mul_f64 v[28:29], s[12:13], v[28:29]
	v_fmac_f64_e32 v[28:29], s[10:11], v[26:27]
	global_store_dwordx2 v[36:37], v[28:29], off offset:256
	global_load_dwordx2 v[26:27], v[40:41], off offset:384
	v_lshl_add_u64 v[28:29], v[38:39], 0, s[0:1]
	v_lshl_add_u64 v[30:31], v[28:29], 0, v[32:33]
	s_waitcnt vmcnt(0)
	v_mul_f64 v[26:27], s[12:13], v[26:27]
	v_fmac_f64_e32 v[26:27], s[10:11], v[24:25]
	global_store_dwordx2 v[36:37], v[26:27], off offset:384
	global_load_dwordx2 v[24:25], v[30:31], off
	v_lshl_add_u64 v[26:27], v[34:35], 0, s[2:3]
	v_lshl_add_u64 v[34:35], v[26:27], 0, v[32:33]
	s_waitcnt vmcnt(0)
	v_mul_f64 v[24:25], s[12:13], v[24:25]
	v_fmac_f64_e32 v[24:25], s[10:11], v[22:23]
	global_store_dwordx2 v[34:35], v[24:25], off
	global_load_dwordx2 v[22:23], v[30:31], off offset:128
	s_waitcnt vmcnt(0)
	v_mul_f64 v[22:23], s[12:13], v[22:23]
	v_fmac_f64_e32 v[22:23], s[10:11], v[20:21]
	global_store_dwordx2 v[34:35], v[22:23], off offset:128
	global_load_dwordx2 v[20:21], v[30:31], off offset:256
	s_waitcnt vmcnt(0)
	v_mul_f64 v[20:21], s[12:13], v[20:21]
	v_fmac_f64_e32 v[20:21], s[10:11], v[18:19]
	global_store_dwordx2 v[34:35], v[20:21], off offset:256
	global_load_dwordx2 v[18:19], v[30:31], off offset:384
	v_lshl_add_u64 v[20:21], v[28:29], 0, s[0:1]
	v_lshl_add_u64 v[22:23], v[20:21], 0, v[32:33]
	s_waitcnt vmcnt(0)
	v_mul_f64 v[18:19], s[12:13], v[18:19]
	v_fmac_f64_e32 v[18:19], s[10:11], v[16:17]
	global_store_dwordx2 v[34:35], v[18:19], off offset:384
	global_load_dwordx2 v[16:17], v[22:23], off
	v_lshl_add_u64 v[18:19], v[26:27], 0, s[2:3]
	v_lshl_add_u64 v[24:25], v[18:19], 0, v[32:33]
	s_waitcnt vmcnt(0)
	v_mul_f64 v[16:17], s[12:13], v[16:17]
	v_fmac_f64_e32 v[16:17], s[10:11], v[14:15]
	global_store_dwordx2 v[24:25], v[16:17], off
	global_load_dwordx2 v[14:15], v[22:23], off offset:128
	s_waitcnt vmcnt(0)
	v_mul_f64 v[14:15], s[12:13], v[14:15]
	v_fmac_f64_e32 v[14:15], s[10:11], v[12:13]
	global_store_dwordx2 v[24:25], v[14:15], off offset:128
	global_load_dwordx2 v[12:13], v[22:23], off offset:256
	s_waitcnt vmcnt(0)
	v_mul_f64 v[12:13], s[12:13], v[12:13]
	v_fmac_f64_e32 v[12:13], s[10:11], v[10:11]
	global_store_dwordx2 v[24:25], v[12:13], off offset:256
	global_load_dwordx2 v[10:11], v[22:23], off offset:384
	v_lshl_add_u64 v[12:13], v[20:21], 0, s[0:1]
	v_lshl_add_u64 v[12:13], v[12:13], 0, v[32:33]
	s_waitcnt vmcnt(0)
	v_mul_f64 v[10:11], s[12:13], v[10:11]
	v_fmac_f64_e32 v[10:11], s[10:11], v[8:9]
	global_store_dwordx2 v[24:25], v[10:11], off offset:384
	global_load_dwordx2 v[8:9], v[12:13], off
	v_lshl_add_u64 v[10:11], v[18:19], 0, s[2:3]
	s_waitcnt vmcnt(0)
	v_mul_f64 v[8:9], s[12:13], v[8:9]
	v_fmac_f64_e32 v[8:9], s[10:11], v[6:7]
	v_lshl_add_u64 v[6:7], v[10:11], 0, v[32:33]
	global_store_dwordx2 v[6:7], v[8:9], off
	global_load_dwordx2 v[8:9], v[12:13], off offset:128
	s_waitcnt vmcnt(0)
	v_mul_f64 v[8:9], s[12:13], v[8:9]
	v_fmac_f64_e32 v[8:9], s[10:11], v[4:5]
	global_store_dwordx2 v[6:7], v[8:9], off offset:128
	global_load_dwordx2 v[4:5], v[12:13], off offset:256
	s_waitcnt vmcnt(0)
	v_mul_f64 v[4:5], s[12:13], v[4:5]
	v_fmac_f64_e32 v[4:5], s[10:11], v[2:3]
	global_store_dwordx2 v[6:7], v[4:5], off offset:256
	;; [unrolled: 5-line block ×3, first 2 shown]
.LBB64_7:
	s_endpgm
.LBB64_8:
	s_branch .LBB64_6
	.section	.rodata,"a",@progbits
	.p2align	6, 0x0
	.amdhsa_kernel _ZN12_GLOBAL__N_127rocblas_gemm_batched_kernelIdLi16ELi16ELi64ELi64ELi4ELi64ELi4ELi4ELi64ELc67ELc67EKdS1_dEEvlllT_PT11_llS4_llS2_PT12_llPT13_lli
		.amdhsa_group_segment_fixed_size 4096
		.amdhsa_private_segment_fixed_size 0
		.amdhsa_kernarg_size 140
		.amdhsa_user_sgpr_count 2
		.amdhsa_user_sgpr_dispatch_ptr 0
		.amdhsa_user_sgpr_queue_ptr 0
		.amdhsa_user_sgpr_kernarg_segment_ptr 1
		.amdhsa_user_sgpr_dispatch_id 0
		.amdhsa_user_sgpr_kernarg_preload_length 0
		.amdhsa_user_sgpr_kernarg_preload_offset 0
		.amdhsa_user_sgpr_private_segment_size 0
		.amdhsa_uses_dynamic_stack 0
		.amdhsa_enable_private_segment 0
		.amdhsa_system_sgpr_workgroup_id_x 1
		.amdhsa_system_sgpr_workgroup_id_y 1
		.amdhsa_system_sgpr_workgroup_id_z 1
		.amdhsa_system_sgpr_workgroup_info 0
		.amdhsa_system_vgpr_workitem_id 1
		.amdhsa_next_free_vgpr 86
		.amdhsa_next_free_sgpr 28
		.amdhsa_accum_offset 88
		.amdhsa_reserve_vcc 1
		.amdhsa_float_round_mode_32 0
		.amdhsa_float_round_mode_16_64 0
		.amdhsa_float_denorm_mode_32 3
		.amdhsa_float_denorm_mode_16_64 3
		.amdhsa_dx10_clamp 1
		.amdhsa_ieee_mode 1
		.amdhsa_fp16_overflow 0
		.amdhsa_tg_split 0
		.amdhsa_exception_fp_ieee_invalid_op 0
		.amdhsa_exception_fp_denorm_src 0
		.amdhsa_exception_fp_ieee_div_zero 0
		.amdhsa_exception_fp_ieee_overflow 0
		.amdhsa_exception_fp_ieee_underflow 0
		.amdhsa_exception_fp_ieee_inexact 0
		.amdhsa_exception_int_div_zero 0
	.end_amdhsa_kernel
	.section	.text._ZN12_GLOBAL__N_127rocblas_gemm_batched_kernelIdLi16ELi16ELi64ELi64ELi4ELi64ELi4ELi4ELi64ELc67ELc67EKdS1_dEEvlllT_PT11_llS4_llS2_PT12_llPT13_lli,"axG",@progbits,_ZN12_GLOBAL__N_127rocblas_gemm_batched_kernelIdLi16ELi16ELi64ELi64ELi4ELi64ELi4ELi4ELi64ELc67ELc67EKdS1_dEEvlllT_PT11_llS4_llS2_PT12_llPT13_lli,comdat
.Lfunc_end64:
	.size	_ZN12_GLOBAL__N_127rocblas_gemm_batched_kernelIdLi16ELi16ELi64ELi64ELi4ELi64ELi4ELi4ELi64ELc67ELc67EKdS1_dEEvlllT_PT11_llS4_llS2_PT12_llPT13_lli, .Lfunc_end64-_ZN12_GLOBAL__N_127rocblas_gemm_batched_kernelIdLi16ELi16ELi64ELi64ELi4ELi64ELi4ELi4ELi64ELc67ELc67EKdS1_dEEvlllT_PT11_llS4_llS2_PT12_llPT13_lli
                                        ; -- End function
	.set _ZN12_GLOBAL__N_127rocblas_gemm_batched_kernelIdLi16ELi16ELi64ELi64ELi4ELi64ELi4ELi4ELi64ELc67ELc67EKdS1_dEEvlllT_PT11_llS4_llS2_PT12_llPT13_lli.num_vgpr, 86
	.set _ZN12_GLOBAL__N_127rocblas_gemm_batched_kernelIdLi16ELi16ELi64ELi64ELi4ELi64ELi4ELi4ELi64ELc67ELc67EKdS1_dEEvlllT_PT11_llS4_llS2_PT12_llPT13_lli.num_agpr, 0
	.set _ZN12_GLOBAL__N_127rocblas_gemm_batched_kernelIdLi16ELi16ELi64ELi64ELi4ELi64ELi4ELi4ELi64ELc67ELc67EKdS1_dEEvlllT_PT11_llS4_llS2_PT12_llPT13_lli.numbered_sgpr, 28
	.set _ZN12_GLOBAL__N_127rocblas_gemm_batched_kernelIdLi16ELi16ELi64ELi64ELi4ELi64ELi4ELi4ELi64ELc67ELc67EKdS1_dEEvlllT_PT11_llS4_llS2_PT12_llPT13_lli.num_named_barrier, 0
	.set _ZN12_GLOBAL__N_127rocblas_gemm_batched_kernelIdLi16ELi16ELi64ELi64ELi4ELi64ELi4ELi4ELi64ELc67ELc67EKdS1_dEEvlllT_PT11_llS4_llS2_PT12_llPT13_lli.private_seg_size, 0
	.set _ZN12_GLOBAL__N_127rocblas_gemm_batched_kernelIdLi16ELi16ELi64ELi64ELi4ELi64ELi4ELi4ELi64ELc67ELc67EKdS1_dEEvlllT_PT11_llS4_llS2_PT12_llPT13_lli.uses_vcc, 1
	.set _ZN12_GLOBAL__N_127rocblas_gemm_batched_kernelIdLi16ELi16ELi64ELi64ELi4ELi64ELi4ELi4ELi64ELc67ELc67EKdS1_dEEvlllT_PT11_llS4_llS2_PT12_llPT13_lli.uses_flat_scratch, 0
	.set _ZN12_GLOBAL__N_127rocblas_gemm_batched_kernelIdLi16ELi16ELi64ELi64ELi4ELi64ELi4ELi4ELi64ELc67ELc67EKdS1_dEEvlllT_PT11_llS4_llS2_PT12_llPT13_lli.has_dyn_sized_stack, 0
	.set _ZN12_GLOBAL__N_127rocblas_gemm_batched_kernelIdLi16ELi16ELi64ELi64ELi4ELi64ELi4ELi4ELi64ELc67ELc67EKdS1_dEEvlllT_PT11_llS4_llS2_PT12_llPT13_lli.has_recursion, 0
	.set _ZN12_GLOBAL__N_127rocblas_gemm_batched_kernelIdLi16ELi16ELi64ELi64ELi4ELi64ELi4ELi4ELi64ELc67ELc67EKdS1_dEEvlllT_PT11_llS4_llS2_PT12_llPT13_lli.has_indirect_call, 0
	.section	.AMDGPU.csdata,"",@progbits
; Kernel info:
; codeLenInByte = 2160
; TotalNumSgprs: 34
; NumVgprs: 86
; NumAgprs: 0
; TotalNumVgprs: 86
; ScratchSize: 0
; MemoryBound: 0
; FloatMode: 240
; IeeeMode: 1
; LDSByteSize: 4096 bytes/workgroup (compile time only)
; SGPRBlocks: 4
; VGPRBlocks: 10
; NumSGPRsForWavesPerEU: 34
; NumVGPRsForWavesPerEU: 86
; AccumOffset: 88
; Occupancy: 5
; WaveLimiterHint : 1
; COMPUTE_PGM_RSRC2:SCRATCH_EN: 0
; COMPUTE_PGM_RSRC2:USER_SGPR: 2
; COMPUTE_PGM_RSRC2:TRAP_HANDLER: 0
; COMPUTE_PGM_RSRC2:TGID_X_EN: 1
; COMPUTE_PGM_RSRC2:TGID_Y_EN: 1
; COMPUTE_PGM_RSRC2:TGID_Z_EN: 1
; COMPUTE_PGM_RSRC2:TIDIG_COMP_CNT: 1
; COMPUTE_PGM_RSRC3_GFX90A:ACCUM_OFFSET: 21
; COMPUTE_PGM_RSRC3_GFX90A:TG_SPLIT: 0
	.section	.text._ZN12_GLOBAL__N_127rocblas_gemm_batched_kernelIdLi16ELi16ELi64ELi64ELi4ELi64ELi4ELi4ELi64ELc67ELc78EKdS1_dEEvlllT_PT11_llS4_llS2_PT12_llPT13_lli,"axG",@progbits,_ZN12_GLOBAL__N_127rocblas_gemm_batched_kernelIdLi16ELi16ELi64ELi64ELi4ELi64ELi4ELi4ELi64ELc67ELc78EKdS1_dEEvlllT_PT11_llS4_llS2_PT12_llPT13_lli,comdat
	.globl	_ZN12_GLOBAL__N_127rocblas_gemm_batched_kernelIdLi16ELi16ELi64ELi64ELi4ELi64ELi4ELi4ELi64ELc67ELc78EKdS1_dEEvlllT_PT11_llS4_llS2_PT12_llPT13_lli ; -- Begin function _ZN12_GLOBAL__N_127rocblas_gemm_batched_kernelIdLi16ELi16ELi64ELi64ELi4ELi64ELi4ELi4ELi64ELc67ELc78EKdS1_dEEvlllT_PT11_llS4_llS2_PT12_llPT13_lli
	.p2align	8
	.type	_ZN12_GLOBAL__N_127rocblas_gemm_batched_kernelIdLi16ELi16ELi64ELi64ELi4ELi64ELi4ELi4ELi64ELc67ELc78EKdS1_dEEvlllT_PT11_llS4_llS2_PT12_llPT13_lli,@function
_ZN12_GLOBAL__N_127rocblas_gemm_batched_kernelIdLi16ELi16ELi64ELi64ELi4ELi64ELi4ELi4ELi64ELc67ELc78EKdS1_dEEvlllT_PT11_llS4_llS2_PT12_llPT13_lli: ; @_ZN12_GLOBAL__N_127rocblas_gemm_batched_kernelIdLi16ELi16ELi64ELi64ELi4ELi64ELi4ELi4ELi64ELc67ELc78EKdS1_dEEvlllT_PT11_llS4_llS2_PT12_llPT13_lli
; %bb.0:
	s_load_dwordx16 s[8:23], s[0:1], 0x10
	s_mov_b32 s6, s3
	v_mov_b32_e32 v35, 0
	s_ashr_i32 s3, s2, 31
	s_ashr_i32 s7, s6, 31
	s_waitcnt lgkmcnt(0)
	v_cmp_lt_i64_e64 s[24:25], s[8:9], 1
	v_bfe_u32 v34, v0, 10, 10
	v_and_b32_e32 v32, 0x3ff, v0
	v_mov_b32_e32 v33, v35
	s_lshl_b64 s[2:3], s[2:3], 6
	s_lshl_b64 s[6:7], s[6:7], 6
	s_and_b64 vcc, exec, s[24:25]
	s_cbranch_vccnz .LBB65_3
; %bb.1:
	v_lshl_add_u32 v6, v34, 4, v32
	v_lshrrev_b32_e32 v0, 2, v6
	v_mov_b32_e32 v1, v35
	v_and_b32_e32 v4, 63, v6
	v_lshl_add_u64 v[2:3], v[0:1], 0, s[6:7]
	v_and_b32_e32 v1, 3, v32
	v_lshrrev_b32_e32 v8, 6, v6
	v_lshlrev_b32_e32 v6, 3, v4
	v_lshl_or_b32 v42, v8, 9, v6
	v_lshlrev_b32_e32 v6, 3, v1
	v_lshl_or_b32 v0, v0, 5, v6
	v_add_u32_e32 v43, 0x800, v0
	v_mov_b32_e32 v0, 0x800
	v_lshl_add_u32 v45, v34, 5, v0
	v_mul_lo_u32 v7, s21, v2
	v_mul_lo_u32 v3, s20, v3
	v_mad_u64_u32 v[0:1], s[20:21], s20, v2, 0
	s_mul_i32 s5, s23, s4
	s_mul_hi_u32 s20, s22, s4
	s_add_i32 s21, s20, s5
	s_mul_i32 s20, s22, s4
	v_add3_u32 v1, v1, v3, v7
	s_lshl_b64 s[20:21], s[20:21], 3
	v_lshl_add_u64 v[0:1], v[0:1], 3, s[20:21]
	v_mov_b32_e32 v7, v35
	v_mov_b32_e32 v5, v35
	v_lshl_add_u64 v[0:1], v[0:1], 0, v[6:7]
	v_lshl_add_u64 v[36:37], s[18:19], 0, v[0:1]
	;; [unrolled: 1-line block ×3, first 2 shown]
	v_mul_lo_u32 v2, s15, v0
	v_mul_lo_u32 v3, s14, v1
	v_mad_u64_u32 v[0:1], s[14:15], s14, v0, 0
	s_mul_i32 s5, s17, s4
	s_mul_hi_u32 s14, s16, s4
	s_add_i32 s15, s14, s5
	s_mul_i32 s14, s16, s4
	v_add3_u32 v1, v1, v3, v2
	s_lshl_b64 s[14:15], s[14:15], 3
	v_lshl_add_u64 v[0:1], v[0:1], 3, s[14:15]
	v_lshlrev_b32_e32 v2, 3, v8
	v_mov_b32_e32 v3, v35
	v_lshl_add_u64 v[0:1], v[0:1], 0, v[2:3]
	v_lshlrev_b32_e32 v44, 3, v32
	v_lshl_add_u64 v[38:39], s[12:13], 0, v[0:1]
	s_mov_b64 s[12:13], 0
	v_mov_b64_e32 v[0:1], 0
	v_mov_b64_e32 v[40:41], s[8:9]
	v_mov_b64_e32 v[2:3], 0
	v_mov_b64_e32 v[4:5], 0
	v_mov_b64_e32 v[6:7], 0
	v_mov_b64_e32 v[8:9], 0
	v_mov_b64_e32 v[10:11], 0
	v_mov_b64_e32 v[12:13], 0
	v_mov_b64_e32 v[14:15], 0
	v_mov_b64_e32 v[16:17], 0
	v_mov_b64_e32 v[18:19], 0
	v_mov_b64_e32 v[20:21], 0
	v_mov_b64_e32 v[22:23], 0
	v_mov_b64_e32 v[24:25], 0
	v_mov_b64_e32 v[26:27], 0
	v_mov_b64_e32 v[28:29], 0
	v_mov_b64_e32 v[30:31], 0
.LBB65_2:                               ; =>This Inner Loop Header: Depth=1
	global_load_dwordx2 v[46:47], v[38:39], off
	global_load_dwordx2 v[48:49], v[36:37], off
	s_add_u32 s12, s12, 4
	s_addc_u32 s13, s13, 0
	v_cmp_lt_i64_e32 vcc, s[12:13], v[40:41]
	v_lshl_add_u64 v[36:37], v[36:37], 0, 32
	v_lshl_add_u64 v[38:39], v[38:39], 0, 32
	s_and_b64 vcc, exec, vcc
	s_waitcnt vmcnt(1)
	ds_write_b64 v42, v[46:47]
	s_waitcnt vmcnt(0)
	ds_write_b64 v43, v[48:49]
	s_waitcnt lgkmcnt(0)
	s_barrier
	ds_read2_b64 v[46:49], v44 offset1:16
	ds_read_b128 v[50:53], v45 offset:1536
	ds_read_b128 v[54:57], v45
	ds_read_b128 v[58:61], v45 offset:16
	ds_read_b128 v[62:65], v45 offset:512
	;; [unrolled: 1-line block ×5, first 2 shown]
	s_waitcnt lgkmcnt(5)
	v_fmac_f64_e32 v[30:31], v[46:47], v[54:55]
	v_fmac_f64_e32 v[28:29], v[48:49], v[54:55]
	s_waitcnt lgkmcnt(3)
	v_fmac_f64_e32 v[22:23], v[46:47], v[62:63]
	v_fmac_f64_e32 v[20:21], v[48:49], v[62:63]
	;; [unrolled: 3-line block ×3, first 2 shown]
	v_fmac_f64_e32 v[6:7], v[46:47], v[50:51]
	v_fmac_f64_e32 v[4:5], v[48:49], v[50:51]
	ds_read2_b64 v[46:49], v44 offset0:32 offset1:48
	ds_read2_b64 v[82:85], v44 offset0:96 offset1:112
	ds_read_b128 v[78:81], v45 offset:1552
	s_waitcnt lgkmcnt(2)
	v_fmac_f64_e32 v[26:27], v[46:47], v[54:55]
	v_fmac_f64_e32 v[24:25], v[48:49], v[54:55]
	;; [unrolled: 1-line block ×8, first 2 shown]
	ds_read2_b64 v[46:49], v44 offset0:64 offset1:80
	s_waitcnt lgkmcnt(2)
	v_fmac_f64_e32 v[26:27], v[82:83], v[56:57]
	v_fmac_f64_e32 v[24:25], v[84:85], v[56:57]
	v_fmac_f64_e32 v[18:19], v[82:83], v[64:65]
	v_fmac_f64_e32 v[16:17], v[84:85], v[64:65]
	s_waitcnt lgkmcnt(0)
	v_fmac_f64_e32 v[30:31], v[46:47], v[56:57]
	v_fmac_f64_e32 v[28:29], v[48:49], v[56:57]
	;; [unrolled: 1-line block ×6, first 2 shown]
	ds_read2_b64 v[54:57], v44 offset0:128 offset1:144
	v_fmac_f64_e32 v[6:7], v[46:47], v[52:53]
	v_fmac_f64_e32 v[4:5], v[48:49], v[52:53]
	ds_read2_b64 v[46:49], v44 offset0:160 offset1:176
	v_fmac_f64_e32 v[2:3], v[82:83], v[52:53]
	v_fmac_f64_e32 v[0:1], v[84:85], v[52:53]
	ds_read2_b64 v[50:53], v44 offset0:192 offset1:208
	ds_read2_b64 v[62:65], v44 offset0:224 offset1:240
	v_fmac_f64_e32 v[10:11], v[82:83], v[72:73]
	v_fmac_f64_e32 v[8:9], v[84:85], v[72:73]
	s_waitcnt lgkmcnt(3)
	v_fmac_f64_e32 v[30:31], v[54:55], v[58:59]
	v_fmac_f64_e32 v[28:29], v[56:57], v[58:59]
	;; [unrolled: 1-line block ×8, first 2 shown]
	s_waitcnt lgkmcnt(2)
	v_fmac_f64_e32 v[26:27], v[46:47], v[58:59]
	v_fmac_f64_e32 v[24:25], v[48:49], v[58:59]
	;; [unrolled: 1-line block ×8, first 2 shown]
	s_waitcnt lgkmcnt(1)
	v_fmac_f64_e32 v[30:31], v[50:51], v[60:61]
	v_fmac_f64_e32 v[28:29], v[52:53], v[60:61]
	s_waitcnt lgkmcnt(0)
	v_fmac_f64_e32 v[26:27], v[62:63], v[60:61]
	v_fmac_f64_e32 v[24:25], v[64:65], v[60:61]
	;; [unrolled: 1-line block ×14, first 2 shown]
	s_barrier
	s_cbranch_vccnz .LBB65_2
	s_branch .LBB65_4
.LBB65_3:
	v_mov_b64_e32 v[30:31], 0
	v_mov_b64_e32 v[28:29], 0
	;; [unrolled: 1-line block ×16, first 2 shown]
.LBB65_4:
	s_load_dwordx8 s[20:27], s[0:1], 0x70
	s_load_dwordx8 s[12:19], s[0:1], 0x50
	v_lshl_add_u64 v[34:35], s[6:7], 0, v[34:35]
	v_lshl_add_u64 v[32:33], s[2:3], 0, v[32:33]
	s_mov_b64 s[6:7], 0
	s_waitcnt lgkmcnt(0)
	s_mul_i32 s1, s25, s4
	s_mul_hi_u32 s5, s24, s4
	s_mul_i32 s0, s24, s4
	s_add_i32 s1, s5, s1
	s_lshl_b64 s[0:1], s[0:1], 3
	s_add_u32 s0, s20, s0
	v_cmp_neq_f64_e64 s[8:9], s[12:13], 0
	s_addc_u32 s1, s21, s1
	s_and_b64 vcc, exec, s[8:9]
	v_mul_lo_u32 v36, v35, s22
	v_mul_lo_u32 v37, v34, s23
	v_lshlrev_b64 v[32:33], 3, v[32:33]
	s_cbranch_vccnz .LBB65_8
; %bb.5:
	v_mad_u64_u32 v[38:39], s[2:3], v34, s22, 0
	v_add3_u32 v39, v39, v37, v36
	v_lshl_add_u64 v[38:39], v[38:39], 3, s[0:1]
	v_mul_f64 v[40:41], s[10:11], v[30:31]
	v_lshl_add_u64 v[42:43], v[38:39], 0, v[32:33]
	global_store_dwordx2 v[42:43], v[40:41], off
	v_mul_f64 v[40:41], s[10:11], v[28:29]
	global_store_dwordx2 v[42:43], v[40:41], off offset:128
	v_mul_f64 v[40:41], s[10:11], v[26:27]
	s_lshl_b64 s[2:3], s[22:23], 7
	global_store_dwordx2 v[42:43], v[40:41], off offset:256
	v_mul_f64 v[40:41], s[10:11], v[24:25]
	v_lshl_add_u64 v[38:39], v[38:39], 0, s[2:3]
	global_store_dwordx2 v[42:43], v[40:41], off offset:384
	v_mul_f64 v[40:41], s[10:11], v[22:23]
	v_lshl_add_u64 v[42:43], v[38:39], 0, v[32:33]
	global_store_dwordx2 v[42:43], v[40:41], off
	v_mul_f64 v[40:41], s[10:11], v[20:21]
	global_store_dwordx2 v[42:43], v[40:41], off offset:128
	v_mul_f64 v[40:41], s[10:11], v[18:19]
	global_store_dwordx2 v[42:43], v[40:41], off offset:256
	v_mul_f64 v[40:41], s[10:11], v[16:17]
	v_lshl_add_u64 v[38:39], v[38:39], 0, s[2:3]
	global_store_dwordx2 v[42:43], v[40:41], off offset:384
	v_mul_f64 v[40:41], s[10:11], v[14:15]
	v_lshl_add_u64 v[42:43], v[38:39], 0, v[32:33]
	global_store_dwordx2 v[42:43], v[40:41], off
	v_mul_f64 v[40:41], s[10:11], v[12:13]
	global_store_dwordx2 v[42:43], v[40:41], off offset:128
	v_mul_f64 v[40:41], s[10:11], v[10:11]
	;; [unrolled: 10-line block ×3, first 2 shown]
	global_store_dwordx2 v[38:39], v[40:41], off offset:256
	v_mul_f64 v[40:41], s[10:11], v[0:1]
	global_store_dwordx2 v[38:39], v[40:41], off offset:384
	s_andn2_b64 vcc, exec, s[6:7]
	s_cbranch_vccnz .LBB65_7
.LBB65_6:
	s_mul_i32 s2, s19, s4
	s_mul_hi_u32 s3, s18, s4
	s_add_i32 s3, s3, s2
	s_mul_i32 s2, s18, s4
	s_lshl_b64 s[2:3], s[2:3], 3
	s_add_u32 s2, s14, s2
	v_mul_lo_u32 v35, v35, s16
	v_mul_lo_u32 v40, v34, s17
	v_mad_u64_u32 v[38:39], s[4:5], v34, s16, 0
	s_addc_u32 s3, s15, s3
	v_add3_u32 v39, v39, v40, v35
	v_lshl_add_u64 v[38:39], v[38:39], 3, s[2:3]
	v_lshl_add_u64 v[40:41], v[38:39], 0, v[32:33]
	global_load_dwordx2 v[42:43], v[40:41], off
	v_mad_u64_u32 v[34:35], s[2:3], v34, s22, 0
	v_add3_u32 v35, v35, v37, v36
	v_lshl_add_u64 v[34:35], v[34:35], 3, s[0:1]
	v_lshl_add_u64 v[36:37], v[34:35], 0, v[32:33]
	s_lshl_b64 s[0:1], s[16:17], 7
	s_lshl_b64 s[2:3], s[22:23], 7
	s_waitcnt vmcnt(0)
	v_mul_f64 v[42:43], s[12:13], v[42:43]
	v_fmac_f64_e32 v[42:43], s[10:11], v[30:31]
	global_store_dwordx2 v[36:37], v[42:43], off
	global_load_dwordx2 v[30:31], v[40:41], off offset:128
	s_waitcnt vmcnt(0)
	v_mul_f64 v[30:31], s[12:13], v[30:31]
	v_fmac_f64_e32 v[30:31], s[10:11], v[28:29]
	global_store_dwordx2 v[36:37], v[30:31], off offset:128
	global_load_dwordx2 v[28:29], v[40:41], off offset:256
	s_waitcnt vmcnt(0)
	v_mul_f64 v[28:29], s[12:13], v[28:29]
	v_fmac_f64_e32 v[28:29], s[10:11], v[26:27]
	global_store_dwordx2 v[36:37], v[28:29], off offset:256
	global_load_dwordx2 v[26:27], v[40:41], off offset:384
	v_lshl_add_u64 v[28:29], v[38:39], 0, s[0:1]
	v_lshl_add_u64 v[30:31], v[28:29], 0, v[32:33]
	s_waitcnt vmcnt(0)
	v_mul_f64 v[26:27], s[12:13], v[26:27]
	v_fmac_f64_e32 v[26:27], s[10:11], v[24:25]
	global_store_dwordx2 v[36:37], v[26:27], off offset:384
	global_load_dwordx2 v[24:25], v[30:31], off
	v_lshl_add_u64 v[26:27], v[34:35], 0, s[2:3]
	v_lshl_add_u64 v[34:35], v[26:27], 0, v[32:33]
	s_waitcnt vmcnt(0)
	v_mul_f64 v[24:25], s[12:13], v[24:25]
	v_fmac_f64_e32 v[24:25], s[10:11], v[22:23]
	global_store_dwordx2 v[34:35], v[24:25], off
	global_load_dwordx2 v[22:23], v[30:31], off offset:128
	s_waitcnt vmcnt(0)
	v_mul_f64 v[22:23], s[12:13], v[22:23]
	v_fmac_f64_e32 v[22:23], s[10:11], v[20:21]
	global_store_dwordx2 v[34:35], v[22:23], off offset:128
	global_load_dwordx2 v[20:21], v[30:31], off offset:256
	s_waitcnt vmcnt(0)
	v_mul_f64 v[20:21], s[12:13], v[20:21]
	v_fmac_f64_e32 v[20:21], s[10:11], v[18:19]
	global_store_dwordx2 v[34:35], v[20:21], off offset:256
	global_load_dwordx2 v[18:19], v[30:31], off offset:384
	v_lshl_add_u64 v[20:21], v[28:29], 0, s[0:1]
	v_lshl_add_u64 v[22:23], v[20:21], 0, v[32:33]
	s_waitcnt vmcnt(0)
	v_mul_f64 v[18:19], s[12:13], v[18:19]
	v_fmac_f64_e32 v[18:19], s[10:11], v[16:17]
	global_store_dwordx2 v[34:35], v[18:19], off offset:384
	global_load_dwordx2 v[16:17], v[22:23], off
	v_lshl_add_u64 v[18:19], v[26:27], 0, s[2:3]
	v_lshl_add_u64 v[24:25], v[18:19], 0, v[32:33]
	s_waitcnt vmcnt(0)
	v_mul_f64 v[16:17], s[12:13], v[16:17]
	v_fmac_f64_e32 v[16:17], s[10:11], v[14:15]
	global_store_dwordx2 v[24:25], v[16:17], off
	global_load_dwordx2 v[14:15], v[22:23], off offset:128
	s_waitcnt vmcnt(0)
	v_mul_f64 v[14:15], s[12:13], v[14:15]
	v_fmac_f64_e32 v[14:15], s[10:11], v[12:13]
	global_store_dwordx2 v[24:25], v[14:15], off offset:128
	global_load_dwordx2 v[12:13], v[22:23], off offset:256
	s_waitcnt vmcnt(0)
	v_mul_f64 v[12:13], s[12:13], v[12:13]
	v_fmac_f64_e32 v[12:13], s[10:11], v[10:11]
	global_store_dwordx2 v[24:25], v[12:13], off offset:256
	global_load_dwordx2 v[10:11], v[22:23], off offset:384
	v_lshl_add_u64 v[12:13], v[20:21], 0, s[0:1]
	v_lshl_add_u64 v[12:13], v[12:13], 0, v[32:33]
	s_waitcnt vmcnt(0)
	v_mul_f64 v[10:11], s[12:13], v[10:11]
	v_fmac_f64_e32 v[10:11], s[10:11], v[8:9]
	global_store_dwordx2 v[24:25], v[10:11], off offset:384
	global_load_dwordx2 v[8:9], v[12:13], off
	v_lshl_add_u64 v[10:11], v[18:19], 0, s[2:3]
	s_waitcnt vmcnt(0)
	v_mul_f64 v[8:9], s[12:13], v[8:9]
	v_fmac_f64_e32 v[8:9], s[10:11], v[6:7]
	v_lshl_add_u64 v[6:7], v[10:11], 0, v[32:33]
	global_store_dwordx2 v[6:7], v[8:9], off
	global_load_dwordx2 v[8:9], v[12:13], off offset:128
	s_waitcnt vmcnt(0)
	v_mul_f64 v[8:9], s[12:13], v[8:9]
	v_fmac_f64_e32 v[8:9], s[10:11], v[4:5]
	global_store_dwordx2 v[6:7], v[8:9], off offset:128
	global_load_dwordx2 v[4:5], v[12:13], off offset:256
	s_waitcnt vmcnt(0)
	v_mul_f64 v[4:5], s[12:13], v[4:5]
	v_fmac_f64_e32 v[4:5], s[10:11], v[2:3]
	global_store_dwordx2 v[6:7], v[4:5], off offset:256
	;; [unrolled: 5-line block ×3, first 2 shown]
.LBB65_7:
	s_endpgm
.LBB65_8:
	s_branch .LBB65_6
	.section	.rodata,"a",@progbits
	.p2align	6, 0x0
	.amdhsa_kernel _ZN12_GLOBAL__N_127rocblas_gemm_batched_kernelIdLi16ELi16ELi64ELi64ELi4ELi64ELi4ELi4ELi64ELc67ELc78EKdS1_dEEvlllT_PT11_llS4_llS2_PT12_llPT13_lli
		.amdhsa_group_segment_fixed_size 4096
		.amdhsa_private_segment_fixed_size 0
		.amdhsa_kernarg_size 140
		.amdhsa_user_sgpr_count 2
		.amdhsa_user_sgpr_dispatch_ptr 0
		.amdhsa_user_sgpr_queue_ptr 0
		.amdhsa_user_sgpr_kernarg_segment_ptr 1
		.amdhsa_user_sgpr_dispatch_id 0
		.amdhsa_user_sgpr_kernarg_preload_length 0
		.amdhsa_user_sgpr_kernarg_preload_offset 0
		.amdhsa_user_sgpr_private_segment_size 0
		.amdhsa_uses_dynamic_stack 0
		.amdhsa_enable_private_segment 0
		.amdhsa_system_sgpr_workgroup_id_x 1
		.amdhsa_system_sgpr_workgroup_id_y 1
		.amdhsa_system_sgpr_workgroup_id_z 1
		.amdhsa_system_sgpr_workgroup_info 0
		.amdhsa_system_vgpr_workitem_id 1
		.amdhsa_next_free_vgpr 86
		.amdhsa_next_free_sgpr 28
		.amdhsa_accum_offset 88
		.amdhsa_reserve_vcc 1
		.amdhsa_float_round_mode_32 0
		.amdhsa_float_round_mode_16_64 0
		.amdhsa_float_denorm_mode_32 3
		.amdhsa_float_denorm_mode_16_64 3
		.amdhsa_dx10_clamp 1
		.amdhsa_ieee_mode 1
		.amdhsa_fp16_overflow 0
		.amdhsa_tg_split 0
		.amdhsa_exception_fp_ieee_invalid_op 0
		.amdhsa_exception_fp_denorm_src 0
		.amdhsa_exception_fp_ieee_div_zero 0
		.amdhsa_exception_fp_ieee_overflow 0
		.amdhsa_exception_fp_ieee_underflow 0
		.amdhsa_exception_fp_ieee_inexact 0
		.amdhsa_exception_int_div_zero 0
	.end_amdhsa_kernel
	.section	.text._ZN12_GLOBAL__N_127rocblas_gemm_batched_kernelIdLi16ELi16ELi64ELi64ELi4ELi64ELi4ELi4ELi64ELc67ELc78EKdS1_dEEvlllT_PT11_llS4_llS2_PT12_llPT13_lli,"axG",@progbits,_ZN12_GLOBAL__N_127rocblas_gemm_batched_kernelIdLi16ELi16ELi64ELi64ELi4ELi64ELi4ELi4ELi64ELc67ELc78EKdS1_dEEvlllT_PT11_llS4_llS2_PT12_llPT13_lli,comdat
.Lfunc_end65:
	.size	_ZN12_GLOBAL__N_127rocblas_gemm_batched_kernelIdLi16ELi16ELi64ELi64ELi4ELi64ELi4ELi4ELi64ELc67ELc78EKdS1_dEEvlllT_PT11_llS4_llS2_PT12_llPT13_lli, .Lfunc_end65-_ZN12_GLOBAL__N_127rocblas_gemm_batched_kernelIdLi16ELi16ELi64ELi64ELi4ELi64ELi4ELi4ELi64ELc67ELc78EKdS1_dEEvlllT_PT11_llS4_llS2_PT12_llPT13_lli
                                        ; -- End function
	.set _ZN12_GLOBAL__N_127rocblas_gemm_batched_kernelIdLi16ELi16ELi64ELi64ELi4ELi64ELi4ELi4ELi64ELc67ELc78EKdS1_dEEvlllT_PT11_llS4_llS2_PT12_llPT13_lli.num_vgpr, 86
	.set _ZN12_GLOBAL__N_127rocblas_gemm_batched_kernelIdLi16ELi16ELi64ELi64ELi4ELi64ELi4ELi4ELi64ELc67ELc78EKdS1_dEEvlllT_PT11_llS4_llS2_PT12_llPT13_lli.num_agpr, 0
	.set _ZN12_GLOBAL__N_127rocblas_gemm_batched_kernelIdLi16ELi16ELi64ELi64ELi4ELi64ELi4ELi4ELi64ELc67ELc78EKdS1_dEEvlllT_PT11_llS4_llS2_PT12_llPT13_lli.numbered_sgpr, 28
	.set _ZN12_GLOBAL__N_127rocblas_gemm_batched_kernelIdLi16ELi16ELi64ELi64ELi4ELi64ELi4ELi4ELi64ELc67ELc78EKdS1_dEEvlllT_PT11_llS4_llS2_PT12_llPT13_lli.num_named_barrier, 0
	.set _ZN12_GLOBAL__N_127rocblas_gemm_batched_kernelIdLi16ELi16ELi64ELi64ELi4ELi64ELi4ELi4ELi64ELc67ELc78EKdS1_dEEvlllT_PT11_llS4_llS2_PT12_llPT13_lli.private_seg_size, 0
	.set _ZN12_GLOBAL__N_127rocblas_gemm_batched_kernelIdLi16ELi16ELi64ELi64ELi4ELi64ELi4ELi4ELi64ELc67ELc78EKdS1_dEEvlllT_PT11_llS4_llS2_PT12_llPT13_lli.uses_vcc, 1
	.set _ZN12_GLOBAL__N_127rocblas_gemm_batched_kernelIdLi16ELi16ELi64ELi64ELi4ELi64ELi4ELi4ELi64ELc67ELc78EKdS1_dEEvlllT_PT11_llS4_llS2_PT12_llPT13_lli.uses_flat_scratch, 0
	.set _ZN12_GLOBAL__N_127rocblas_gemm_batched_kernelIdLi16ELi16ELi64ELi64ELi4ELi64ELi4ELi4ELi64ELc67ELc78EKdS1_dEEvlllT_PT11_llS4_llS2_PT12_llPT13_lli.has_dyn_sized_stack, 0
	.set _ZN12_GLOBAL__N_127rocblas_gemm_batched_kernelIdLi16ELi16ELi64ELi64ELi4ELi64ELi4ELi4ELi64ELc67ELc78EKdS1_dEEvlllT_PT11_llS4_llS2_PT12_llPT13_lli.has_recursion, 0
	.set _ZN12_GLOBAL__N_127rocblas_gemm_batched_kernelIdLi16ELi16ELi64ELi64ELi4ELi64ELi4ELi4ELi64ELc67ELc78EKdS1_dEEvlllT_PT11_llS4_llS2_PT12_llPT13_lli.has_indirect_call, 0
	.section	.AMDGPU.csdata,"",@progbits
; Kernel info:
; codeLenInByte = 2176
; TotalNumSgprs: 34
; NumVgprs: 86
; NumAgprs: 0
; TotalNumVgprs: 86
; ScratchSize: 0
; MemoryBound: 0
; FloatMode: 240
; IeeeMode: 1
; LDSByteSize: 4096 bytes/workgroup (compile time only)
; SGPRBlocks: 4
; VGPRBlocks: 10
; NumSGPRsForWavesPerEU: 34
; NumVGPRsForWavesPerEU: 86
; AccumOffset: 88
; Occupancy: 5
; WaveLimiterHint : 1
; COMPUTE_PGM_RSRC2:SCRATCH_EN: 0
; COMPUTE_PGM_RSRC2:USER_SGPR: 2
; COMPUTE_PGM_RSRC2:TRAP_HANDLER: 0
; COMPUTE_PGM_RSRC2:TGID_X_EN: 1
; COMPUTE_PGM_RSRC2:TGID_Y_EN: 1
; COMPUTE_PGM_RSRC2:TGID_Z_EN: 1
; COMPUTE_PGM_RSRC2:TIDIG_COMP_CNT: 1
; COMPUTE_PGM_RSRC3_GFX90A:ACCUM_OFFSET: 21
; COMPUTE_PGM_RSRC3_GFX90A:TG_SPLIT: 0
	.section	.text._ZN12_GLOBAL__N_127rocblas_gemm_batched_kernelIdLi16ELi16ELi64ELi64ELi4ELi64ELi4ELi4ELi64ELc67ELc84EKdS1_dEEvlllT_PT11_llS4_llS2_PT12_llPT13_lli,"axG",@progbits,_ZN12_GLOBAL__N_127rocblas_gemm_batched_kernelIdLi16ELi16ELi64ELi64ELi4ELi64ELi4ELi4ELi64ELc67ELc84EKdS1_dEEvlllT_PT11_llS4_llS2_PT12_llPT13_lli,comdat
	.globl	_ZN12_GLOBAL__N_127rocblas_gemm_batched_kernelIdLi16ELi16ELi64ELi64ELi4ELi64ELi4ELi4ELi64ELc67ELc84EKdS1_dEEvlllT_PT11_llS4_llS2_PT12_llPT13_lli ; -- Begin function _ZN12_GLOBAL__N_127rocblas_gemm_batched_kernelIdLi16ELi16ELi64ELi64ELi4ELi64ELi4ELi4ELi64ELc67ELc84EKdS1_dEEvlllT_PT11_llS4_llS2_PT12_llPT13_lli
	.p2align	8
	.type	_ZN12_GLOBAL__N_127rocblas_gemm_batched_kernelIdLi16ELi16ELi64ELi64ELi4ELi64ELi4ELi4ELi64ELc67ELc84EKdS1_dEEvlllT_PT11_llS4_llS2_PT12_llPT13_lli,@function
_ZN12_GLOBAL__N_127rocblas_gemm_batched_kernelIdLi16ELi16ELi64ELi64ELi4ELi64ELi4ELi4ELi64ELc67ELc84EKdS1_dEEvlllT_PT11_llS4_llS2_PT12_llPT13_lli: ; @_ZN12_GLOBAL__N_127rocblas_gemm_batched_kernelIdLi16ELi16ELi64ELi64ELi4ELi64ELi4ELi4ELi64ELc67ELc84EKdS1_dEEvlllT_PT11_llS4_llS2_PT12_llPT13_lli
; %bb.0:
	s_load_dwordx16 s[8:23], s[0:1], 0x10
	s_mov_b32 s6, s3
	v_mov_b32_e32 v35, 0
	s_ashr_i32 s3, s2, 31
	s_ashr_i32 s7, s6, 31
	s_waitcnt lgkmcnt(0)
	v_cmp_lt_i64_e64 s[24:25], s[8:9], 1
	v_bfe_u32 v34, v0, 10, 10
	v_and_b32_e32 v32, 0x3ff, v0
	v_mov_b32_e32 v33, v35
	s_lshl_b64 s[2:3], s[2:3], 6
	s_lshl_b64 s[6:7], s[6:7], 6
	s_and_b64 vcc, exec, s[24:25]
	s_cbranch_vccnz .LBB66_3
; %bb.1:
	v_lshl_add_u32 v4, v34, 4, v32
	v_and_b32_e32 v2, 63, v4
	v_lshrrev_b32_e32 v0, 2, v4
	v_and_b32_e32 v5, 3, v32
	v_lshrrev_b32_e32 v6, 6, v4
	v_lshlrev_b32_e32 v4, 3, v2
	v_lshl_or_b32 v42, v6, 9, v4
	v_lshlrev_b32_e32 v4, 3, v5
	v_mov_b32_e32 v1, v35
	v_lshl_or_b32 v4, v0, 5, v4
	v_add_u32_e32 v43, 0x800, v4
	v_mov_b32_e32 v4, 0x800
	s_mul_i32 s5, s23, s4
	s_mul_hi_u32 s23, s22, s4
	v_mad_u64_u32 v[0:1], s[24:25], s20, v5, v[0:1]
	v_lshl_add_u32 v45, v34, 5, v4
	s_add_i32 s23, s23, s5
	s_mul_i32 s22, s22, s4
	v_mov_b32_e32 v4, v1
	s_lshl_b64 s[22:23], s[22:23], 3
	v_mad_u64_u32 v[4:5], s[24:25], s21, v5, v[4:5]
	v_mov_b32_e32 v1, v4
	s_add_u32 s18, s18, s22
	v_mov_b32_e32 v3, v35
	v_lshl_add_u64 v[0:1], v[0:1], 0, s[6:7]
	s_addc_u32 s19, s19, s23
	v_lshl_add_u64 v[36:37], v[0:1], 3, s[18:19]
	v_lshl_add_u64 v[0:1], s[2:3], 0, v[2:3]
	v_mul_lo_u32 v2, s15, v0
	v_mul_lo_u32 v3, s14, v1
	v_mad_u64_u32 v[0:1], s[14:15], s14, v0, 0
	s_mul_i32 s5, s17, s4
	s_mul_hi_u32 s14, s16, s4
	s_add_i32 s15, s14, s5
	s_mul_i32 s14, s16, s4
	v_add3_u32 v1, v1, v3, v2
	s_lshl_b64 s[14:15], s[14:15], 3
	v_lshl_add_u64 v[0:1], v[0:1], 3, s[14:15]
	v_lshlrev_b32_e32 v2, 3, v6
	v_mov_b32_e32 v3, v35
	v_lshl_add_u64 v[0:1], v[0:1], 0, v[2:3]
	v_lshlrev_b32_e32 v44, 3, v32
	s_lshl_b64 s[18:19], s[20:21], 5
	v_lshl_add_u64 v[38:39], s[12:13], 0, v[0:1]
	s_mov_b64 s[12:13], 0
	v_mov_b64_e32 v[0:1], 0
	v_mov_b64_e32 v[40:41], s[8:9]
	;; [unrolled: 1-line block ×17, first 2 shown]
.LBB66_2:                               ; =>This Inner Loop Header: Depth=1
	global_load_dwordx2 v[46:47], v[38:39], off
	global_load_dwordx2 v[48:49], v[36:37], off
	s_add_u32 s12, s12, 4
	s_addc_u32 s13, s13, 0
	v_cmp_lt_i64_e32 vcc, s[12:13], v[40:41]
	v_lshl_add_u64 v[36:37], v[36:37], 0, s[18:19]
	v_lshl_add_u64 v[38:39], v[38:39], 0, 32
	s_and_b64 vcc, exec, vcc
	s_waitcnt vmcnt(1)
	ds_write_b64 v42, v[46:47]
	s_waitcnt vmcnt(0)
	ds_write_b64 v43, v[48:49]
	s_waitcnt lgkmcnt(0)
	s_barrier
	ds_read2_b64 v[46:49], v44 offset1:16
	ds_read_b128 v[50:53], v45 offset:1536
	ds_read_b128 v[54:57], v45
	ds_read_b128 v[58:61], v45 offset:16
	ds_read_b128 v[62:65], v45 offset:512
	;; [unrolled: 1-line block ×5, first 2 shown]
	s_waitcnt lgkmcnt(5)
	v_fmac_f64_e32 v[30:31], v[46:47], v[54:55]
	v_fmac_f64_e32 v[28:29], v[48:49], v[54:55]
	s_waitcnt lgkmcnt(3)
	v_fmac_f64_e32 v[22:23], v[46:47], v[62:63]
	v_fmac_f64_e32 v[20:21], v[48:49], v[62:63]
	;; [unrolled: 3-line block ×3, first 2 shown]
	v_fmac_f64_e32 v[6:7], v[46:47], v[50:51]
	v_fmac_f64_e32 v[4:5], v[48:49], v[50:51]
	ds_read2_b64 v[46:49], v44 offset0:32 offset1:48
	ds_read2_b64 v[82:85], v44 offset0:96 offset1:112
	ds_read_b128 v[78:81], v45 offset:1552
	s_waitcnt lgkmcnt(2)
	v_fmac_f64_e32 v[26:27], v[46:47], v[54:55]
	v_fmac_f64_e32 v[24:25], v[48:49], v[54:55]
	;; [unrolled: 1-line block ×8, first 2 shown]
	ds_read2_b64 v[46:49], v44 offset0:64 offset1:80
	s_waitcnt lgkmcnt(2)
	v_fmac_f64_e32 v[26:27], v[82:83], v[56:57]
	v_fmac_f64_e32 v[24:25], v[84:85], v[56:57]
	;; [unrolled: 1-line block ×4, first 2 shown]
	s_waitcnt lgkmcnt(0)
	v_fmac_f64_e32 v[30:31], v[46:47], v[56:57]
	v_fmac_f64_e32 v[28:29], v[48:49], v[56:57]
	;; [unrolled: 1-line block ×6, first 2 shown]
	ds_read2_b64 v[54:57], v44 offset0:128 offset1:144
	v_fmac_f64_e32 v[6:7], v[46:47], v[52:53]
	v_fmac_f64_e32 v[4:5], v[48:49], v[52:53]
	ds_read2_b64 v[46:49], v44 offset0:160 offset1:176
	v_fmac_f64_e32 v[2:3], v[82:83], v[52:53]
	v_fmac_f64_e32 v[0:1], v[84:85], v[52:53]
	ds_read2_b64 v[50:53], v44 offset0:192 offset1:208
	ds_read2_b64 v[62:65], v44 offset0:224 offset1:240
	v_fmac_f64_e32 v[10:11], v[82:83], v[72:73]
	v_fmac_f64_e32 v[8:9], v[84:85], v[72:73]
	s_waitcnt lgkmcnt(3)
	v_fmac_f64_e32 v[30:31], v[54:55], v[58:59]
	v_fmac_f64_e32 v[28:29], v[56:57], v[58:59]
	;; [unrolled: 1-line block ×8, first 2 shown]
	s_waitcnt lgkmcnt(2)
	v_fmac_f64_e32 v[26:27], v[46:47], v[58:59]
	v_fmac_f64_e32 v[24:25], v[48:49], v[58:59]
	;; [unrolled: 1-line block ×8, first 2 shown]
	s_waitcnt lgkmcnt(1)
	v_fmac_f64_e32 v[30:31], v[50:51], v[60:61]
	v_fmac_f64_e32 v[28:29], v[52:53], v[60:61]
	s_waitcnt lgkmcnt(0)
	v_fmac_f64_e32 v[26:27], v[62:63], v[60:61]
	v_fmac_f64_e32 v[24:25], v[64:65], v[60:61]
	;; [unrolled: 1-line block ×14, first 2 shown]
	s_barrier
	s_cbranch_vccnz .LBB66_2
	s_branch .LBB66_4
.LBB66_3:
	v_mov_b64_e32 v[30:31], 0
	v_mov_b64_e32 v[28:29], 0
	;; [unrolled: 1-line block ×16, first 2 shown]
.LBB66_4:
	s_load_dwordx8 s[20:27], s[0:1], 0x70
	s_load_dwordx8 s[12:19], s[0:1], 0x50
	v_lshl_add_u64 v[34:35], s[6:7], 0, v[34:35]
	v_lshl_add_u64 v[32:33], s[2:3], 0, v[32:33]
	s_mov_b64 s[6:7], 0
	s_waitcnt lgkmcnt(0)
	s_mul_i32 s1, s25, s4
	s_mul_hi_u32 s5, s24, s4
	s_mul_i32 s0, s24, s4
	s_add_i32 s1, s5, s1
	s_lshl_b64 s[0:1], s[0:1], 3
	s_add_u32 s0, s20, s0
	v_cmp_neq_f64_e64 s[8:9], s[12:13], 0
	s_addc_u32 s1, s21, s1
	s_and_b64 vcc, exec, s[8:9]
	v_mul_lo_u32 v36, v35, s22
	v_mul_lo_u32 v37, v34, s23
	v_lshlrev_b64 v[32:33], 3, v[32:33]
	s_cbranch_vccnz .LBB66_8
; %bb.5:
	v_mad_u64_u32 v[38:39], s[2:3], v34, s22, 0
	v_add3_u32 v39, v39, v37, v36
	v_lshl_add_u64 v[38:39], v[38:39], 3, s[0:1]
	v_mul_f64 v[40:41], s[10:11], v[30:31]
	v_lshl_add_u64 v[42:43], v[38:39], 0, v[32:33]
	global_store_dwordx2 v[42:43], v[40:41], off
	v_mul_f64 v[40:41], s[10:11], v[28:29]
	global_store_dwordx2 v[42:43], v[40:41], off offset:128
	v_mul_f64 v[40:41], s[10:11], v[26:27]
	s_lshl_b64 s[2:3], s[22:23], 7
	global_store_dwordx2 v[42:43], v[40:41], off offset:256
	v_mul_f64 v[40:41], s[10:11], v[24:25]
	v_lshl_add_u64 v[38:39], v[38:39], 0, s[2:3]
	global_store_dwordx2 v[42:43], v[40:41], off offset:384
	v_mul_f64 v[40:41], s[10:11], v[22:23]
	v_lshl_add_u64 v[42:43], v[38:39], 0, v[32:33]
	global_store_dwordx2 v[42:43], v[40:41], off
	v_mul_f64 v[40:41], s[10:11], v[20:21]
	global_store_dwordx2 v[42:43], v[40:41], off offset:128
	v_mul_f64 v[40:41], s[10:11], v[18:19]
	global_store_dwordx2 v[42:43], v[40:41], off offset:256
	v_mul_f64 v[40:41], s[10:11], v[16:17]
	v_lshl_add_u64 v[38:39], v[38:39], 0, s[2:3]
	global_store_dwordx2 v[42:43], v[40:41], off offset:384
	v_mul_f64 v[40:41], s[10:11], v[14:15]
	v_lshl_add_u64 v[42:43], v[38:39], 0, v[32:33]
	global_store_dwordx2 v[42:43], v[40:41], off
	v_mul_f64 v[40:41], s[10:11], v[12:13]
	global_store_dwordx2 v[42:43], v[40:41], off offset:128
	v_mul_f64 v[40:41], s[10:11], v[10:11]
	;; [unrolled: 10-line block ×3, first 2 shown]
	global_store_dwordx2 v[38:39], v[40:41], off offset:256
	v_mul_f64 v[40:41], s[10:11], v[0:1]
	global_store_dwordx2 v[38:39], v[40:41], off offset:384
	s_andn2_b64 vcc, exec, s[6:7]
	s_cbranch_vccnz .LBB66_7
.LBB66_6:
	s_mul_i32 s2, s19, s4
	s_mul_hi_u32 s3, s18, s4
	s_add_i32 s3, s3, s2
	s_mul_i32 s2, s18, s4
	s_lshl_b64 s[2:3], s[2:3], 3
	s_add_u32 s2, s14, s2
	v_mul_lo_u32 v35, v35, s16
	v_mul_lo_u32 v40, v34, s17
	v_mad_u64_u32 v[38:39], s[4:5], v34, s16, 0
	s_addc_u32 s3, s15, s3
	v_add3_u32 v39, v39, v40, v35
	v_lshl_add_u64 v[38:39], v[38:39], 3, s[2:3]
	v_lshl_add_u64 v[40:41], v[38:39], 0, v[32:33]
	global_load_dwordx2 v[42:43], v[40:41], off
	v_mad_u64_u32 v[34:35], s[2:3], v34, s22, 0
	v_add3_u32 v35, v35, v37, v36
	v_lshl_add_u64 v[34:35], v[34:35], 3, s[0:1]
	v_lshl_add_u64 v[36:37], v[34:35], 0, v[32:33]
	s_lshl_b64 s[0:1], s[16:17], 7
	s_lshl_b64 s[2:3], s[22:23], 7
	s_waitcnt vmcnt(0)
	v_mul_f64 v[42:43], s[12:13], v[42:43]
	v_fmac_f64_e32 v[42:43], s[10:11], v[30:31]
	global_store_dwordx2 v[36:37], v[42:43], off
	global_load_dwordx2 v[30:31], v[40:41], off offset:128
	s_waitcnt vmcnt(0)
	v_mul_f64 v[30:31], s[12:13], v[30:31]
	v_fmac_f64_e32 v[30:31], s[10:11], v[28:29]
	global_store_dwordx2 v[36:37], v[30:31], off offset:128
	global_load_dwordx2 v[28:29], v[40:41], off offset:256
	s_waitcnt vmcnt(0)
	v_mul_f64 v[28:29], s[12:13], v[28:29]
	v_fmac_f64_e32 v[28:29], s[10:11], v[26:27]
	global_store_dwordx2 v[36:37], v[28:29], off offset:256
	global_load_dwordx2 v[26:27], v[40:41], off offset:384
	v_lshl_add_u64 v[28:29], v[38:39], 0, s[0:1]
	v_lshl_add_u64 v[30:31], v[28:29], 0, v[32:33]
	s_waitcnt vmcnt(0)
	v_mul_f64 v[26:27], s[12:13], v[26:27]
	v_fmac_f64_e32 v[26:27], s[10:11], v[24:25]
	global_store_dwordx2 v[36:37], v[26:27], off offset:384
	global_load_dwordx2 v[24:25], v[30:31], off
	v_lshl_add_u64 v[26:27], v[34:35], 0, s[2:3]
	v_lshl_add_u64 v[34:35], v[26:27], 0, v[32:33]
	s_waitcnt vmcnt(0)
	v_mul_f64 v[24:25], s[12:13], v[24:25]
	v_fmac_f64_e32 v[24:25], s[10:11], v[22:23]
	global_store_dwordx2 v[34:35], v[24:25], off
	global_load_dwordx2 v[22:23], v[30:31], off offset:128
	s_waitcnt vmcnt(0)
	v_mul_f64 v[22:23], s[12:13], v[22:23]
	v_fmac_f64_e32 v[22:23], s[10:11], v[20:21]
	global_store_dwordx2 v[34:35], v[22:23], off offset:128
	global_load_dwordx2 v[20:21], v[30:31], off offset:256
	s_waitcnt vmcnt(0)
	v_mul_f64 v[20:21], s[12:13], v[20:21]
	v_fmac_f64_e32 v[20:21], s[10:11], v[18:19]
	global_store_dwordx2 v[34:35], v[20:21], off offset:256
	global_load_dwordx2 v[18:19], v[30:31], off offset:384
	v_lshl_add_u64 v[20:21], v[28:29], 0, s[0:1]
	v_lshl_add_u64 v[22:23], v[20:21], 0, v[32:33]
	s_waitcnt vmcnt(0)
	v_mul_f64 v[18:19], s[12:13], v[18:19]
	v_fmac_f64_e32 v[18:19], s[10:11], v[16:17]
	global_store_dwordx2 v[34:35], v[18:19], off offset:384
	global_load_dwordx2 v[16:17], v[22:23], off
	v_lshl_add_u64 v[18:19], v[26:27], 0, s[2:3]
	v_lshl_add_u64 v[24:25], v[18:19], 0, v[32:33]
	s_waitcnt vmcnt(0)
	v_mul_f64 v[16:17], s[12:13], v[16:17]
	v_fmac_f64_e32 v[16:17], s[10:11], v[14:15]
	global_store_dwordx2 v[24:25], v[16:17], off
	global_load_dwordx2 v[14:15], v[22:23], off offset:128
	s_waitcnt vmcnt(0)
	v_mul_f64 v[14:15], s[12:13], v[14:15]
	v_fmac_f64_e32 v[14:15], s[10:11], v[12:13]
	global_store_dwordx2 v[24:25], v[14:15], off offset:128
	global_load_dwordx2 v[12:13], v[22:23], off offset:256
	s_waitcnt vmcnt(0)
	v_mul_f64 v[12:13], s[12:13], v[12:13]
	v_fmac_f64_e32 v[12:13], s[10:11], v[10:11]
	global_store_dwordx2 v[24:25], v[12:13], off offset:256
	global_load_dwordx2 v[10:11], v[22:23], off offset:384
	v_lshl_add_u64 v[12:13], v[20:21], 0, s[0:1]
	v_lshl_add_u64 v[12:13], v[12:13], 0, v[32:33]
	s_waitcnt vmcnt(0)
	v_mul_f64 v[10:11], s[12:13], v[10:11]
	v_fmac_f64_e32 v[10:11], s[10:11], v[8:9]
	global_store_dwordx2 v[24:25], v[10:11], off offset:384
	global_load_dwordx2 v[8:9], v[12:13], off
	v_lshl_add_u64 v[10:11], v[18:19], 0, s[2:3]
	s_waitcnt vmcnt(0)
	v_mul_f64 v[8:9], s[12:13], v[8:9]
	v_fmac_f64_e32 v[8:9], s[10:11], v[6:7]
	v_lshl_add_u64 v[6:7], v[10:11], 0, v[32:33]
	global_store_dwordx2 v[6:7], v[8:9], off
	global_load_dwordx2 v[8:9], v[12:13], off offset:128
	s_waitcnt vmcnt(0)
	v_mul_f64 v[8:9], s[12:13], v[8:9]
	v_fmac_f64_e32 v[8:9], s[10:11], v[4:5]
	global_store_dwordx2 v[6:7], v[8:9], off offset:128
	global_load_dwordx2 v[4:5], v[12:13], off offset:256
	s_waitcnt vmcnt(0)
	v_mul_f64 v[4:5], s[12:13], v[4:5]
	v_fmac_f64_e32 v[4:5], s[10:11], v[2:3]
	global_store_dwordx2 v[6:7], v[4:5], off offset:256
	global_load_dwordx2 v[2:3], v[12:13], off offset:384
	s_waitcnt vmcnt(0)
	v_mul_f64 v[2:3], s[12:13], v[2:3]
	v_fmac_f64_e32 v[2:3], s[10:11], v[0:1]
	global_store_dwordx2 v[6:7], v[2:3], off offset:384
.LBB66_7:
	s_endpgm
.LBB66_8:
	s_branch .LBB66_6
	.section	.rodata,"a",@progbits
	.p2align	6, 0x0
	.amdhsa_kernel _ZN12_GLOBAL__N_127rocblas_gemm_batched_kernelIdLi16ELi16ELi64ELi64ELi4ELi64ELi4ELi4ELi64ELc67ELc84EKdS1_dEEvlllT_PT11_llS4_llS2_PT12_llPT13_lli
		.amdhsa_group_segment_fixed_size 4096
		.amdhsa_private_segment_fixed_size 0
		.amdhsa_kernarg_size 140
		.amdhsa_user_sgpr_count 2
		.amdhsa_user_sgpr_dispatch_ptr 0
		.amdhsa_user_sgpr_queue_ptr 0
		.amdhsa_user_sgpr_kernarg_segment_ptr 1
		.amdhsa_user_sgpr_dispatch_id 0
		.amdhsa_user_sgpr_kernarg_preload_length 0
		.amdhsa_user_sgpr_kernarg_preload_offset 0
		.amdhsa_user_sgpr_private_segment_size 0
		.amdhsa_uses_dynamic_stack 0
		.amdhsa_enable_private_segment 0
		.amdhsa_system_sgpr_workgroup_id_x 1
		.amdhsa_system_sgpr_workgroup_id_y 1
		.amdhsa_system_sgpr_workgroup_id_z 1
		.amdhsa_system_sgpr_workgroup_info 0
		.amdhsa_system_vgpr_workitem_id 1
		.amdhsa_next_free_vgpr 86
		.amdhsa_next_free_sgpr 28
		.amdhsa_accum_offset 88
		.amdhsa_reserve_vcc 1
		.amdhsa_float_round_mode_32 0
		.amdhsa_float_round_mode_16_64 0
		.amdhsa_float_denorm_mode_32 3
		.amdhsa_float_denorm_mode_16_64 3
		.amdhsa_dx10_clamp 1
		.amdhsa_ieee_mode 1
		.amdhsa_fp16_overflow 0
		.amdhsa_tg_split 0
		.amdhsa_exception_fp_ieee_invalid_op 0
		.amdhsa_exception_fp_denorm_src 0
		.amdhsa_exception_fp_ieee_div_zero 0
		.amdhsa_exception_fp_ieee_overflow 0
		.amdhsa_exception_fp_ieee_underflow 0
		.amdhsa_exception_fp_ieee_inexact 0
		.amdhsa_exception_int_div_zero 0
	.end_amdhsa_kernel
	.section	.text._ZN12_GLOBAL__N_127rocblas_gemm_batched_kernelIdLi16ELi16ELi64ELi64ELi4ELi64ELi4ELi4ELi64ELc67ELc84EKdS1_dEEvlllT_PT11_llS4_llS2_PT12_llPT13_lli,"axG",@progbits,_ZN12_GLOBAL__N_127rocblas_gemm_batched_kernelIdLi16ELi16ELi64ELi64ELi4ELi64ELi4ELi4ELi64ELc67ELc84EKdS1_dEEvlllT_PT11_llS4_llS2_PT12_llPT13_lli,comdat
.Lfunc_end66:
	.size	_ZN12_GLOBAL__N_127rocblas_gemm_batched_kernelIdLi16ELi16ELi64ELi64ELi4ELi64ELi4ELi4ELi64ELc67ELc84EKdS1_dEEvlllT_PT11_llS4_llS2_PT12_llPT13_lli, .Lfunc_end66-_ZN12_GLOBAL__N_127rocblas_gemm_batched_kernelIdLi16ELi16ELi64ELi64ELi4ELi64ELi4ELi4ELi64ELc67ELc84EKdS1_dEEvlllT_PT11_llS4_llS2_PT12_llPT13_lli
                                        ; -- End function
	.set _ZN12_GLOBAL__N_127rocblas_gemm_batched_kernelIdLi16ELi16ELi64ELi64ELi4ELi64ELi4ELi4ELi64ELc67ELc84EKdS1_dEEvlllT_PT11_llS4_llS2_PT12_llPT13_lli.num_vgpr, 86
	.set _ZN12_GLOBAL__N_127rocblas_gemm_batched_kernelIdLi16ELi16ELi64ELi64ELi4ELi64ELi4ELi4ELi64ELc67ELc84EKdS1_dEEvlllT_PT11_llS4_llS2_PT12_llPT13_lli.num_agpr, 0
	.set _ZN12_GLOBAL__N_127rocblas_gemm_batched_kernelIdLi16ELi16ELi64ELi64ELi4ELi64ELi4ELi4ELi64ELc67ELc84EKdS1_dEEvlllT_PT11_llS4_llS2_PT12_llPT13_lli.numbered_sgpr, 28
	.set _ZN12_GLOBAL__N_127rocblas_gemm_batched_kernelIdLi16ELi16ELi64ELi64ELi4ELi64ELi4ELi4ELi64ELc67ELc84EKdS1_dEEvlllT_PT11_llS4_llS2_PT12_llPT13_lli.num_named_barrier, 0
	.set _ZN12_GLOBAL__N_127rocblas_gemm_batched_kernelIdLi16ELi16ELi64ELi64ELi4ELi64ELi4ELi4ELi64ELc67ELc84EKdS1_dEEvlllT_PT11_llS4_llS2_PT12_llPT13_lli.private_seg_size, 0
	.set _ZN12_GLOBAL__N_127rocblas_gemm_batched_kernelIdLi16ELi16ELi64ELi64ELi4ELi64ELi4ELi4ELi64ELc67ELc84EKdS1_dEEvlllT_PT11_llS4_llS2_PT12_llPT13_lli.uses_vcc, 1
	.set _ZN12_GLOBAL__N_127rocblas_gemm_batched_kernelIdLi16ELi16ELi64ELi64ELi4ELi64ELi4ELi4ELi64ELc67ELc84EKdS1_dEEvlllT_PT11_llS4_llS2_PT12_llPT13_lli.uses_flat_scratch, 0
	.set _ZN12_GLOBAL__N_127rocblas_gemm_batched_kernelIdLi16ELi16ELi64ELi64ELi4ELi64ELi4ELi4ELi64ELc67ELc84EKdS1_dEEvlllT_PT11_llS4_llS2_PT12_llPT13_lli.has_dyn_sized_stack, 0
	.set _ZN12_GLOBAL__N_127rocblas_gemm_batched_kernelIdLi16ELi16ELi64ELi64ELi4ELi64ELi4ELi4ELi64ELc67ELc84EKdS1_dEEvlllT_PT11_llS4_llS2_PT12_llPT13_lli.has_recursion, 0
	.set _ZN12_GLOBAL__N_127rocblas_gemm_batched_kernelIdLi16ELi16ELi64ELi64ELi4ELi64ELi4ELi4ELi64ELc67ELc84EKdS1_dEEvlllT_PT11_llS4_llS2_PT12_llPT13_lli.has_indirect_call, 0
	.section	.AMDGPU.csdata,"",@progbits
; Kernel info:
; codeLenInByte = 2160
; TotalNumSgprs: 34
; NumVgprs: 86
; NumAgprs: 0
; TotalNumVgprs: 86
; ScratchSize: 0
; MemoryBound: 0
; FloatMode: 240
; IeeeMode: 1
; LDSByteSize: 4096 bytes/workgroup (compile time only)
; SGPRBlocks: 4
; VGPRBlocks: 10
; NumSGPRsForWavesPerEU: 34
; NumVGPRsForWavesPerEU: 86
; AccumOffset: 88
; Occupancy: 5
; WaveLimiterHint : 1
; COMPUTE_PGM_RSRC2:SCRATCH_EN: 0
; COMPUTE_PGM_RSRC2:USER_SGPR: 2
; COMPUTE_PGM_RSRC2:TRAP_HANDLER: 0
; COMPUTE_PGM_RSRC2:TGID_X_EN: 1
; COMPUTE_PGM_RSRC2:TGID_Y_EN: 1
; COMPUTE_PGM_RSRC2:TGID_Z_EN: 1
; COMPUTE_PGM_RSRC2:TIDIG_COMP_CNT: 1
; COMPUTE_PGM_RSRC3_GFX90A:ACCUM_OFFSET: 21
; COMPUTE_PGM_RSRC3_GFX90A:TG_SPLIT: 0
	.section	.text._ZN12_GLOBAL__N_127rocblas_gemm_batched_kernelIdLi16ELi16ELi64ELi64ELi4ELi64ELi4ELi4ELi64ELc78ELc67EKdS1_dEEvlllT_PT11_llS4_llS2_PT12_llPT13_lli,"axG",@progbits,_ZN12_GLOBAL__N_127rocblas_gemm_batched_kernelIdLi16ELi16ELi64ELi64ELi4ELi64ELi4ELi4ELi64ELc78ELc67EKdS1_dEEvlllT_PT11_llS4_llS2_PT12_llPT13_lli,comdat
	.globl	_ZN12_GLOBAL__N_127rocblas_gemm_batched_kernelIdLi16ELi16ELi64ELi64ELi4ELi64ELi4ELi4ELi64ELc78ELc67EKdS1_dEEvlllT_PT11_llS4_llS2_PT12_llPT13_lli ; -- Begin function _ZN12_GLOBAL__N_127rocblas_gemm_batched_kernelIdLi16ELi16ELi64ELi64ELi4ELi64ELi4ELi4ELi64ELc78ELc67EKdS1_dEEvlllT_PT11_llS4_llS2_PT12_llPT13_lli
	.p2align	8
	.type	_ZN12_GLOBAL__N_127rocblas_gemm_batched_kernelIdLi16ELi16ELi64ELi64ELi4ELi64ELi4ELi4ELi64ELc78ELc67EKdS1_dEEvlllT_PT11_llS4_llS2_PT12_llPT13_lli,@function
_ZN12_GLOBAL__N_127rocblas_gemm_batched_kernelIdLi16ELi16ELi64ELi64ELi4ELi64ELi4ELi4ELi64ELc78ELc67EKdS1_dEEvlllT_PT11_llS4_llS2_PT12_llPT13_lli: ; @_ZN12_GLOBAL__N_127rocblas_gemm_batched_kernelIdLi16ELi16ELi64ELi64ELi4ELi64ELi4ELi4ELi64ELc78ELc67EKdS1_dEEvlllT_PT11_llS4_llS2_PT12_llPT13_lli
; %bb.0:
	s_load_dwordx16 s[8:23], s[0:1], 0x10
	s_mov_b32 s6, s3
	v_mov_b32_e32 v35, 0
	s_ashr_i32 s3, s2, 31
	s_ashr_i32 s7, s6, 31
	s_waitcnt lgkmcnt(0)
	v_cmp_lt_i64_e64 s[24:25], s[8:9], 1
	v_bfe_u32 v34, v0, 10, 10
	v_and_b32_e32 v30, 0x3ff, v0
	v_mov_b32_e32 v31, v35
	s_lshl_b64 s[2:3], s[2:3], 6
	s_lshl_b64 s[6:7], s[6:7], 6
	s_and_b64 vcc, exec, s[24:25]
	s_cbranch_vccnz .LBB67_3
; %bb.1:
	v_lshl_add_u32 v4, v34, 4, v30
	v_and_b32_e32 v2, 63, v4
	v_lshrrev_b32_e32 v0, 2, v4
	v_and_b32_e32 v5, 3, v30
	v_lshrrev_b32_e32 v6, 6, v4
	v_lshlrev_b32_e32 v4, 3, v2
	v_lshl_or_b32 v42, v6, 9, v4
	v_lshlrev_b32_e32 v4, 3, v5
	v_mov_b32_e32 v1, v35
	v_lshl_or_b32 v4, v0, 5, v4
	v_add_u32_e32 v43, 0x800, v4
	v_mov_b32_e32 v4, 0x800
	s_mul_i32 s5, s23, s4
	s_mul_hi_u32 s23, s22, s4
	v_mad_u64_u32 v[0:1], s[24:25], s20, v5, v[0:1]
	v_lshl_add_u32 v45, v34, 5, v4
	s_add_i32 s23, s23, s5
	s_mul_i32 s22, s22, s4
	v_mov_b32_e32 v4, v1
	s_lshl_b64 s[22:23], s[22:23], 3
	v_mad_u64_u32 v[4:5], s[24:25], s21, v5, v[4:5]
	v_mov_b32_e32 v1, v4
	s_add_u32 s18, s18, s22
	v_lshl_add_u64 v[0:1], v[0:1], 0, s[6:7]
	s_addc_u32 s19, s19, s23
	v_lshl_add_u64 v[36:37], v[0:1], 3, s[18:19]
	v_mov_b64_e32 v[0:1], s[2:3]
	s_lshl_b64 s[18:19], s[20:21], 5
	s_mul_i32 s5, s17, s4
	s_mul_hi_u32 s17, s16, s4
	v_mad_u64_u32 v[0:1], s[20:21], s14, v6, v[0:1]
	s_add_i32 s17, s17, s5
	s_mul_i32 s16, s16, s4
	v_mov_b32_e32 v4, v1
	s_lshl_b64 s[16:17], s[16:17], 3
	v_mad_u64_u32 v[4:5], s[20:21], s15, v6, v[4:5]
	v_mov_b32_e32 v3, v35
	v_mov_b32_e32 v1, v4
	s_add_u32 s12, s12, s16
	v_lshl_add_u64 v[0:1], v[0:1], 0, v[2:3]
	s_addc_u32 s13, s13, s17
	v_lshlrev_b32_e32 v44, 3, v30
	v_lshl_add_u64 v[38:39], v[0:1], 3, s[12:13]
	s_lshl_b64 s[12:13], s[14:15], 5
	s_mov_b64 s[14:15], 0
	v_mov_b64_e32 v[0:1], 0
	v_mov_b64_e32 v[40:41], s[8:9]
	;; [unrolled: 1-line block ×17, first 2 shown]
.LBB67_2:                               ; =>This Inner Loop Header: Depth=1
	global_load_dwordx2 v[46:47], v[38:39], off
	global_load_dwordx2 v[48:49], v[36:37], off
	s_add_u32 s14, s14, 4
	s_addc_u32 s15, s15, 0
	v_cmp_lt_i64_e32 vcc, s[14:15], v[40:41]
	v_lshl_add_u64 v[36:37], v[36:37], 0, s[18:19]
	v_lshl_add_u64 v[38:39], v[38:39], 0, s[12:13]
	s_and_b64 vcc, exec, vcc
	s_waitcnt vmcnt(1)
	ds_write_b64 v42, v[46:47]
	s_waitcnt vmcnt(0)
	ds_write_b64 v43, v[48:49]
	s_waitcnt lgkmcnt(0)
	s_barrier
	ds_read2_b64 v[46:49], v44 offset1:16
	ds_read_b128 v[50:53], v45 offset:1536
	ds_read_b128 v[54:57], v45
	ds_read_b128 v[58:61], v45 offset:16
	ds_read_b128 v[62:65], v45 offset:512
	;; [unrolled: 1-line block ×5, first 2 shown]
	s_waitcnt lgkmcnt(5)
	v_fmac_f64_e32 v[32:33], v[46:47], v[54:55]
	v_fmac_f64_e32 v[28:29], v[48:49], v[54:55]
	s_waitcnt lgkmcnt(3)
	v_fmac_f64_e32 v[22:23], v[46:47], v[62:63]
	v_fmac_f64_e32 v[20:21], v[48:49], v[62:63]
	;; [unrolled: 3-line block ×3, first 2 shown]
	v_fmac_f64_e32 v[6:7], v[46:47], v[50:51]
	v_fmac_f64_e32 v[4:5], v[48:49], v[50:51]
	ds_read2_b64 v[46:49], v44 offset0:32 offset1:48
	ds_read2_b64 v[82:85], v44 offset0:96 offset1:112
	ds_read_b128 v[78:81], v45 offset:1552
	s_waitcnt lgkmcnt(2)
	v_fmac_f64_e32 v[26:27], v[46:47], v[54:55]
	v_fmac_f64_e32 v[24:25], v[48:49], v[54:55]
	;; [unrolled: 1-line block ×8, first 2 shown]
	ds_read2_b64 v[46:49], v44 offset0:64 offset1:80
	s_waitcnt lgkmcnt(2)
	v_fmac_f64_e32 v[26:27], v[82:83], v[56:57]
	v_fmac_f64_e32 v[24:25], v[84:85], v[56:57]
	;; [unrolled: 1-line block ×4, first 2 shown]
	s_waitcnt lgkmcnt(0)
	v_fmac_f64_e32 v[32:33], v[46:47], v[56:57]
	v_fmac_f64_e32 v[28:29], v[48:49], v[56:57]
	;; [unrolled: 1-line block ×6, first 2 shown]
	ds_read2_b64 v[54:57], v44 offset0:128 offset1:144
	v_fmac_f64_e32 v[6:7], v[46:47], v[52:53]
	v_fmac_f64_e32 v[4:5], v[48:49], v[52:53]
	ds_read2_b64 v[46:49], v44 offset0:160 offset1:176
	v_fmac_f64_e32 v[2:3], v[82:83], v[52:53]
	v_fmac_f64_e32 v[0:1], v[84:85], v[52:53]
	ds_read2_b64 v[50:53], v44 offset0:192 offset1:208
	ds_read2_b64 v[62:65], v44 offset0:224 offset1:240
	v_fmac_f64_e32 v[10:11], v[82:83], v[72:73]
	v_fmac_f64_e32 v[8:9], v[84:85], v[72:73]
	s_waitcnt lgkmcnt(3)
	v_fmac_f64_e32 v[32:33], v[54:55], v[58:59]
	v_fmac_f64_e32 v[28:29], v[56:57], v[58:59]
	;; [unrolled: 1-line block ×8, first 2 shown]
	s_waitcnt lgkmcnt(2)
	v_fmac_f64_e32 v[26:27], v[46:47], v[58:59]
	v_fmac_f64_e32 v[24:25], v[48:49], v[58:59]
	;; [unrolled: 1-line block ×8, first 2 shown]
	s_waitcnt lgkmcnt(1)
	v_fmac_f64_e32 v[32:33], v[50:51], v[60:61]
	v_fmac_f64_e32 v[28:29], v[52:53], v[60:61]
	s_waitcnt lgkmcnt(0)
	v_fmac_f64_e32 v[26:27], v[62:63], v[60:61]
	v_fmac_f64_e32 v[24:25], v[64:65], v[60:61]
	;; [unrolled: 1-line block ×14, first 2 shown]
	s_barrier
	s_cbranch_vccnz .LBB67_2
	s_branch .LBB67_4
.LBB67_3:
	v_mov_b64_e32 v[32:33], 0
	v_mov_b64_e32 v[28:29], 0
	;; [unrolled: 1-line block ×16, first 2 shown]
.LBB67_4:
	s_load_dwordx8 s[20:27], s[0:1], 0x70
	s_load_dwordx8 s[12:19], s[0:1], 0x50
	v_lshl_add_u64 v[34:35], s[6:7], 0, v[34:35]
	v_lshl_add_u64 v[30:31], s[2:3], 0, v[30:31]
	s_mov_b64 s[6:7], 0
	s_waitcnt lgkmcnt(0)
	s_mul_i32 s1, s25, s4
	s_mul_hi_u32 s5, s24, s4
	s_mul_i32 s0, s24, s4
	s_add_i32 s1, s5, s1
	s_lshl_b64 s[0:1], s[0:1], 3
	s_add_u32 s0, s20, s0
	v_cmp_neq_f64_e64 s[8:9], s[12:13], 0
	s_addc_u32 s1, s21, s1
	s_and_b64 vcc, exec, s[8:9]
	v_mul_lo_u32 v36, v35, s22
	v_mul_lo_u32 v37, v34, s23
	v_lshlrev_b64 v[30:31], 3, v[30:31]
	s_cbranch_vccnz .LBB67_8
; %bb.5:
	v_mad_u64_u32 v[38:39], s[2:3], v34, s22, 0
	v_add3_u32 v39, v39, v37, v36
	v_lshl_add_u64 v[38:39], v[38:39], 3, s[0:1]
	v_mul_f64 v[40:41], s[10:11], v[32:33]
	v_lshl_add_u64 v[42:43], v[38:39], 0, v[30:31]
	global_store_dwordx2 v[42:43], v[40:41], off
	v_mul_f64 v[40:41], s[10:11], v[28:29]
	global_store_dwordx2 v[42:43], v[40:41], off offset:128
	v_mul_f64 v[40:41], s[10:11], v[26:27]
	s_lshl_b64 s[2:3], s[22:23], 7
	global_store_dwordx2 v[42:43], v[40:41], off offset:256
	v_mul_f64 v[40:41], s[10:11], v[24:25]
	v_lshl_add_u64 v[38:39], v[38:39], 0, s[2:3]
	global_store_dwordx2 v[42:43], v[40:41], off offset:384
	v_mul_f64 v[40:41], s[10:11], v[22:23]
	v_lshl_add_u64 v[42:43], v[38:39], 0, v[30:31]
	global_store_dwordx2 v[42:43], v[40:41], off
	v_mul_f64 v[40:41], s[10:11], v[20:21]
	global_store_dwordx2 v[42:43], v[40:41], off offset:128
	v_mul_f64 v[40:41], s[10:11], v[18:19]
	global_store_dwordx2 v[42:43], v[40:41], off offset:256
	v_mul_f64 v[40:41], s[10:11], v[16:17]
	v_lshl_add_u64 v[38:39], v[38:39], 0, s[2:3]
	global_store_dwordx2 v[42:43], v[40:41], off offset:384
	v_mul_f64 v[40:41], s[10:11], v[14:15]
	v_lshl_add_u64 v[42:43], v[38:39], 0, v[30:31]
	global_store_dwordx2 v[42:43], v[40:41], off
	v_mul_f64 v[40:41], s[10:11], v[12:13]
	global_store_dwordx2 v[42:43], v[40:41], off offset:128
	v_mul_f64 v[40:41], s[10:11], v[10:11]
	;; [unrolled: 10-line block ×3, first 2 shown]
	global_store_dwordx2 v[38:39], v[40:41], off offset:256
	v_mul_f64 v[40:41], s[10:11], v[0:1]
	global_store_dwordx2 v[38:39], v[40:41], off offset:384
	s_andn2_b64 vcc, exec, s[6:7]
	s_cbranch_vccnz .LBB67_7
.LBB67_6:
	s_mul_i32 s2, s19, s4
	s_mul_hi_u32 s3, s18, s4
	s_add_i32 s3, s3, s2
	s_mul_i32 s2, s18, s4
	s_lshl_b64 s[2:3], s[2:3], 3
	s_add_u32 s2, s14, s2
	v_mul_lo_u32 v35, v35, s16
	v_mul_lo_u32 v40, v34, s17
	v_mad_u64_u32 v[38:39], s[4:5], v34, s16, 0
	s_addc_u32 s3, s15, s3
	v_add3_u32 v39, v39, v40, v35
	v_lshl_add_u64 v[38:39], v[38:39], 3, s[2:3]
	v_lshl_add_u64 v[40:41], v[38:39], 0, v[30:31]
	global_load_dwordx2 v[42:43], v[40:41], off
	v_mad_u64_u32 v[34:35], s[2:3], v34, s22, 0
	v_add3_u32 v35, v35, v37, v36
	v_lshl_add_u64 v[34:35], v[34:35], 3, s[0:1]
	v_lshl_add_u64 v[36:37], v[34:35], 0, v[30:31]
	s_lshl_b64 s[0:1], s[16:17], 7
	s_lshl_b64 s[2:3], s[22:23], 7
	s_waitcnt vmcnt(0)
	v_mul_f64 v[42:43], s[12:13], v[42:43]
	v_fmac_f64_e32 v[42:43], s[10:11], v[32:33]
	global_store_dwordx2 v[36:37], v[42:43], off
	global_load_dwordx2 v[32:33], v[40:41], off offset:128
	s_waitcnt vmcnt(0)
	v_mul_f64 v[32:33], s[12:13], v[32:33]
	v_fmac_f64_e32 v[32:33], s[10:11], v[28:29]
	global_store_dwordx2 v[36:37], v[32:33], off offset:128
	global_load_dwordx2 v[28:29], v[40:41], off offset:256
	s_waitcnt vmcnt(0)
	v_mul_f64 v[28:29], s[12:13], v[28:29]
	v_fmac_f64_e32 v[28:29], s[10:11], v[26:27]
	global_store_dwordx2 v[36:37], v[28:29], off offset:256
	global_load_dwordx2 v[26:27], v[40:41], off offset:384
	v_lshl_add_u64 v[28:29], v[38:39], 0, s[0:1]
	v_lshl_add_u64 v[32:33], v[28:29], 0, v[30:31]
	s_waitcnt vmcnt(0)
	v_mul_f64 v[26:27], s[12:13], v[26:27]
	v_fmac_f64_e32 v[26:27], s[10:11], v[24:25]
	global_store_dwordx2 v[36:37], v[26:27], off offset:384
	global_load_dwordx2 v[24:25], v[32:33], off
	v_lshl_add_u64 v[26:27], v[34:35], 0, s[2:3]
	v_lshl_add_u64 v[34:35], v[26:27], 0, v[30:31]
	s_waitcnt vmcnt(0)
	v_mul_f64 v[24:25], s[12:13], v[24:25]
	v_fmac_f64_e32 v[24:25], s[10:11], v[22:23]
	global_store_dwordx2 v[34:35], v[24:25], off
	global_load_dwordx2 v[22:23], v[32:33], off offset:128
	s_waitcnt vmcnt(0)
	v_mul_f64 v[22:23], s[12:13], v[22:23]
	v_fmac_f64_e32 v[22:23], s[10:11], v[20:21]
	global_store_dwordx2 v[34:35], v[22:23], off offset:128
	global_load_dwordx2 v[20:21], v[32:33], off offset:256
	s_waitcnt vmcnt(0)
	v_mul_f64 v[20:21], s[12:13], v[20:21]
	v_fmac_f64_e32 v[20:21], s[10:11], v[18:19]
	global_store_dwordx2 v[34:35], v[20:21], off offset:256
	global_load_dwordx2 v[18:19], v[32:33], off offset:384
	v_lshl_add_u64 v[20:21], v[28:29], 0, s[0:1]
	v_lshl_add_u64 v[22:23], v[20:21], 0, v[30:31]
	s_waitcnt vmcnt(0)
	v_mul_f64 v[18:19], s[12:13], v[18:19]
	v_fmac_f64_e32 v[18:19], s[10:11], v[16:17]
	global_store_dwordx2 v[34:35], v[18:19], off offset:384
	global_load_dwordx2 v[16:17], v[22:23], off
	v_lshl_add_u64 v[18:19], v[26:27], 0, s[2:3]
	v_lshl_add_u64 v[24:25], v[18:19], 0, v[30:31]
	s_waitcnt vmcnt(0)
	v_mul_f64 v[16:17], s[12:13], v[16:17]
	v_fmac_f64_e32 v[16:17], s[10:11], v[14:15]
	global_store_dwordx2 v[24:25], v[16:17], off
	global_load_dwordx2 v[14:15], v[22:23], off offset:128
	s_waitcnt vmcnt(0)
	v_mul_f64 v[14:15], s[12:13], v[14:15]
	v_fmac_f64_e32 v[14:15], s[10:11], v[12:13]
	global_store_dwordx2 v[24:25], v[14:15], off offset:128
	global_load_dwordx2 v[12:13], v[22:23], off offset:256
	s_waitcnt vmcnt(0)
	v_mul_f64 v[12:13], s[12:13], v[12:13]
	v_fmac_f64_e32 v[12:13], s[10:11], v[10:11]
	global_store_dwordx2 v[24:25], v[12:13], off offset:256
	global_load_dwordx2 v[10:11], v[22:23], off offset:384
	v_lshl_add_u64 v[12:13], v[20:21], 0, s[0:1]
	v_lshl_add_u64 v[12:13], v[12:13], 0, v[30:31]
	s_waitcnt vmcnt(0)
	v_mul_f64 v[10:11], s[12:13], v[10:11]
	v_fmac_f64_e32 v[10:11], s[10:11], v[8:9]
	global_store_dwordx2 v[24:25], v[10:11], off offset:384
	global_load_dwordx2 v[8:9], v[12:13], off
	v_lshl_add_u64 v[10:11], v[18:19], 0, s[2:3]
	s_waitcnt vmcnt(0)
	v_mul_f64 v[8:9], s[12:13], v[8:9]
	v_fmac_f64_e32 v[8:9], s[10:11], v[6:7]
	v_lshl_add_u64 v[6:7], v[10:11], 0, v[30:31]
	global_store_dwordx2 v[6:7], v[8:9], off
	global_load_dwordx2 v[8:9], v[12:13], off offset:128
	s_waitcnt vmcnt(0)
	v_mul_f64 v[8:9], s[12:13], v[8:9]
	v_fmac_f64_e32 v[8:9], s[10:11], v[4:5]
	global_store_dwordx2 v[6:7], v[8:9], off offset:128
	global_load_dwordx2 v[4:5], v[12:13], off offset:256
	s_waitcnt vmcnt(0)
	v_mul_f64 v[4:5], s[12:13], v[4:5]
	v_fmac_f64_e32 v[4:5], s[10:11], v[2:3]
	global_store_dwordx2 v[6:7], v[4:5], off offset:256
	;; [unrolled: 5-line block ×3, first 2 shown]
.LBB67_7:
	s_endpgm
.LBB67_8:
	s_branch .LBB67_6
	.section	.rodata,"a",@progbits
	.p2align	6, 0x0
	.amdhsa_kernel _ZN12_GLOBAL__N_127rocblas_gemm_batched_kernelIdLi16ELi16ELi64ELi64ELi4ELi64ELi4ELi4ELi64ELc78ELc67EKdS1_dEEvlllT_PT11_llS4_llS2_PT12_llPT13_lli
		.amdhsa_group_segment_fixed_size 4096
		.amdhsa_private_segment_fixed_size 0
		.amdhsa_kernarg_size 140
		.amdhsa_user_sgpr_count 2
		.amdhsa_user_sgpr_dispatch_ptr 0
		.amdhsa_user_sgpr_queue_ptr 0
		.amdhsa_user_sgpr_kernarg_segment_ptr 1
		.amdhsa_user_sgpr_dispatch_id 0
		.amdhsa_user_sgpr_kernarg_preload_length 0
		.amdhsa_user_sgpr_kernarg_preload_offset 0
		.amdhsa_user_sgpr_private_segment_size 0
		.amdhsa_uses_dynamic_stack 0
		.amdhsa_enable_private_segment 0
		.amdhsa_system_sgpr_workgroup_id_x 1
		.amdhsa_system_sgpr_workgroup_id_y 1
		.amdhsa_system_sgpr_workgroup_id_z 1
		.amdhsa_system_sgpr_workgroup_info 0
		.amdhsa_system_vgpr_workitem_id 1
		.amdhsa_next_free_vgpr 86
		.amdhsa_next_free_sgpr 28
		.amdhsa_accum_offset 88
		.amdhsa_reserve_vcc 1
		.amdhsa_float_round_mode_32 0
		.amdhsa_float_round_mode_16_64 0
		.amdhsa_float_denorm_mode_32 3
		.amdhsa_float_denorm_mode_16_64 3
		.amdhsa_dx10_clamp 1
		.amdhsa_ieee_mode 1
		.amdhsa_fp16_overflow 0
		.amdhsa_tg_split 0
		.amdhsa_exception_fp_ieee_invalid_op 0
		.amdhsa_exception_fp_denorm_src 0
		.amdhsa_exception_fp_ieee_div_zero 0
		.amdhsa_exception_fp_ieee_overflow 0
		.amdhsa_exception_fp_ieee_underflow 0
		.amdhsa_exception_fp_ieee_inexact 0
		.amdhsa_exception_int_div_zero 0
	.end_amdhsa_kernel
	.section	.text._ZN12_GLOBAL__N_127rocblas_gemm_batched_kernelIdLi16ELi16ELi64ELi64ELi4ELi64ELi4ELi4ELi64ELc78ELc67EKdS1_dEEvlllT_PT11_llS4_llS2_PT12_llPT13_lli,"axG",@progbits,_ZN12_GLOBAL__N_127rocblas_gemm_batched_kernelIdLi16ELi16ELi64ELi64ELi4ELi64ELi4ELi4ELi64ELc78ELc67EKdS1_dEEvlllT_PT11_llS4_llS2_PT12_llPT13_lli,comdat
.Lfunc_end67:
	.size	_ZN12_GLOBAL__N_127rocblas_gemm_batched_kernelIdLi16ELi16ELi64ELi64ELi4ELi64ELi4ELi4ELi64ELc78ELc67EKdS1_dEEvlllT_PT11_llS4_llS2_PT12_llPT13_lli, .Lfunc_end67-_ZN12_GLOBAL__N_127rocblas_gemm_batched_kernelIdLi16ELi16ELi64ELi64ELi4ELi64ELi4ELi4ELi64ELc78ELc67EKdS1_dEEvlllT_PT11_llS4_llS2_PT12_llPT13_lli
                                        ; -- End function
	.set _ZN12_GLOBAL__N_127rocblas_gemm_batched_kernelIdLi16ELi16ELi64ELi64ELi4ELi64ELi4ELi4ELi64ELc78ELc67EKdS1_dEEvlllT_PT11_llS4_llS2_PT12_llPT13_lli.num_vgpr, 86
	.set _ZN12_GLOBAL__N_127rocblas_gemm_batched_kernelIdLi16ELi16ELi64ELi64ELi4ELi64ELi4ELi4ELi64ELc78ELc67EKdS1_dEEvlllT_PT11_llS4_llS2_PT12_llPT13_lli.num_agpr, 0
	.set _ZN12_GLOBAL__N_127rocblas_gemm_batched_kernelIdLi16ELi16ELi64ELi64ELi4ELi64ELi4ELi4ELi64ELc78ELc67EKdS1_dEEvlllT_PT11_llS4_llS2_PT12_llPT13_lli.numbered_sgpr, 28
	.set _ZN12_GLOBAL__N_127rocblas_gemm_batched_kernelIdLi16ELi16ELi64ELi64ELi4ELi64ELi4ELi4ELi64ELc78ELc67EKdS1_dEEvlllT_PT11_llS4_llS2_PT12_llPT13_lli.num_named_barrier, 0
	.set _ZN12_GLOBAL__N_127rocblas_gemm_batched_kernelIdLi16ELi16ELi64ELi64ELi4ELi64ELi4ELi4ELi64ELc78ELc67EKdS1_dEEvlllT_PT11_llS4_llS2_PT12_llPT13_lli.private_seg_size, 0
	.set _ZN12_GLOBAL__N_127rocblas_gemm_batched_kernelIdLi16ELi16ELi64ELi64ELi4ELi64ELi4ELi4ELi64ELc78ELc67EKdS1_dEEvlllT_PT11_llS4_llS2_PT12_llPT13_lli.uses_vcc, 1
	.set _ZN12_GLOBAL__N_127rocblas_gemm_batched_kernelIdLi16ELi16ELi64ELi64ELi4ELi64ELi4ELi4ELi64ELc78ELc67EKdS1_dEEvlllT_PT11_llS4_llS2_PT12_llPT13_lli.uses_flat_scratch, 0
	.set _ZN12_GLOBAL__N_127rocblas_gemm_batched_kernelIdLi16ELi16ELi64ELi64ELi4ELi64ELi4ELi4ELi64ELc78ELc67EKdS1_dEEvlllT_PT11_llS4_llS2_PT12_llPT13_lli.has_dyn_sized_stack, 0
	.set _ZN12_GLOBAL__N_127rocblas_gemm_batched_kernelIdLi16ELi16ELi64ELi64ELi4ELi64ELi4ELi4ELi64ELc78ELc67EKdS1_dEEvlllT_PT11_llS4_llS2_PT12_llPT13_lli.has_recursion, 0
	.set _ZN12_GLOBAL__N_127rocblas_gemm_batched_kernelIdLi16ELi16ELi64ELi64ELi4ELi64ELi4ELi4ELi64ELc78ELc67EKdS1_dEEvlllT_PT11_llS4_llS2_PT12_llPT13_lli.has_indirect_call, 0
	.section	.AMDGPU.csdata,"",@progbits
; Kernel info:
; codeLenInByte = 2144
; TotalNumSgprs: 34
; NumVgprs: 86
; NumAgprs: 0
; TotalNumVgprs: 86
; ScratchSize: 0
; MemoryBound: 0
; FloatMode: 240
; IeeeMode: 1
; LDSByteSize: 4096 bytes/workgroup (compile time only)
; SGPRBlocks: 4
; VGPRBlocks: 10
; NumSGPRsForWavesPerEU: 34
; NumVGPRsForWavesPerEU: 86
; AccumOffset: 88
; Occupancy: 5
; WaveLimiterHint : 1
; COMPUTE_PGM_RSRC2:SCRATCH_EN: 0
; COMPUTE_PGM_RSRC2:USER_SGPR: 2
; COMPUTE_PGM_RSRC2:TRAP_HANDLER: 0
; COMPUTE_PGM_RSRC2:TGID_X_EN: 1
; COMPUTE_PGM_RSRC2:TGID_Y_EN: 1
; COMPUTE_PGM_RSRC2:TGID_Z_EN: 1
; COMPUTE_PGM_RSRC2:TIDIG_COMP_CNT: 1
; COMPUTE_PGM_RSRC3_GFX90A:ACCUM_OFFSET: 21
; COMPUTE_PGM_RSRC3_GFX90A:TG_SPLIT: 0
	.section	.text._ZN12_GLOBAL__N_127rocblas_gemm_batched_kernelIdLi16ELi16ELi64ELi64ELi4ELi64ELi4ELi4ELi64ELc84ELc67EKdS1_dEEvlllT_PT11_llS4_llS2_PT12_llPT13_lli,"axG",@progbits,_ZN12_GLOBAL__N_127rocblas_gemm_batched_kernelIdLi16ELi16ELi64ELi64ELi4ELi64ELi4ELi4ELi64ELc84ELc67EKdS1_dEEvlllT_PT11_llS4_llS2_PT12_llPT13_lli,comdat
	.globl	_ZN12_GLOBAL__N_127rocblas_gemm_batched_kernelIdLi16ELi16ELi64ELi64ELi4ELi64ELi4ELi4ELi64ELc84ELc67EKdS1_dEEvlllT_PT11_llS4_llS2_PT12_llPT13_lli ; -- Begin function _ZN12_GLOBAL__N_127rocblas_gemm_batched_kernelIdLi16ELi16ELi64ELi64ELi4ELi64ELi4ELi4ELi64ELc84ELc67EKdS1_dEEvlllT_PT11_llS4_llS2_PT12_llPT13_lli
	.p2align	8
	.type	_ZN12_GLOBAL__N_127rocblas_gemm_batched_kernelIdLi16ELi16ELi64ELi64ELi4ELi64ELi4ELi4ELi64ELc84ELc67EKdS1_dEEvlllT_PT11_llS4_llS2_PT12_llPT13_lli,@function
_ZN12_GLOBAL__N_127rocblas_gemm_batched_kernelIdLi16ELi16ELi64ELi64ELi4ELi64ELi4ELi4ELi64ELc84ELc67EKdS1_dEEvlllT_PT11_llS4_llS2_PT12_llPT13_lli: ; @_ZN12_GLOBAL__N_127rocblas_gemm_batched_kernelIdLi16ELi16ELi64ELi64ELi4ELi64ELi4ELi4ELi64ELc84ELc67EKdS1_dEEvlllT_PT11_llS4_llS2_PT12_llPT13_lli
; %bb.0:
	s_load_dwordx16 s[8:23], s[0:1], 0x10
	s_mov_b32 s6, s3
	v_mov_b32_e32 v35, 0
	s_ashr_i32 s3, s2, 31
	s_ashr_i32 s7, s6, 31
	s_waitcnt lgkmcnt(0)
	v_cmp_lt_i64_e64 s[24:25], s[8:9], 1
	v_bfe_u32 v34, v0, 10, 10
	v_and_b32_e32 v32, 0x3ff, v0
	v_mov_b32_e32 v33, v35
	s_lshl_b64 s[2:3], s[2:3], 6
	s_lshl_b64 s[6:7], s[6:7], 6
	s_and_b64 vcc, exec, s[24:25]
	s_cbranch_vccnz .LBB68_3
; %bb.1:
	v_lshl_add_u32 v4, v34, 4, v32
	v_and_b32_e32 v2, 63, v4
	v_lshrrev_b32_e32 v0, 2, v4
	v_and_b32_e32 v5, 3, v32
	v_lshrrev_b32_e32 v6, 6, v4
	v_lshlrev_b32_e32 v4, 3, v2
	v_lshl_or_b32 v42, v6, 9, v4
	v_lshlrev_b32_e32 v4, 3, v5
	v_mov_b32_e32 v1, v35
	v_lshl_or_b32 v4, v0, 5, v4
	v_add_u32_e32 v43, 0x800, v4
	v_mov_b32_e32 v4, 0x800
	s_mul_i32 s5, s23, s4
	s_mul_hi_u32 s23, s22, s4
	v_mad_u64_u32 v[0:1], s[24:25], s20, v5, v[0:1]
	v_lshl_add_u32 v45, v34, 5, v4
	s_add_i32 s23, s23, s5
	s_mul_i32 s22, s22, s4
	v_mov_b32_e32 v4, v1
	s_lshl_b64 s[22:23], s[22:23], 3
	v_mad_u64_u32 v[4:5], s[24:25], s21, v5, v[4:5]
	v_mov_b32_e32 v1, v4
	s_add_u32 s18, s18, s22
	v_mov_b32_e32 v3, v35
	v_lshl_add_u64 v[0:1], v[0:1], 0, s[6:7]
	s_addc_u32 s19, s19, s23
	v_lshl_add_u64 v[36:37], v[0:1], 3, s[18:19]
	v_lshl_add_u64 v[0:1], s[2:3], 0, v[2:3]
	v_mul_lo_u32 v2, s15, v0
	v_mul_lo_u32 v3, s14, v1
	v_mad_u64_u32 v[0:1], s[14:15], s14, v0, 0
	s_mul_i32 s5, s17, s4
	s_mul_hi_u32 s14, s16, s4
	s_add_i32 s15, s14, s5
	s_mul_i32 s14, s16, s4
	v_add3_u32 v1, v1, v3, v2
	s_lshl_b64 s[14:15], s[14:15], 3
	v_lshl_add_u64 v[0:1], v[0:1], 3, s[14:15]
	v_lshlrev_b32_e32 v2, 3, v6
	v_mov_b32_e32 v3, v35
	v_lshl_add_u64 v[0:1], v[0:1], 0, v[2:3]
	v_lshlrev_b32_e32 v44, 3, v32
	s_lshl_b64 s[18:19], s[20:21], 5
	v_lshl_add_u64 v[38:39], s[12:13], 0, v[0:1]
	s_mov_b64 s[12:13], 0
	v_mov_b64_e32 v[0:1], 0
	v_mov_b64_e32 v[40:41], s[8:9]
	;; [unrolled: 1-line block ×17, first 2 shown]
.LBB68_2:                               ; =>This Inner Loop Header: Depth=1
	global_load_dwordx2 v[46:47], v[38:39], off
	global_load_dwordx2 v[48:49], v[36:37], off
	s_add_u32 s12, s12, 4
	s_addc_u32 s13, s13, 0
	v_cmp_lt_i64_e32 vcc, s[12:13], v[40:41]
	v_lshl_add_u64 v[36:37], v[36:37], 0, s[18:19]
	v_lshl_add_u64 v[38:39], v[38:39], 0, 32
	s_and_b64 vcc, exec, vcc
	s_waitcnt vmcnt(1)
	ds_write_b64 v42, v[46:47]
	s_waitcnt vmcnt(0)
	ds_write_b64 v43, v[48:49]
	s_waitcnt lgkmcnt(0)
	s_barrier
	ds_read2_b64 v[46:49], v44 offset1:16
	ds_read_b128 v[50:53], v45 offset:1536
	ds_read_b128 v[54:57], v45
	ds_read_b128 v[58:61], v45 offset:16
	ds_read_b128 v[62:65], v45 offset:512
	;; [unrolled: 1-line block ×5, first 2 shown]
	s_waitcnt lgkmcnt(5)
	v_fmac_f64_e32 v[30:31], v[46:47], v[54:55]
	v_fmac_f64_e32 v[28:29], v[48:49], v[54:55]
	s_waitcnt lgkmcnt(3)
	v_fmac_f64_e32 v[22:23], v[46:47], v[62:63]
	v_fmac_f64_e32 v[20:21], v[48:49], v[62:63]
	;; [unrolled: 3-line block ×3, first 2 shown]
	v_fmac_f64_e32 v[6:7], v[46:47], v[50:51]
	v_fmac_f64_e32 v[4:5], v[48:49], v[50:51]
	ds_read2_b64 v[46:49], v44 offset0:32 offset1:48
	ds_read2_b64 v[82:85], v44 offset0:96 offset1:112
	ds_read_b128 v[78:81], v45 offset:1552
	s_waitcnt lgkmcnt(2)
	v_fmac_f64_e32 v[26:27], v[46:47], v[54:55]
	v_fmac_f64_e32 v[24:25], v[48:49], v[54:55]
	;; [unrolled: 1-line block ×8, first 2 shown]
	ds_read2_b64 v[46:49], v44 offset0:64 offset1:80
	s_waitcnt lgkmcnt(2)
	v_fmac_f64_e32 v[26:27], v[82:83], v[56:57]
	v_fmac_f64_e32 v[24:25], v[84:85], v[56:57]
	;; [unrolled: 1-line block ×4, first 2 shown]
	s_waitcnt lgkmcnt(0)
	v_fmac_f64_e32 v[30:31], v[46:47], v[56:57]
	v_fmac_f64_e32 v[28:29], v[48:49], v[56:57]
	;; [unrolled: 1-line block ×6, first 2 shown]
	ds_read2_b64 v[54:57], v44 offset0:128 offset1:144
	v_fmac_f64_e32 v[6:7], v[46:47], v[52:53]
	v_fmac_f64_e32 v[4:5], v[48:49], v[52:53]
	ds_read2_b64 v[46:49], v44 offset0:160 offset1:176
	v_fmac_f64_e32 v[2:3], v[82:83], v[52:53]
	v_fmac_f64_e32 v[0:1], v[84:85], v[52:53]
	ds_read2_b64 v[50:53], v44 offset0:192 offset1:208
	ds_read2_b64 v[62:65], v44 offset0:224 offset1:240
	v_fmac_f64_e32 v[10:11], v[82:83], v[72:73]
	v_fmac_f64_e32 v[8:9], v[84:85], v[72:73]
	s_waitcnt lgkmcnt(3)
	v_fmac_f64_e32 v[30:31], v[54:55], v[58:59]
	v_fmac_f64_e32 v[28:29], v[56:57], v[58:59]
	;; [unrolled: 1-line block ×8, first 2 shown]
	s_waitcnt lgkmcnt(2)
	v_fmac_f64_e32 v[26:27], v[46:47], v[58:59]
	v_fmac_f64_e32 v[24:25], v[48:49], v[58:59]
	;; [unrolled: 1-line block ×8, first 2 shown]
	s_waitcnt lgkmcnt(1)
	v_fmac_f64_e32 v[30:31], v[50:51], v[60:61]
	v_fmac_f64_e32 v[28:29], v[52:53], v[60:61]
	s_waitcnt lgkmcnt(0)
	v_fmac_f64_e32 v[26:27], v[62:63], v[60:61]
	v_fmac_f64_e32 v[24:25], v[64:65], v[60:61]
	;; [unrolled: 1-line block ×14, first 2 shown]
	s_barrier
	s_cbranch_vccnz .LBB68_2
	s_branch .LBB68_4
.LBB68_3:
	v_mov_b64_e32 v[30:31], 0
	v_mov_b64_e32 v[28:29], 0
	;; [unrolled: 1-line block ×16, first 2 shown]
.LBB68_4:
	s_load_dwordx8 s[20:27], s[0:1], 0x70
	s_load_dwordx8 s[12:19], s[0:1], 0x50
	v_lshl_add_u64 v[34:35], s[6:7], 0, v[34:35]
	v_lshl_add_u64 v[32:33], s[2:3], 0, v[32:33]
	s_mov_b64 s[6:7], 0
	s_waitcnt lgkmcnt(0)
	s_mul_i32 s1, s25, s4
	s_mul_hi_u32 s5, s24, s4
	s_mul_i32 s0, s24, s4
	s_add_i32 s1, s5, s1
	s_lshl_b64 s[0:1], s[0:1], 3
	s_add_u32 s0, s20, s0
	v_cmp_neq_f64_e64 s[8:9], s[12:13], 0
	s_addc_u32 s1, s21, s1
	s_and_b64 vcc, exec, s[8:9]
	v_mul_lo_u32 v36, v35, s22
	v_mul_lo_u32 v37, v34, s23
	v_lshlrev_b64 v[32:33], 3, v[32:33]
	s_cbranch_vccnz .LBB68_8
; %bb.5:
	v_mad_u64_u32 v[38:39], s[2:3], v34, s22, 0
	v_add3_u32 v39, v39, v37, v36
	v_lshl_add_u64 v[38:39], v[38:39], 3, s[0:1]
	v_mul_f64 v[40:41], s[10:11], v[30:31]
	v_lshl_add_u64 v[42:43], v[38:39], 0, v[32:33]
	global_store_dwordx2 v[42:43], v[40:41], off
	v_mul_f64 v[40:41], s[10:11], v[28:29]
	global_store_dwordx2 v[42:43], v[40:41], off offset:128
	v_mul_f64 v[40:41], s[10:11], v[26:27]
	s_lshl_b64 s[2:3], s[22:23], 7
	global_store_dwordx2 v[42:43], v[40:41], off offset:256
	v_mul_f64 v[40:41], s[10:11], v[24:25]
	v_lshl_add_u64 v[38:39], v[38:39], 0, s[2:3]
	global_store_dwordx2 v[42:43], v[40:41], off offset:384
	v_mul_f64 v[40:41], s[10:11], v[22:23]
	v_lshl_add_u64 v[42:43], v[38:39], 0, v[32:33]
	global_store_dwordx2 v[42:43], v[40:41], off
	v_mul_f64 v[40:41], s[10:11], v[20:21]
	global_store_dwordx2 v[42:43], v[40:41], off offset:128
	v_mul_f64 v[40:41], s[10:11], v[18:19]
	global_store_dwordx2 v[42:43], v[40:41], off offset:256
	v_mul_f64 v[40:41], s[10:11], v[16:17]
	v_lshl_add_u64 v[38:39], v[38:39], 0, s[2:3]
	global_store_dwordx2 v[42:43], v[40:41], off offset:384
	v_mul_f64 v[40:41], s[10:11], v[14:15]
	v_lshl_add_u64 v[42:43], v[38:39], 0, v[32:33]
	global_store_dwordx2 v[42:43], v[40:41], off
	v_mul_f64 v[40:41], s[10:11], v[12:13]
	global_store_dwordx2 v[42:43], v[40:41], off offset:128
	v_mul_f64 v[40:41], s[10:11], v[10:11]
	;; [unrolled: 10-line block ×3, first 2 shown]
	global_store_dwordx2 v[38:39], v[40:41], off offset:256
	v_mul_f64 v[40:41], s[10:11], v[0:1]
	global_store_dwordx2 v[38:39], v[40:41], off offset:384
	s_andn2_b64 vcc, exec, s[6:7]
	s_cbranch_vccnz .LBB68_7
.LBB68_6:
	s_mul_i32 s2, s19, s4
	s_mul_hi_u32 s3, s18, s4
	s_add_i32 s3, s3, s2
	s_mul_i32 s2, s18, s4
	s_lshl_b64 s[2:3], s[2:3], 3
	s_add_u32 s2, s14, s2
	v_mul_lo_u32 v35, v35, s16
	v_mul_lo_u32 v40, v34, s17
	v_mad_u64_u32 v[38:39], s[4:5], v34, s16, 0
	s_addc_u32 s3, s15, s3
	v_add3_u32 v39, v39, v40, v35
	v_lshl_add_u64 v[38:39], v[38:39], 3, s[2:3]
	v_lshl_add_u64 v[40:41], v[38:39], 0, v[32:33]
	global_load_dwordx2 v[42:43], v[40:41], off
	v_mad_u64_u32 v[34:35], s[2:3], v34, s22, 0
	v_add3_u32 v35, v35, v37, v36
	v_lshl_add_u64 v[34:35], v[34:35], 3, s[0:1]
	v_lshl_add_u64 v[36:37], v[34:35], 0, v[32:33]
	s_lshl_b64 s[0:1], s[16:17], 7
	s_lshl_b64 s[2:3], s[22:23], 7
	s_waitcnt vmcnt(0)
	v_mul_f64 v[42:43], s[12:13], v[42:43]
	v_fmac_f64_e32 v[42:43], s[10:11], v[30:31]
	global_store_dwordx2 v[36:37], v[42:43], off
	global_load_dwordx2 v[30:31], v[40:41], off offset:128
	s_waitcnt vmcnt(0)
	v_mul_f64 v[30:31], s[12:13], v[30:31]
	v_fmac_f64_e32 v[30:31], s[10:11], v[28:29]
	global_store_dwordx2 v[36:37], v[30:31], off offset:128
	global_load_dwordx2 v[28:29], v[40:41], off offset:256
	s_waitcnt vmcnt(0)
	v_mul_f64 v[28:29], s[12:13], v[28:29]
	v_fmac_f64_e32 v[28:29], s[10:11], v[26:27]
	global_store_dwordx2 v[36:37], v[28:29], off offset:256
	global_load_dwordx2 v[26:27], v[40:41], off offset:384
	v_lshl_add_u64 v[28:29], v[38:39], 0, s[0:1]
	v_lshl_add_u64 v[30:31], v[28:29], 0, v[32:33]
	s_waitcnt vmcnt(0)
	v_mul_f64 v[26:27], s[12:13], v[26:27]
	v_fmac_f64_e32 v[26:27], s[10:11], v[24:25]
	global_store_dwordx2 v[36:37], v[26:27], off offset:384
	global_load_dwordx2 v[24:25], v[30:31], off
	v_lshl_add_u64 v[26:27], v[34:35], 0, s[2:3]
	v_lshl_add_u64 v[34:35], v[26:27], 0, v[32:33]
	s_waitcnt vmcnt(0)
	v_mul_f64 v[24:25], s[12:13], v[24:25]
	v_fmac_f64_e32 v[24:25], s[10:11], v[22:23]
	global_store_dwordx2 v[34:35], v[24:25], off
	global_load_dwordx2 v[22:23], v[30:31], off offset:128
	s_waitcnt vmcnt(0)
	v_mul_f64 v[22:23], s[12:13], v[22:23]
	v_fmac_f64_e32 v[22:23], s[10:11], v[20:21]
	global_store_dwordx2 v[34:35], v[22:23], off offset:128
	global_load_dwordx2 v[20:21], v[30:31], off offset:256
	s_waitcnt vmcnt(0)
	v_mul_f64 v[20:21], s[12:13], v[20:21]
	v_fmac_f64_e32 v[20:21], s[10:11], v[18:19]
	global_store_dwordx2 v[34:35], v[20:21], off offset:256
	global_load_dwordx2 v[18:19], v[30:31], off offset:384
	v_lshl_add_u64 v[20:21], v[28:29], 0, s[0:1]
	v_lshl_add_u64 v[22:23], v[20:21], 0, v[32:33]
	s_waitcnt vmcnt(0)
	v_mul_f64 v[18:19], s[12:13], v[18:19]
	v_fmac_f64_e32 v[18:19], s[10:11], v[16:17]
	global_store_dwordx2 v[34:35], v[18:19], off offset:384
	global_load_dwordx2 v[16:17], v[22:23], off
	v_lshl_add_u64 v[18:19], v[26:27], 0, s[2:3]
	v_lshl_add_u64 v[24:25], v[18:19], 0, v[32:33]
	s_waitcnt vmcnt(0)
	v_mul_f64 v[16:17], s[12:13], v[16:17]
	v_fmac_f64_e32 v[16:17], s[10:11], v[14:15]
	global_store_dwordx2 v[24:25], v[16:17], off
	global_load_dwordx2 v[14:15], v[22:23], off offset:128
	s_waitcnt vmcnt(0)
	v_mul_f64 v[14:15], s[12:13], v[14:15]
	v_fmac_f64_e32 v[14:15], s[10:11], v[12:13]
	global_store_dwordx2 v[24:25], v[14:15], off offset:128
	global_load_dwordx2 v[12:13], v[22:23], off offset:256
	s_waitcnt vmcnt(0)
	v_mul_f64 v[12:13], s[12:13], v[12:13]
	v_fmac_f64_e32 v[12:13], s[10:11], v[10:11]
	global_store_dwordx2 v[24:25], v[12:13], off offset:256
	global_load_dwordx2 v[10:11], v[22:23], off offset:384
	v_lshl_add_u64 v[12:13], v[20:21], 0, s[0:1]
	v_lshl_add_u64 v[12:13], v[12:13], 0, v[32:33]
	s_waitcnt vmcnt(0)
	v_mul_f64 v[10:11], s[12:13], v[10:11]
	v_fmac_f64_e32 v[10:11], s[10:11], v[8:9]
	global_store_dwordx2 v[24:25], v[10:11], off offset:384
	global_load_dwordx2 v[8:9], v[12:13], off
	v_lshl_add_u64 v[10:11], v[18:19], 0, s[2:3]
	s_waitcnt vmcnt(0)
	v_mul_f64 v[8:9], s[12:13], v[8:9]
	v_fmac_f64_e32 v[8:9], s[10:11], v[6:7]
	v_lshl_add_u64 v[6:7], v[10:11], 0, v[32:33]
	global_store_dwordx2 v[6:7], v[8:9], off
	global_load_dwordx2 v[8:9], v[12:13], off offset:128
	s_waitcnt vmcnt(0)
	v_mul_f64 v[8:9], s[12:13], v[8:9]
	v_fmac_f64_e32 v[8:9], s[10:11], v[4:5]
	global_store_dwordx2 v[6:7], v[8:9], off offset:128
	global_load_dwordx2 v[4:5], v[12:13], off offset:256
	s_waitcnt vmcnt(0)
	v_mul_f64 v[4:5], s[12:13], v[4:5]
	v_fmac_f64_e32 v[4:5], s[10:11], v[2:3]
	global_store_dwordx2 v[6:7], v[4:5], off offset:256
	global_load_dwordx2 v[2:3], v[12:13], off offset:384
	s_waitcnt vmcnt(0)
	v_mul_f64 v[2:3], s[12:13], v[2:3]
	v_fmac_f64_e32 v[2:3], s[10:11], v[0:1]
	global_store_dwordx2 v[6:7], v[2:3], off offset:384
.LBB68_7:
	s_endpgm
.LBB68_8:
	s_branch .LBB68_6
	.section	.rodata,"a",@progbits
	.p2align	6, 0x0
	.amdhsa_kernel _ZN12_GLOBAL__N_127rocblas_gemm_batched_kernelIdLi16ELi16ELi64ELi64ELi4ELi64ELi4ELi4ELi64ELc84ELc67EKdS1_dEEvlllT_PT11_llS4_llS2_PT12_llPT13_lli
		.amdhsa_group_segment_fixed_size 4096
		.amdhsa_private_segment_fixed_size 0
		.amdhsa_kernarg_size 140
		.amdhsa_user_sgpr_count 2
		.amdhsa_user_sgpr_dispatch_ptr 0
		.amdhsa_user_sgpr_queue_ptr 0
		.amdhsa_user_sgpr_kernarg_segment_ptr 1
		.amdhsa_user_sgpr_dispatch_id 0
		.amdhsa_user_sgpr_kernarg_preload_length 0
		.amdhsa_user_sgpr_kernarg_preload_offset 0
		.amdhsa_user_sgpr_private_segment_size 0
		.amdhsa_uses_dynamic_stack 0
		.amdhsa_enable_private_segment 0
		.amdhsa_system_sgpr_workgroup_id_x 1
		.amdhsa_system_sgpr_workgroup_id_y 1
		.amdhsa_system_sgpr_workgroup_id_z 1
		.amdhsa_system_sgpr_workgroup_info 0
		.amdhsa_system_vgpr_workitem_id 1
		.amdhsa_next_free_vgpr 86
		.amdhsa_next_free_sgpr 28
		.amdhsa_accum_offset 88
		.amdhsa_reserve_vcc 1
		.amdhsa_float_round_mode_32 0
		.amdhsa_float_round_mode_16_64 0
		.amdhsa_float_denorm_mode_32 3
		.amdhsa_float_denorm_mode_16_64 3
		.amdhsa_dx10_clamp 1
		.amdhsa_ieee_mode 1
		.amdhsa_fp16_overflow 0
		.amdhsa_tg_split 0
		.amdhsa_exception_fp_ieee_invalid_op 0
		.amdhsa_exception_fp_denorm_src 0
		.amdhsa_exception_fp_ieee_div_zero 0
		.amdhsa_exception_fp_ieee_overflow 0
		.amdhsa_exception_fp_ieee_underflow 0
		.amdhsa_exception_fp_ieee_inexact 0
		.amdhsa_exception_int_div_zero 0
	.end_amdhsa_kernel
	.section	.text._ZN12_GLOBAL__N_127rocblas_gemm_batched_kernelIdLi16ELi16ELi64ELi64ELi4ELi64ELi4ELi4ELi64ELc84ELc67EKdS1_dEEvlllT_PT11_llS4_llS2_PT12_llPT13_lli,"axG",@progbits,_ZN12_GLOBAL__N_127rocblas_gemm_batched_kernelIdLi16ELi16ELi64ELi64ELi4ELi64ELi4ELi4ELi64ELc84ELc67EKdS1_dEEvlllT_PT11_llS4_llS2_PT12_llPT13_lli,comdat
.Lfunc_end68:
	.size	_ZN12_GLOBAL__N_127rocblas_gemm_batched_kernelIdLi16ELi16ELi64ELi64ELi4ELi64ELi4ELi4ELi64ELc84ELc67EKdS1_dEEvlllT_PT11_llS4_llS2_PT12_llPT13_lli, .Lfunc_end68-_ZN12_GLOBAL__N_127rocblas_gemm_batched_kernelIdLi16ELi16ELi64ELi64ELi4ELi64ELi4ELi4ELi64ELc84ELc67EKdS1_dEEvlllT_PT11_llS4_llS2_PT12_llPT13_lli
                                        ; -- End function
	.set _ZN12_GLOBAL__N_127rocblas_gemm_batched_kernelIdLi16ELi16ELi64ELi64ELi4ELi64ELi4ELi4ELi64ELc84ELc67EKdS1_dEEvlllT_PT11_llS4_llS2_PT12_llPT13_lli.num_vgpr, 86
	.set _ZN12_GLOBAL__N_127rocblas_gemm_batched_kernelIdLi16ELi16ELi64ELi64ELi4ELi64ELi4ELi4ELi64ELc84ELc67EKdS1_dEEvlllT_PT11_llS4_llS2_PT12_llPT13_lli.num_agpr, 0
	.set _ZN12_GLOBAL__N_127rocblas_gemm_batched_kernelIdLi16ELi16ELi64ELi64ELi4ELi64ELi4ELi4ELi64ELc84ELc67EKdS1_dEEvlllT_PT11_llS4_llS2_PT12_llPT13_lli.numbered_sgpr, 28
	.set _ZN12_GLOBAL__N_127rocblas_gemm_batched_kernelIdLi16ELi16ELi64ELi64ELi4ELi64ELi4ELi4ELi64ELc84ELc67EKdS1_dEEvlllT_PT11_llS4_llS2_PT12_llPT13_lli.num_named_barrier, 0
	.set _ZN12_GLOBAL__N_127rocblas_gemm_batched_kernelIdLi16ELi16ELi64ELi64ELi4ELi64ELi4ELi4ELi64ELc84ELc67EKdS1_dEEvlllT_PT11_llS4_llS2_PT12_llPT13_lli.private_seg_size, 0
	.set _ZN12_GLOBAL__N_127rocblas_gemm_batched_kernelIdLi16ELi16ELi64ELi64ELi4ELi64ELi4ELi4ELi64ELc84ELc67EKdS1_dEEvlllT_PT11_llS4_llS2_PT12_llPT13_lli.uses_vcc, 1
	.set _ZN12_GLOBAL__N_127rocblas_gemm_batched_kernelIdLi16ELi16ELi64ELi64ELi4ELi64ELi4ELi4ELi64ELc84ELc67EKdS1_dEEvlllT_PT11_llS4_llS2_PT12_llPT13_lli.uses_flat_scratch, 0
	.set _ZN12_GLOBAL__N_127rocblas_gemm_batched_kernelIdLi16ELi16ELi64ELi64ELi4ELi64ELi4ELi4ELi64ELc84ELc67EKdS1_dEEvlllT_PT11_llS4_llS2_PT12_llPT13_lli.has_dyn_sized_stack, 0
	.set _ZN12_GLOBAL__N_127rocblas_gemm_batched_kernelIdLi16ELi16ELi64ELi64ELi4ELi64ELi4ELi4ELi64ELc84ELc67EKdS1_dEEvlllT_PT11_llS4_llS2_PT12_llPT13_lli.has_recursion, 0
	.set _ZN12_GLOBAL__N_127rocblas_gemm_batched_kernelIdLi16ELi16ELi64ELi64ELi4ELi64ELi4ELi4ELi64ELc84ELc67EKdS1_dEEvlllT_PT11_llS4_llS2_PT12_llPT13_lli.has_indirect_call, 0
	.section	.AMDGPU.csdata,"",@progbits
; Kernel info:
; codeLenInByte = 2160
; TotalNumSgprs: 34
; NumVgprs: 86
; NumAgprs: 0
; TotalNumVgprs: 86
; ScratchSize: 0
; MemoryBound: 0
; FloatMode: 240
; IeeeMode: 1
; LDSByteSize: 4096 bytes/workgroup (compile time only)
; SGPRBlocks: 4
; VGPRBlocks: 10
; NumSGPRsForWavesPerEU: 34
; NumVGPRsForWavesPerEU: 86
; AccumOffset: 88
; Occupancy: 5
; WaveLimiterHint : 1
; COMPUTE_PGM_RSRC2:SCRATCH_EN: 0
; COMPUTE_PGM_RSRC2:USER_SGPR: 2
; COMPUTE_PGM_RSRC2:TRAP_HANDLER: 0
; COMPUTE_PGM_RSRC2:TGID_X_EN: 1
; COMPUTE_PGM_RSRC2:TGID_Y_EN: 1
; COMPUTE_PGM_RSRC2:TGID_Z_EN: 1
; COMPUTE_PGM_RSRC2:TIDIG_COMP_CNT: 1
; COMPUTE_PGM_RSRC3_GFX90A:ACCUM_OFFSET: 21
; COMPUTE_PGM_RSRC3_GFX90A:TG_SPLIT: 0
	.section	.text._ZN12_GLOBAL__N_127rocblas_gemm_batched_kernelIdLi16ELi16ELi32ELi32ELi8ELi32ELi8ELi8ELi32ELc78ELc78EKdS1_dEEvlllT_PT11_llS4_llS2_PT12_llPT13_lli,"axG",@progbits,_ZN12_GLOBAL__N_127rocblas_gemm_batched_kernelIdLi16ELi16ELi32ELi32ELi8ELi32ELi8ELi8ELi32ELc78ELc78EKdS1_dEEvlllT_PT11_llS4_llS2_PT12_llPT13_lli,comdat
	.globl	_ZN12_GLOBAL__N_127rocblas_gemm_batched_kernelIdLi16ELi16ELi32ELi32ELi8ELi32ELi8ELi8ELi32ELc78ELc78EKdS1_dEEvlllT_PT11_llS4_llS2_PT12_llPT13_lli ; -- Begin function _ZN12_GLOBAL__N_127rocblas_gemm_batched_kernelIdLi16ELi16ELi32ELi32ELi8ELi32ELi8ELi8ELi32ELc78ELc78EKdS1_dEEvlllT_PT11_llS4_llS2_PT12_llPT13_lli
	.p2align	8
	.type	_ZN12_GLOBAL__N_127rocblas_gemm_batched_kernelIdLi16ELi16ELi32ELi32ELi8ELi32ELi8ELi8ELi32ELc78ELc78EKdS1_dEEvlllT_PT11_llS4_llS2_PT12_llPT13_lli,@function
_ZN12_GLOBAL__N_127rocblas_gemm_batched_kernelIdLi16ELi16ELi32ELi32ELi8ELi32ELi8ELi8ELi32ELc78ELc78EKdS1_dEEvlllT_PT11_llS4_llS2_PT12_llPT13_lli: ; @_ZN12_GLOBAL__N_127rocblas_gemm_batched_kernelIdLi16ELi16ELi32ELi32ELi8ELi32ELi8ELi8ELi32ELc78ELc78EKdS1_dEEvlllT_PT11_llS4_llS2_PT12_llPT13_lli
; %bb.0:
	s_load_dwordx16 s[8:23], s[0:1], 0x10
	s_mov_b32 s6, s3
	v_mov_b32_e32 v9, 0
	s_ashr_i32 s3, s2, 31
	s_ashr_i32 s7, s6, 31
	s_waitcnt lgkmcnt(0)
	v_cmp_lt_i64_e64 s[24:25], s[8:9], 1
	v_bfe_u32 v8, v0, 10, 10
	v_and_b32_e32 v4, 0x3ff, v0
	v_mov_b32_e32 v5, v9
	s_lshl_b64 s[2:3], s[2:3], 5
	s_lshl_b64 s[6:7], s[6:7], 5
	s_and_b64 vcc, exec, s[24:25]
	s_cbranch_vccnz .LBB69_3
; %bb.1:
	v_lshl_add_u32 v10, v8, 4, v4
	v_lshrrev_b32_e32 v0, 3, v10
	v_mov_b32_e32 v1, v9
	v_and_b32_e32 v6, 31, v10
	v_lshl_add_u64 v[2:3], v[0:1], 0, s[6:7]
	v_and_b32_e32 v1, 7, v4
	v_lshrrev_b32_e32 v14, 5, v10
	v_lshlrev_b32_e32 v10, 3, v6
	v_lshl_or_b32 v18, v14, 8, v10
	v_lshlrev_b32_e32 v10, 3, v1
	v_lshl_or_b32 v0, v0, 6, v10
	v_add_u32_e32 v19, 0x800, v0
	v_mov_b32_e32 v0, 0x800
	v_lshl_add_u32 v21, v8, 6, v0
	v_mul_lo_u32 v11, s21, v2
	v_mul_lo_u32 v3, s20, v3
	v_mad_u64_u32 v[0:1], s[20:21], s20, v2, 0
	s_mul_i32 s5, s23, s4
	s_mul_hi_u32 s20, s22, s4
	s_add_i32 s21, s20, s5
	s_mul_i32 s20, s22, s4
	v_add3_u32 v1, v1, v3, v11
	s_lshl_b64 s[20:21], s[20:21], 3
	v_lshl_add_u64 v[0:1], v[0:1], 3, s[20:21]
	v_mov_b32_e32 v11, v9
	v_lshl_add_u64 v[0:1], v[0:1], 0, v[10:11]
	v_lshl_add_u64 v[12:13], s[18:19], 0, v[0:1]
	v_mov_b64_e32 v[0:1], s[2:3]
	s_mul_i32 s5, s17, s4
	s_mul_hi_u32 s17, s16, s4
	v_mad_u64_u32 v[0:1], s[18:19], s14, v14, v[0:1]
	s_add_i32 s17, s17, s5
	s_mul_i32 s16, s16, s4
	v_mov_b32_e32 v2, v1
	s_lshl_b64 s[16:17], s[16:17], 3
	v_mad_u64_u32 v[2:3], s[18:19], s15, v14, v[2:3]
	v_mov_b32_e32 v7, v9
	v_mov_b32_e32 v1, v2
	s_add_u32 s12, s12, s16
	v_lshl_add_u64 v[0:1], v[0:1], 0, v[6:7]
	s_addc_u32 s13, s13, s17
	v_lshlrev_b32_e32 v20, 3, v4
	v_lshl_add_u64 v[14:15], v[0:1], 3, s[12:13]
	s_lshl_b64 s[12:13], s[14:15], 6
	s_mov_b64 s[14:15], 0
	v_mov_b64_e32 v[0:1], 0
	v_mov_b64_e32 v[16:17], s[8:9]
	;; [unrolled: 1-line block ×5, first 2 shown]
.LBB69_2:                               ; =>This Inner Loop Header: Depth=1
	global_load_dwordx2 v[22:23], v[14:15], off
	global_load_dwordx2 v[24:25], v[12:13], off
	s_add_u32 s14, s14, 8
	s_addc_u32 s15, s15, 0
	v_cmp_lt_i64_e32 vcc, s[14:15], v[16:17]
	v_lshl_add_u64 v[12:13], v[12:13], 0, 64
	v_lshl_add_u64 v[14:15], v[14:15], 0, s[12:13]
	s_and_b64 vcc, exec, vcc
	s_waitcnt vmcnt(1)
	ds_write_b64 v18, v[22:23]
	s_waitcnt vmcnt(0)
	ds_write_b64 v19, v[24:25]
	s_waitcnt lgkmcnt(0)
	s_barrier
	ds_read_b128 v[22:25], v21
	ds_read_b128 v[26:29], v21 offset:16
	ds_read_b128 v[30:33], v21 offset:32
	;; [unrolled: 1-line block ×3, first 2 shown]
	ds_read2_b64 v[38:41], v20 offset1:16
	ds_read2_b64 v[42:45], v20 offset0:32 offset1:48
	ds_read2_b64 v[46:49], v20 offset0:64 offset1:80
	ds_read_b128 v[50:53], v21 offset:1024
	ds_read_b128 v[54:57], v21 offset:1040
	ds_read2_b64 v[58:61], v20 offset0:96 offset1:112
	s_waitcnt lgkmcnt(5)
	v_fmac_f64_e32 v[10:11], v[38:39], v[22:23]
	v_fmac_f64_e32 v[6:7], v[40:41], v[22:23]
	s_waitcnt lgkmcnt(2)
	v_fmac_f64_e32 v[2:3], v[38:39], v[50:51]
	v_fmac_f64_e32 v[0:1], v[40:41], v[50:51]
	ds_read2_b64 v[38:41], v20 offset0:128 offset1:144
	v_fmac_f64_e32 v[10:11], v[42:43], v[24:25]
	v_fmac_f64_e32 v[6:7], v[44:45], v[24:25]
	ds_read_b128 v[22:25], v21 offset:1056
	v_fmac_f64_e32 v[2:3], v[42:43], v[52:53]
	v_fmac_f64_e32 v[0:1], v[44:45], v[52:53]
	ds_read2_b64 v[42:45], v20 offset0:160 offset1:176
	ds_read2_b64 v[50:53], v20 offset0:192 offset1:208
	v_fmac_f64_e32 v[10:11], v[46:47], v[26:27]
	v_fmac_f64_e32 v[6:7], v[48:49], v[26:27]
	s_waitcnt lgkmcnt(5)
	v_fmac_f64_e32 v[2:3], v[46:47], v[54:55]
	v_fmac_f64_e32 v[0:1], v[48:49], v[54:55]
	ds_read_b128 v[46:49], v21 offset:1072
	s_waitcnt lgkmcnt(5)
	v_fmac_f64_e32 v[10:11], v[58:59], v[28:29]
	v_fmac_f64_e32 v[6:7], v[60:61], v[28:29]
	ds_read2_b64 v[26:29], v20 offset0:224 offset1:240
	v_fmac_f64_e32 v[2:3], v[58:59], v[56:57]
	v_fmac_f64_e32 v[0:1], v[60:61], v[56:57]
	s_waitcnt lgkmcnt(5)
	v_fmac_f64_e32 v[10:11], v[38:39], v[30:31]
	v_fmac_f64_e32 v[6:7], v[40:41], v[30:31]
	s_waitcnt lgkmcnt(4)
	;; [unrolled: 3-line block ×3, first 2 shown]
	v_fmac_f64_e32 v[10:11], v[42:43], v[32:33]
	v_fmac_f64_e32 v[6:7], v[44:45], v[32:33]
	;; [unrolled: 1-line block ×4, first 2 shown]
	s_waitcnt lgkmcnt(2)
	v_fmac_f64_e32 v[10:11], v[50:51], v[34:35]
	v_fmac_f64_e32 v[6:7], v[52:53], v[34:35]
	s_waitcnt lgkmcnt(1)
	v_fmac_f64_e32 v[2:3], v[50:51], v[46:47]
	v_fmac_f64_e32 v[0:1], v[52:53], v[46:47]
	;; [unrolled: 3-line block ×3, first 2 shown]
	v_fmac_f64_e32 v[2:3], v[26:27], v[48:49]
	v_fmac_f64_e32 v[0:1], v[28:29], v[48:49]
	s_barrier
	s_cbranch_vccnz .LBB69_2
	s_branch .LBB69_4
.LBB69_3:
	v_mov_b64_e32 v[10:11], 0
	v_mov_b64_e32 v[6:7], 0
	;; [unrolled: 1-line block ×4, first 2 shown]
.LBB69_4:
	s_load_dwordx8 s[20:27], s[0:1], 0x70
	s_load_dwordx8 s[12:19], s[0:1], 0x50
	v_lshl_add_u64 v[8:9], s[6:7], 0, v[8:9]
	v_lshl_add_u64 v[4:5], s[2:3], 0, v[4:5]
	s_mov_b64 s[6:7], 0
	s_waitcnt lgkmcnt(0)
	s_mul_i32 s1, s25, s4
	s_mul_hi_u32 s5, s24, s4
	s_mul_i32 s0, s24, s4
	s_add_i32 s1, s5, s1
	s_lshl_b64 s[0:1], s[0:1], 3
	s_add_u32 s0, s20, s0
	v_cmp_neq_f64_e64 s[8:9], s[12:13], 0
	s_addc_u32 s1, s21, s1
	s_and_b64 vcc, exec, s[8:9]
	v_mul_lo_u32 v12, v9, s22
	v_mul_lo_u32 v13, v8, s23
	v_lshlrev_b64 v[4:5], 3, v[4:5]
	s_cbranch_vccnz .LBB69_8
; %bb.5:
	v_mad_u64_u32 v[14:15], s[2:3], v8, s22, 0
	v_add3_u32 v15, v15, v13, v12
	v_lshl_add_u64 v[14:15], v[14:15], 3, s[0:1]
	v_mul_f64 v[16:17], s[10:11], v[10:11]
	v_lshl_add_u64 v[18:19], v[14:15], 0, v[4:5]
	s_lshl_b64 s[2:3], s[22:23], 7
	global_store_dwordx2 v[18:19], v[16:17], off
	v_mul_f64 v[16:17], s[10:11], v[6:7]
	v_lshl_add_u64 v[14:15], v[14:15], 0, s[2:3]
	global_store_dwordx2 v[18:19], v[16:17], off offset:128
	v_mul_f64 v[16:17], s[10:11], v[2:3]
	v_lshl_add_u64 v[14:15], v[14:15], 0, v[4:5]
	global_store_dwordx2 v[14:15], v[16:17], off
	v_mul_f64 v[16:17], s[10:11], v[0:1]
	global_store_dwordx2 v[14:15], v[16:17], off offset:128
	s_andn2_b64 vcc, exec, s[6:7]
	s_cbranch_vccnz .LBB69_7
.LBB69_6:
	s_mul_i32 s2, s19, s4
	s_mul_hi_u32 s3, s18, s4
	s_add_i32 s3, s3, s2
	s_mul_i32 s2, s18, s4
	s_lshl_b64 s[2:3], s[2:3], 3
	s_add_u32 s2, s14, s2
	v_mul_lo_u32 v9, v9, s16
	v_mul_lo_u32 v16, v8, s17
	v_mad_u64_u32 v[14:15], s[4:5], v8, s16, 0
	s_addc_u32 s3, s15, s3
	v_add3_u32 v15, v15, v16, v9
	v_lshl_add_u64 v[14:15], v[14:15], 3, s[2:3]
	v_lshl_add_u64 v[16:17], v[14:15], 0, v[4:5]
	global_load_dwordx2 v[18:19], v[16:17], off
	v_mad_u64_u32 v[8:9], s[2:3], v8, s22, 0
	v_add3_u32 v9, v9, v13, v12
	v_lshl_add_u64 v[8:9], v[8:9], 3, s[0:1]
	v_lshl_add_u64 v[12:13], v[8:9], 0, v[4:5]
	s_lshl_b64 s[0:1], s[16:17], 7
	v_lshl_add_u64 v[14:15], v[14:15], 0, s[0:1]
	v_lshl_add_u64 v[14:15], v[14:15], 0, v[4:5]
	s_lshl_b64 s[0:1], s[22:23], 7
	v_lshl_add_u64 v[8:9], v[8:9], 0, s[0:1]
	s_waitcnt vmcnt(0)
	v_mul_f64 v[18:19], s[12:13], v[18:19]
	v_fmac_f64_e32 v[18:19], s[10:11], v[10:11]
	global_store_dwordx2 v[12:13], v[18:19], off
	global_load_dwordx2 v[10:11], v[16:17], off offset:128
	s_waitcnt vmcnt(0)
	v_mul_f64 v[10:11], s[12:13], v[10:11]
	v_fmac_f64_e32 v[10:11], s[10:11], v[6:7]
	global_store_dwordx2 v[12:13], v[10:11], off offset:128
	global_load_dwordx2 v[6:7], v[14:15], off
	s_waitcnt vmcnt(0)
	v_mul_f64 v[6:7], s[12:13], v[6:7]
	v_fmac_f64_e32 v[6:7], s[10:11], v[2:3]
	v_lshl_add_u64 v[2:3], v[8:9], 0, v[4:5]
	global_store_dwordx2 v[2:3], v[6:7], off
	global_load_dwordx2 v[4:5], v[14:15], off offset:128
	s_waitcnt vmcnt(0)
	v_mul_f64 v[4:5], s[12:13], v[4:5]
	v_fmac_f64_e32 v[4:5], s[10:11], v[0:1]
	global_store_dwordx2 v[2:3], v[4:5], off offset:128
.LBB69_7:
	s_endpgm
.LBB69_8:
	s_branch .LBB69_6
	.section	.rodata,"a",@progbits
	.p2align	6, 0x0
	.amdhsa_kernel _ZN12_GLOBAL__N_127rocblas_gemm_batched_kernelIdLi16ELi16ELi32ELi32ELi8ELi32ELi8ELi8ELi32ELc78ELc78EKdS1_dEEvlllT_PT11_llS4_llS2_PT12_llPT13_lli
		.amdhsa_group_segment_fixed_size 4096
		.amdhsa_private_segment_fixed_size 0
		.amdhsa_kernarg_size 140
		.amdhsa_user_sgpr_count 2
		.amdhsa_user_sgpr_dispatch_ptr 0
		.amdhsa_user_sgpr_queue_ptr 0
		.amdhsa_user_sgpr_kernarg_segment_ptr 1
		.amdhsa_user_sgpr_dispatch_id 0
		.amdhsa_user_sgpr_kernarg_preload_length 0
		.amdhsa_user_sgpr_kernarg_preload_offset 0
		.amdhsa_user_sgpr_private_segment_size 0
		.amdhsa_uses_dynamic_stack 0
		.amdhsa_enable_private_segment 0
		.amdhsa_system_sgpr_workgroup_id_x 1
		.amdhsa_system_sgpr_workgroup_id_y 1
		.amdhsa_system_sgpr_workgroup_id_z 1
		.amdhsa_system_sgpr_workgroup_info 0
		.amdhsa_system_vgpr_workitem_id 1
		.amdhsa_next_free_vgpr 62
		.amdhsa_next_free_sgpr 28
		.amdhsa_accum_offset 64
		.amdhsa_reserve_vcc 1
		.amdhsa_float_round_mode_32 0
		.amdhsa_float_round_mode_16_64 0
		.amdhsa_float_denorm_mode_32 3
		.amdhsa_float_denorm_mode_16_64 3
		.amdhsa_dx10_clamp 1
		.amdhsa_ieee_mode 1
		.amdhsa_fp16_overflow 0
		.amdhsa_tg_split 0
		.amdhsa_exception_fp_ieee_invalid_op 0
		.amdhsa_exception_fp_denorm_src 0
		.amdhsa_exception_fp_ieee_div_zero 0
		.amdhsa_exception_fp_ieee_overflow 0
		.amdhsa_exception_fp_ieee_underflow 0
		.amdhsa_exception_fp_ieee_inexact 0
		.amdhsa_exception_int_div_zero 0
	.end_amdhsa_kernel
	.section	.text._ZN12_GLOBAL__N_127rocblas_gemm_batched_kernelIdLi16ELi16ELi32ELi32ELi8ELi32ELi8ELi8ELi32ELc78ELc78EKdS1_dEEvlllT_PT11_llS4_llS2_PT12_llPT13_lli,"axG",@progbits,_ZN12_GLOBAL__N_127rocblas_gemm_batched_kernelIdLi16ELi16ELi32ELi32ELi8ELi32ELi8ELi8ELi32ELc78ELc78EKdS1_dEEvlllT_PT11_llS4_llS2_PT12_llPT13_lli,comdat
.Lfunc_end69:
	.size	_ZN12_GLOBAL__N_127rocblas_gemm_batched_kernelIdLi16ELi16ELi32ELi32ELi8ELi32ELi8ELi8ELi32ELc78ELc78EKdS1_dEEvlllT_PT11_llS4_llS2_PT12_llPT13_lli, .Lfunc_end69-_ZN12_GLOBAL__N_127rocblas_gemm_batched_kernelIdLi16ELi16ELi32ELi32ELi8ELi32ELi8ELi8ELi32ELc78ELc78EKdS1_dEEvlllT_PT11_llS4_llS2_PT12_llPT13_lli
                                        ; -- End function
	.set _ZN12_GLOBAL__N_127rocblas_gemm_batched_kernelIdLi16ELi16ELi32ELi32ELi8ELi32ELi8ELi8ELi32ELc78ELc78EKdS1_dEEvlllT_PT11_llS4_llS2_PT12_llPT13_lli.num_vgpr, 62
	.set _ZN12_GLOBAL__N_127rocblas_gemm_batched_kernelIdLi16ELi16ELi32ELi32ELi8ELi32ELi8ELi8ELi32ELc78ELc78EKdS1_dEEvlllT_PT11_llS4_llS2_PT12_llPT13_lli.num_agpr, 0
	.set _ZN12_GLOBAL__N_127rocblas_gemm_batched_kernelIdLi16ELi16ELi32ELi32ELi8ELi32ELi8ELi8ELi32ELc78ELc78EKdS1_dEEvlllT_PT11_llS4_llS2_PT12_llPT13_lli.numbered_sgpr, 28
	.set _ZN12_GLOBAL__N_127rocblas_gemm_batched_kernelIdLi16ELi16ELi32ELi32ELi8ELi32ELi8ELi8ELi32ELc78ELc78EKdS1_dEEvlllT_PT11_llS4_llS2_PT12_llPT13_lli.num_named_barrier, 0
	.set _ZN12_GLOBAL__N_127rocblas_gemm_batched_kernelIdLi16ELi16ELi32ELi32ELi8ELi32ELi8ELi8ELi32ELc78ELc78EKdS1_dEEvlllT_PT11_llS4_llS2_PT12_llPT13_lli.private_seg_size, 0
	.set _ZN12_GLOBAL__N_127rocblas_gemm_batched_kernelIdLi16ELi16ELi32ELi32ELi8ELi32ELi8ELi8ELi32ELc78ELc78EKdS1_dEEvlllT_PT11_llS4_llS2_PT12_llPT13_lli.uses_vcc, 1
	.set _ZN12_GLOBAL__N_127rocblas_gemm_batched_kernelIdLi16ELi16ELi32ELi32ELi8ELi32ELi8ELi8ELi32ELc78ELc78EKdS1_dEEvlllT_PT11_llS4_llS2_PT12_llPT13_lli.uses_flat_scratch, 0
	.set _ZN12_GLOBAL__N_127rocblas_gemm_batched_kernelIdLi16ELi16ELi32ELi32ELi8ELi32ELi8ELi8ELi32ELc78ELc78EKdS1_dEEvlllT_PT11_llS4_llS2_PT12_llPT13_lli.has_dyn_sized_stack, 0
	.set _ZN12_GLOBAL__N_127rocblas_gemm_batched_kernelIdLi16ELi16ELi32ELi32ELi8ELi32ELi8ELi8ELi32ELc78ELc78EKdS1_dEEvlllT_PT11_llS4_llS2_PT12_llPT13_lli.has_recursion, 0
	.set _ZN12_GLOBAL__N_127rocblas_gemm_batched_kernelIdLi16ELi16ELi32ELi32ELi8ELi32ELi8ELi8ELi32ELc78ELc78EKdS1_dEEvlllT_PT11_llS4_llS2_PT12_llPT13_lli.has_indirect_call, 0
	.section	.AMDGPU.csdata,"",@progbits
; Kernel info:
; codeLenInByte = 1264
; TotalNumSgprs: 34
; NumVgprs: 62
; NumAgprs: 0
; TotalNumVgprs: 62
; ScratchSize: 0
; MemoryBound: 0
; FloatMode: 240
; IeeeMode: 1
; LDSByteSize: 4096 bytes/workgroup (compile time only)
; SGPRBlocks: 4
; VGPRBlocks: 7
; NumSGPRsForWavesPerEU: 34
; NumVGPRsForWavesPerEU: 62
; AccumOffset: 64
; Occupancy: 8
; WaveLimiterHint : 1
; COMPUTE_PGM_RSRC2:SCRATCH_EN: 0
; COMPUTE_PGM_RSRC2:USER_SGPR: 2
; COMPUTE_PGM_RSRC2:TRAP_HANDLER: 0
; COMPUTE_PGM_RSRC2:TGID_X_EN: 1
; COMPUTE_PGM_RSRC2:TGID_Y_EN: 1
; COMPUTE_PGM_RSRC2:TGID_Z_EN: 1
; COMPUTE_PGM_RSRC2:TIDIG_COMP_CNT: 1
; COMPUTE_PGM_RSRC3_GFX90A:ACCUM_OFFSET: 15
; COMPUTE_PGM_RSRC3_GFX90A:TG_SPLIT: 0
	.section	.text._ZN12_GLOBAL__N_127rocblas_gemm_batched_kernelIdLi16ELi16ELi32ELi32ELi8ELi32ELi8ELi8ELi32ELc84ELc78EKdS1_dEEvlllT_PT11_llS4_llS2_PT12_llPT13_lli,"axG",@progbits,_ZN12_GLOBAL__N_127rocblas_gemm_batched_kernelIdLi16ELi16ELi32ELi32ELi8ELi32ELi8ELi8ELi32ELc84ELc78EKdS1_dEEvlllT_PT11_llS4_llS2_PT12_llPT13_lli,comdat
	.globl	_ZN12_GLOBAL__N_127rocblas_gemm_batched_kernelIdLi16ELi16ELi32ELi32ELi8ELi32ELi8ELi8ELi32ELc84ELc78EKdS1_dEEvlllT_PT11_llS4_llS2_PT12_llPT13_lli ; -- Begin function _ZN12_GLOBAL__N_127rocblas_gemm_batched_kernelIdLi16ELi16ELi32ELi32ELi8ELi32ELi8ELi8ELi32ELc84ELc78EKdS1_dEEvlllT_PT11_llS4_llS2_PT12_llPT13_lli
	.p2align	8
	.type	_ZN12_GLOBAL__N_127rocblas_gemm_batched_kernelIdLi16ELi16ELi32ELi32ELi8ELi32ELi8ELi8ELi32ELc84ELc78EKdS1_dEEvlllT_PT11_llS4_llS2_PT12_llPT13_lli,@function
_ZN12_GLOBAL__N_127rocblas_gemm_batched_kernelIdLi16ELi16ELi32ELi32ELi8ELi32ELi8ELi8ELi32ELc84ELc78EKdS1_dEEvlllT_PT11_llS4_llS2_PT12_llPT13_lli: ; @_ZN12_GLOBAL__N_127rocblas_gemm_batched_kernelIdLi16ELi16ELi32ELi32ELi8ELi32ELi8ELi8ELi32ELc84ELc78EKdS1_dEEvlllT_PT11_llS4_llS2_PT12_llPT13_lli
; %bb.0:
	s_load_dwordx16 s[8:23], s[0:1], 0x10
	s_mov_b32 s6, s3
	v_mov_b32_e32 v9, 0
	s_ashr_i32 s3, s2, 31
	s_ashr_i32 s7, s6, 31
	s_waitcnt lgkmcnt(0)
	v_cmp_lt_i64_e64 s[24:25], s[8:9], 1
	v_bfe_u32 v8, v0, 10, 10
	v_and_b32_e32 v4, 0x3ff, v0
	v_mov_b32_e32 v5, v9
	s_lshl_b64 s[2:3], s[2:3], 5
	s_lshl_b64 s[6:7], s[6:7], 5
	s_and_b64 vcc, exec, s[24:25]
	s_cbranch_vccnz .LBB70_3
; %bb.1:
	v_lshl_add_u32 v10, v8, 4, v4
	v_lshrrev_b32_e32 v0, 3, v10
	v_mov_b32_e32 v1, v9
	v_and_b32_e32 v6, 31, v10
	v_lshl_add_u64 v[2:3], v[0:1], 0, s[6:7]
	v_and_b32_e32 v1, 7, v4
	v_lshrrev_b32_e32 v14, 5, v10
	v_lshlrev_b32_e32 v10, 3, v6
	v_lshl_or_b32 v18, v14, 8, v10
	v_lshlrev_b32_e32 v10, 3, v1
	v_lshl_or_b32 v0, v0, 6, v10
	v_add_u32_e32 v19, 0x800, v0
	v_mov_b32_e32 v0, 0x800
	v_lshl_add_u32 v21, v8, 6, v0
	v_mul_lo_u32 v11, s21, v2
	v_mul_lo_u32 v3, s20, v3
	v_mad_u64_u32 v[0:1], s[20:21], s20, v2, 0
	s_mul_i32 s5, s23, s4
	s_mul_hi_u32 s20, s22, s4
	s_add_i32 s21, s20, s5
	s_mul_i32 s20, s22, s4
	v_add3_u32 v1, v1, v3, v11
	s_lshl_b64 s[20:21], s[20:21], 3
	v_lshl_add_u64 v[0:1], v[0:1], 3, s[20:21]
	v_mov_b32_e32 v11, v9
	v_mov_b32_e32 v7, v9
	v_lshl_add_u64 v[0:1], v[0:1], 0, v[10:11]
	v_lshl_add_u64 v[12:13], s[18:19], 0, v[0:1]
	v_lshl_add_u64 v[0:1], s[2:3], 0, v[6:7]
	v_mul_lo_u32 v2, s15, v0
	v_mul_lo_u32 v3, s14, v1
	v_mad_u64_u32 v[0:1], s[14:15], s14, v0, 0
	s_mul_i32 s5, s17, s4
	s_mul_hi_u32 s14, s16, s4
	s_add_i32 s15, s14, s5
	s_mul_i32 s14, s16, s4
	v_add3_u32 v1, v1, v3, v2
	s_lshl_b64 s[14:15], s[14:15], 3
	v_lshl_add_u64 v[0:1], v[0:1], 3, s[14:15]
	v_lshlrev_b32_e32 v2, 3, v14
	v_mov_b32_e32 v3, v9
	v_lshl_add_u64 v[0:1], v[0:1], 0, v[2:3]
	v_lshlrev_b32_e32 v20, 3, v4
	v_lshl_add_u64 v[14:15], s[12:13], 0, v[0:1]
	s_mov_b64 s[12:13], 0
	v_mov_b64_e32 v[0:1], 0
	v_mov_b64_e32 v[16:17], s[8:9]
	;; [unrolled: 1-line block ×5, first 2 shown]
.LBB70_2:                               ; =>This Inner Loop Header: Depth=1
	global_load_dwordx2 v[22:23], v[14:15], off
	global_load_dwordx2 v[24:25], v[12:13], off
	s_add_u32 s12, s12, 8
	s_addc_u32 s13, s13, 0
	v_cmp_lt_i64_e32 vcc, s[12:13], v[16:17]
	v_lshl_add_u64 v[12:13], v[12:13], 0, 64
	v_lshl_add_u64 v[14:15], v[14:15], 0, 64
	s_and_b64 vcc, exec, vcc
	s_waitcnt vmcnt(1)
	ds_write_b64 v18, v[22:23]
	s_waitcnt vmcnt(0)
	ds_write_b64 v19, v[24:25]
	s_waitcnt lgkmcnt(0)
	s_barrier
	ds_read_b128 v[22:25], v21
	ds_read_b128 v[26:29], v21 offset:16
	ds_read_b128 v[30:33], v21 offset:32
	ds_read_b128 v[34:37], v21 offset:48
	ds_read2_b64 v[38:41], v20 offset1:16
	ds_read2_b64 v[42:45], v20 offset0:32 offset1:48
	ds_read2_b64 v[46:49], v20 offset0:64 offset1:80
	ds_read_b128 v[50:53], v21 offset:1024
	ds_read_b128 v[54:57], v21 offset:1040
	ds_read2_b64 v[58:61], v20 offset0:96 offset1:112
	s_waitcnt lgkmcnt(5)
	v_fmac_f64_e32 v[10:11], v[38:39], v[22:23]
	v_fmac_f64_e32 v[6:7], v[40:41], v[22:23]
	s_waitcnt lgkmcnt(2)
	v_fmac_f64_e32 v[2:3], v[38:39], v[50:51]
	v_fmac_f64_e32 v[0:1], v[40:41], v[50:51]
	ds_read2_b64 v[38:41], v20 offset0:128 offset1:144
	v_fmac_f64_e32 v[10:11], v[42:43], v[24:25]
	v_fmac_f64_e32 v[6:7], v[44:45], v[24:25]
	ds_read_b128 v[22:25], v21 offset:1056
	v_fmac_f64_e32 v[2:3], v[42:43], v[52:53]
	v_fmac_f64_e32 v[0:1], v[44:45], v[52:53]
	ds_read2_b64 v[42:45], v20 offset0:160 offset1:176
	ds_read2_b64 v[50:53], v20 offset0:192 offset1:208
	v_fmac_f64_e32 v[10:11], v[46:47], v[26:27]
	v_fmac_f64_e32 v[6:7], v[48:49], v[26:27]
	s_waitcnt lgkmcnt(5)
	v_fmac_f64_e32 v[2:3], v[46:47], v[54:55]
	v_fmac_f64_e32 v[0:1], v[48:49], v[54:55]
	ds_read_b128 v[46:49], v21 offset:1072
	s_waitcnt lgkmcnt(5)
	v_fmac_f64_e32 v[10:11], v[58:59], v[28:29]
	v_fmac_f64_e32 v[6:7], v[60:61], v[28:29]
	ds_read2_b64 v[26:29], v20 offset0:224 offset1:240
	v_fmac_f64_e32 v[2:3], v[58:59], v[56:57]
	v_fmac_f64_e32 v[0:1], v[60:61], v[56:57]
	s_waitcnt lgkmcnt(5)
	v_fmac_f64_e32 v[10:11], v[38:39], v[30:31]
	v_fmac_f64_e32 v[6:7], v[40:41], v[30:31]
	s_waitcnt lgkmcnt(4)
	;; [unrolled: 3-line block ×3, first 2 shown]
	v_fmac_f64_e32 v[10:11], v[42:43], v[32:33]
	v_fmac_f64_e32 v[6:7], v[44:45], v[32:33]
	;; [unrolled: 1-line block ×4, first 2 shown]
	s_waitcnt lgkmcnt(2)
	v_fmac_f64_e32 v[10:11], v[50:51], v[34:35]
	v_fmac_f64_e32 v[6:7], v[52:53], v[34:35]
	s_waitcnt lgkmcnt(1)
	v_fmac_f64_e32 v[2:3], v[50:51], v[46:47]
	v_fmac_f64_e32 v[0:1], v[52:53], v[46:47]
	;; [unrolled: 3-line block ×3, first 2 shown]
	v_fmac_f64_e32 v[2:3], v[26:27], v[48:49]
	v_fmac_f64_e32 v[0:1], v[28:29], v[48:49]
	s_barrier
	s_cbranch_vccnz .LBB70_2
	s_branch .LBB70_4
.LBB70_3:
	v_mov_b64_e32 v[10:11], 0
	v_mov_b64_e32 v[6:7], 0
	;; [unrolled: 1-line block ×4, first 2 shown]
.LBB70_4:
	s_load_dwordx8 s[20:27], s[0:1], 0x70
	s_load_dwordx8 s[12:19], s[0:1], 0x50
	v_lshl_add_u64 v[8:9], s[6:7], 0, v[8:9]
	v_lshl_add_u64 v[4:5], s[2:3], 0, v[4:5]
	s_mov_b64 s[6:7], 0
	s_waitcnt lgkmcnt(0)
	s_mul_i32 s1, s25, s4
	s_mul_hi_u32 s5, s24, s4
	s_mul_i32 s0, s24, s4
	s_add_i32 s1, s5, s1
	s_lshl_b64 s[0:1], s[0:1], 3
	s_add_u32 s0, s20, s0
	v_cmp_neq_f64_e64 s[8:9], s[12:13], 0
	s_addc_u32 s1, s21, s1
	s_and_b64 vcc, exec, s[8:9]
	v_mul_lo_u32 v12, v9, s22
	v_mul_lo_u32 v13, v8, s23
	v_lshlrev_b64 v[4:5], 3, v[4:5]
	s_cbranch_vccnz .LBB70_8
; %bb.5:
	v_mad_u64_u32 v[14:15], s[2:3], v8, s22, 0
	v_add3_u32 v15, v15, v13, v12
	v_lshl_add_u64 v[14:15], v[14:15], 3, s[0:1]
	v_mul_f64 v[16:17], s[10:11], v[10:11]
	v_lshl_add_u64 v[18:19], v[14:15], 0, v[4:5]
	s_lshl_b64 s[2:3], s[22:23], 7
	global_store_dwordx2 v[18:19], v[16:17], off
	v_mul_f64 v[16:17], s[10:11], v[6:7]
	v_lshl_add_u64 v[14:15], v[14:15], 0, s[2:3]
	global_store_dwordx2 v[18:19], v[16:17], off offset:128
	v_mul_f64 v[16:17], s[10:11], v[2:3]
	v_lshl_add_u64 v[14:15], v[14:15], 0, v[4:5]
	global_store_dwordx2 v[14:15], v[16:17], off
	v_mul_f64 v[16:17], s[10:11], v[0:1]
	global_store_dwordx2 v[14:15], v[16:17], off offset:128
	s_andn2_b64 vcc, exec, s[6:7]
	s_cbranch_vccnz .LBB70_7
.LBB70_6:
	s_mul_i32 s2, s19, s4
	s_mul_hi_u32 s3, s18, s4
	s_add_i32 s3, s3, s2
	s_mul_i32 s2, s18, s4
	s_lshl_b64 s[2:3], s[2:3], 3
	s_add_u32 s2, s14, s2
	v_mul_lo_u32 v9, v9, s16
	v_mul_lo_u32 v16, v8, s17
	v_mad_u64_u32 v[14:15], s[4:5], v8, s16, 0
	s_addc_u32 s3, s15, s3
	v_add3_u32 v15, v15, v16, v9
	v_lshl_add_u64 v[14:15], v[14:15], 3, s[2:3]
	v_lshl_add_u64 v[16:17], v[14:15], 0, v[4:5]
	global_load_dwordx2 v[18:19], v[16:17], off
	v_mad_u64_u32 v[8:9], s[2:3], v8, s22, 0
	v_add3_u32 v9, v9, v13, v12
	v_lshl_add_u64 v[8:9], v[8:9], 3, s[0:1]
	v_lshl_add_u64 v[12:13], v[8:9], 0, v[4:5]
	s_lshl_b64 s[0:1], s[16:17], 7
	v_lshl_add_u64 v[14:15], v[14:15], 0, s[0:1]
	v_lshl_add_u64 v[14:15], v[14:15], 0, v[4:5]
	s_lshl_b64 s[0:1], s[22:23], 7
	v_lshl_add_u64 v[8:9], v[8:9], 0, s[0:1]
	s_waitcnt vmcnt(0)
	v_mul_f64 v[18:19], s[12:13], v[18:19]
	v_fmac_f64_e32 v[18:19], s[10:11], v[10:11]
	global_store_dwordx2 v[12:13], v[18:19], off
	global_load_dwordx2 v[10:11], v[16:17], off offset:128
	s_waitcnt vmcnt(0)
	v_mul_f64 v[10:11], s[12:13], v[10:11]
	v_fmac_f64_e32 v[10:11], s[10:11], v[6:7]
	global_store_dwordx2 v[12:13], v[10:11], off offset:128
	global_load_dwordx2 v[6:7], v[14:15], off
	s_waitcnt vmcnt(0)
	v_mul_f64 v[6:7], s[12:13], v[6:7]
	v_fmac_f64_e32 v[6:7], s[10:11], v[2:3]
	v_lshl_add_u64 v[2:3], v[8:9], 0, v[4:5]
	global_store_dwordx2 v[2:3], v[6:7], off
	global_load_dwordx2 v[4:5], v[14:15], off offset:128
	s_waitcnt vmcnt(0)
	v_mul_f64 v[4:5], s[12:13], v[4:5]
	v_fmac_f64_e32 v[4:5], s[10:11], v[0:1]
	global_store_dwordx2 v[2:3], v[4:5], off offset:128
.LBB70_7:
	s_endpgm
.LBB70_8:
	s_branch .LBB70_6
	.section	.rodata,"a",@progbits
	.p2align	6, 0x0
	.amdhsa_kernel _ZN12_GLOBAL__N_127rocblas_gemm_batched_kernelIdLi16ELi16ELi32ELi32ELi8ELi32ELi8ELi8ELi32ELc84ELc78EKdS1_dEEvlllT_PT11_llS4_llS2_PT12_llPT13_lli
		.amdhsa_group_segment_fixed_size 4096
		.amdhsa_private_segment_fixed_size 0
		.amdhsa_kernarg_size 140
		.amdhsa_user_sgpr_count 2
		.amdhsa_user_sgpr_dispatch_ptr 0
		.amdhsa_user_sgpr_queue_ptr 0
		.amdhsa_user_sgpr_kernarg_segment_ptr 1
		.amdhsa_user_sgpr_dispatch_id 0
		.amdhsa_user_sgpr_kernarg_preload_length 0
		.amdhsa_user_sgpr_kernarg_preload_offset 0
		.amdhsa_user_sgpr_private_segment_size 0
		.amdhsa_uses_dynamic_stack 0
		.amdhsa_enable_private_segment 0
		.amdhsa_system_sgpr_workgroup_id_x 1
		.amdhsa_system_sgpr_workgroup_id_y 1
		.amdhsa_system_sgpr_workgroup_id_z 1
		.amdhsa_system_sgpr_workgroup_info 0
		.amdhsa_system_vgpr_workitem_id 1
		.amdhsa_next_free_vgpr 62
		.amdhsa_next_free_sgpr 28
		.amdhsa_accum_offset 64
		.amdhsa_reserve_vcc 1
		.amdhsa_float_round_mode_32 0
		.amdhsa_float_round_mode_16_64 0
		.amdhsa_float_denorm_mode_32 3
		.amdhsa_float_denorm_mode_16_64 3
		.amdhsa_dx10_clamp 1
		.amdhsa_ieee_mode 1
		.amdhsa_fp16_overflow 0
		.amdhsa_tg_split 0
		.amdhsa_exception_fp_ieee_invalid_op 0
		.amdhsa_exception_fp_denorm_src 0
		.amdhsa_exception_fp_ieee_div_zero 0
		.amdhsa_exception_fp_ieee_overflow 0
		.amdhsa_exception_fp_ieee_underflow 0
		.amdhsa_exception_fp_ieee_inexact 0
		.amdhsa_exception_int_div_zero 0
	.end_amdhsa_kernel
	.section	.text._ZN12_GLOBAL__N_127rocblas_gemm_batched_kernelIdLi16ELi16ELi32ELi32ELi8ELi32ELi8ELi8ELi32ELc84ELc78EKdS1_dEEvlllT_PT11_llS4_llS2_PT12_llPT13_lli,"axG",@progbits,_ZN12_GLOBAL__N_127rocblas_gemm_batched_kernelIdLi16ELi16ELi32ELi32ELi8ELi32ELi8ELi8ELi32ELc84ELc78EKdS1_dEEvlllT_PT11_llS4_llS2_PT12_llPT13_lli,comdat
.Lfunc_end70:
	.size	_ZN12_GLOBAL__N_127rocblas_gemm_batched_kernelIdLi16ELi16ELi32ELi32ELi8ELi32ELi8ELi8ELi32ELc84ELc78EKdS1_dEEvlllT_PT11_llS4_llS2_PT12_llPT13_lli, .Lfunc_end70-_ZN12_GLOBAL__N_127rocblas_gemm_batched_kernelIdLi16ELi16ELi32ELi32ELi8ELi32ELi8ELi8ELi32ELc84ELc78EKdS1_dEEvlllT_PT11_llS4_llS2_PT12_llPT13_lli
                                        ; -- End function
	.set _ZN12_GLOBAL__N_127rocblas_gemm_batched_kernelIdLi16ELi16ELi32ELi32ELi8ELi32ELi8ELi8ELi32ELc84ELc78EKdS1_dEEvlllT_PT11_llS4_llS2_PT12_llPT13_lli.num_vgpr, 62
	.set _ZN12_GLOBAL__N_127rocblas_gemm_batched_kernelIdLi16ELi16ELi32ELi32ELi8ELi32ELi8ELi8ELi32ELc84ELc78EKdS1_dEEvlllT_PT11_llS4_llS2_PT12_llPT13_lli.num_agpr, 0
	.set _ZN12_GLOBAL__N_127rocblas_gemm_batched_kernelIdLi16ELi16ELi32ELi32ELi8ELi32ELi8ELi8ELi32ELc84ELc78EKdS1_dEEvlllT_PT11_llS4_llS2_PT12_llPT13_lli.numbered_sgpr, 28
	.set _ZN12_GLOBAL__N_127rocblas_gemm_batched_kernelIdLi16ELi16ELi32ELi32ELi8ELi32ELi8ELi8ELi32ELc84ELc78EKdS1_dEEvlllT_PT11_llS4_llS2_PT12_llPT13_lli.num_named_barrier, 0
	.set _ZN12_GLOBAL__N_127rocblas_gemm_batched_kernelIdLi16ELi16ELi32ELi32ELi8ELi32ELi8ELi8ELi32ELc84ELc78EKdS1_dEEvlllT_PT11_llS4_llS2_PT12_llPT13_lli.private_seg_size, 0
	.set _ZN12_GLOBAL__N_127rocblas_gemm_batched_kernelIdLi16ELi16ELi32ELi32ELi8ELi32ELi8ELi8ELi32ELc84ELc78EKdS1_dEEvlllT_PT11_llS4_llS2_PT12_llPT13_lli.uses_vcc, 1
	.set _ZN12_GLOBAL__N_127rocblas_gemm_batched_kernelIdLi16ELi16ELi32ELi32ELi8ELi32ELi8ELi8ELi32ELc84ELc78EKdS1_dEEvlllT_PT11_llS4_llS2_PT12_llPT13_lli.uses_flat_scratch, 0
	.set _ZN12_GLOBAL__N_127rocblas_gemm_batched_kernelIdLi16ELi16ELi32ELi32ELi8ELi32ELi8ELi8ELi32ELc84ELc78EKdS1_dEEvlllT_PT11_llS4_llS2_PT12_llPT13_lli.has_dyn_sized_stack, 0
	.set _ZN12_GLOBAL__N_127rocblas_gemm_batched_kernelIdLi16ELi16ELi32ELi32ELi8ELi32ELi8ELi8ELi32ELc84ELc78EKdS1_dEEvlllT_PT11_llS4_llS2_PT12_llPT13_lli.has_recursion, 0
	.set _ZN12_GLOBAL__N_127rocblas_gemm_batched_kernelIdLi16ELi16ELi32ELi32ELi8ELi32ELi8ELi8ELi32ELc84ELc78EKdS1_dEEvlllT_PT11_llS4_llS2_PT12_llPT13_lli.has_indirect_call, 0
	.section	.AMDGPU.csdata,"",@progbits
; Kernel info:
; codeLenInByte = 1280
; TotalNumSgprs: 34
; NumVgprs: 62
; NumAgprs: 0
; TotalNumVgprs: 62
; ScratchSize: 0
; MemoryBound: 0
; FloatMode: 240
; IeeeMode: 1
; LDSByteSize: 4096 bytes/workgroup (compile time only)
; SGPRBlocks: 4
; VGPRBlocks: 7
; NumSGPRsForWavesPerEU: 34
; NumVGPRsForWavesPerEU: 62
; AccumOffset: 64
; Occupancy: 8
; WaveLimiterHint : 1
; COMPUTE_PGM_RSRC2:SCRATCH_EN: 0
; COMPUTE_PGM_RSRC2:USER_SGPR: 2
; COMPUTE_PGM_RSRC2:TRAP_HANDLER: 0
; COMPUTE_PGM_RSRC2:TGID_X_EN: 1
; COMPUTE_PGM_RSRC2:TGID_Y_EN: 1
; COMPUTE_PGM_RSRC2:TGID_Z_EN: 1
; COMPUTE_PGM_RSRC2:TIDIG_COMP_CNT: 1
; COMPUTE_PGM_RSRC3_GFX90A:ACCUM_OFFSET: 15
; COMPUTE_PGM_RSRC3_GFX90A:TG_SPLIT: 0
	.section	.text._ZN12_GLOBAL__N_127rocblas_gemm_batched_kernelIdLi16ELi16ELi32ELi32ELi8ELi32ELi8ELi8ELi32ELc78ELc84EKdS1_dEEvlllT_PT11_llS4_llS2_PT12_llPT13_lli,"axG",@progbits,_ZN12_GLOBAL__N_127rocblas_gemm_batched_kernelIdLi16ELi16ELi32ELi32ELi8ELi32ELi8ELi8ELi32ELc78ELc84EKdS1_dEEvlllT_PT11_llS4_llS2_PT12_llPT13_lli,comdat
	.globl	_ZN12_GLOBAL__N_127rocblas_gemm_batched_kernelIdLi16ELi16ELi32ELi32ELi8ELi32ELi8ELi8ELi32ELc78ELc84EKdS1_dEEvlllT_PT11_llS4_llS2_PT12_llPT13_lli ; -- Begin function _ZN12_GLOBAL__N_127rocblas_gemm_batched_kernelIdLi16ELi16ELi32ELi32ELi8ELi32ELi8ELi8ELi32ELc78ELc84EKdS1_dEEvlllT_PT11_llS4_llS2_PT12_llPT13_lli
	.p2align	8
	.type	_ZN12_GLOBAL__N_127rocblas_gemm_batched_kernelIdLi16ELi16ELi32ELi32ELi8ELi32ELi8ELi8ELi32ELc78ELc84EKdS1_dEEvlllT_PT11_llS4_llS2_PT12_llPT13_lli,@function
_ZN12_GLOBAL__N_127rocblas_gemm_batched_kernelIdLi16ELi16ELi32ELi32ELi8ELi32ELi8ELi8ELi32ELc78ELc84EKdS1_dEEvlllT_PT11_llS4_llS2_PT12_llPT13_lli: ; @_ZN12_GLOBAL__N_127rocblas_gemm_batched_kernelIdLi16ELi16ELi32ELi32ELi8ELi32ELi8ELi8ELi32ELc78ELc84EKdS1_dEEvlllT_PT11_llS4_llS2_PT12_llPT13_lli
; %bb.0:
	s_load_dwordx16 s[8:23], s[0:1], 0x10
	s_mov_b32 s6, s3
	v_mov_b32_e32 v9, 0
	s_ashr_i32 s3, s2, 31
	s_ashr_i32 s7, s6, 31
	s_waitcnt lgkmcnt(0)
	v_cmp_lt_i64_e64 s[24:25], s[8:9], 1
	v_bfe_u32 v8, v0, 10, 10
	v_and_b32_e32 v4, 0x3ff, v0
	v_mov_b32_e32 v5, v9
	s_lshl_b64 s[2:3], s[2:3], 5
	s_lshl_b64 s[6:7], s[6:7], 5
	s_and_b64 vcc, exec, s[24:25]
	s_cbranch_vccnz .LBB71_3
; %bb.1:
	v_lshl_add_u32 v6, v8, 4, v4
	v_and_b32_e32 v2, 31, v6
	v_lshrrev_b32_e32 v0, 3, v6
	v_and_b32_e32 v7, 7, v4
	v_lshrrev_b32_e32 v10, 5, v6
	v_lshlrev_b32_e32 v6, 3, v2
	v_lshl_or_b32 v18, v10, 8, v6
	v_lshlrev_b32_e32 v6, 3, v7
	v_mov_b32_e32 v1, v9
	v_lshl_or_b32 v6, v0, 6, v6
	v_add_u32_e32 v19, 0x800, v6
	v_mov_b32_e32 v6, 0x800
	s_mul_i32 s5, s23, s4
	s_mul_hi_u32 s23, s22, s4
	v_mad_u64_u32 v[0:1], s[24:25], s20, v7, v[0:1]
	v_lshl_add_u32 v21, v8, 6, v6
	s_add_i32 s23, s23, s5
	s_mul_i32 s22, s22, s4
	v_mov_b32_e32 v6, v1
	s_lshl_b64 s[22:23], s[22:23], 3
	v_mad_u64_u32 v[6:7], s[24:25], s21, v7, v[6:7]
	v_mov_b32_e32 v1, v6
	s_add_u32 s18, s18, s22
	v_lshl_add_u64 v[0:1], v[0:1], 0, s[6:7]
	s_addc_u32 s19, s19, s23
	v_lshl_add_u64 v[12:13], v[0:1], 3, s[18:19]
	v_mov_b64_e32 v[0:1], s[2:3]
	s_lshl_b64 s[18:19], s[20:21], 6
	s_mul_i32 s5, s17, s4
	s_mul_hi_u32 s17, s16, s4
	v_mad_u64_u32 v[0:1], s[20:21], s14, v10, v[0:1]
	s_add_i32 s17, s17, s5
	s_mul_i32 s16, s16, s4
	v_mov_b32_e32 v6, v1
	s_lshl_b64 s[16:17], s[16:17], 3
	v_mad_u64_u32 v[6:7], s[20:21], s15, v10, v[6:7]
	v_mov_b32_e32 v3, v9
	v_mov_b32_e32 v1, v6
	s_add_u32 s12, s12, s16
	v_lshl_add_u64 v[0:1], v[0:1], 0, v[2:3]
	s_addc_u32 s13, s13, s17
	v_lshlrev_b32_e32 v20, 3, v4
	v_lshl_add_u64 v[14:15], v[0:1], 3, s[12:13]
	s_lshl_b64 s[12:13], s[14:15], 6
	s_mov_b64 s[14:15], 0
	v_mov_b64_e32 v[0:1], 0
	v_mov_b64_e32 v[16:17], s[8:9]
	;; [unrolled: 1-line block ×5, first 2 shown]
.LBB71_2:                               ; =>This Inner Loop Header: Depth=1
	global_load_dwordx2 v[22:23], v[14:15], off
	global_load_dwordx2 v[24:25], v[12:13], off
	s_add_u32 s14, s14, 8
	s_addc_u32 s15, s15, 0
	v_cmp_lt_i64_e32 vcc, s[14:15], v[16:17]
	v_lshl_add_u64 v[12:13], v[12:13], 0, s[18:19]
	v_lshl_add_u64 v[14:15], v[14:15], 0, s[12:13]
	s_and_b64 vcc, exec, vcc
	s_waitcnt vmcnt(1)
	ds_write_b64 v18, v[22:23]
	s_waitcnt vmcnt(0)
	ds_write_b64 v19, v[24:25]
	s_waitcnt lgkmcnt(0)
	s_barrier
	ds_read_b128 v[22:25], v21
	ds_read_b128 v[26:29], v21 offset:16
	ds_read_b128 v[30:33], v21 offset:32
	;; [unrolled: 1-line block ×3, first 2 shown]
	ds_read2_b64 v[38:41], v20 offset1:16
	ds_read2_b64 v[42:45], v20 offset0:32 offset1:48
	ds_read2_b64 v[46:49], v20 offset0:64 offset1:80
	ds_read_b128 v[50:53], v21 offset:1024
	ds_read_b128 v[54:57], v21 offset:1040
	ds_read2_b64 v[58:61], v20 offset0:96 offset1:112
	s_waitcnt lgkmcnt(5)
	v_fmac_f64_e32 v[10:11], v[38:39], v[22:23]
	v_fmac_f64_e32 v[6:7], v[40:41], v[22:23]
	s_waitcnt lgkmcnt(2)
	v_fmac_f64_e32 v[2:3], v[38:39], v[50:51]
	v_fmac_f64_e32 v[0:1], v[40:41], v[50:51]
	ds_read2_b64 v[38:41], v20 offset0:128 offset1:144
	v_fmac_f64_e32 v[10:11], v[42:43], v[24:25]
	v_fmac_f64_e32 v[6:7], v[44:45], v[24:25]
	ds_read_b128 v[22:25], v21 offset:1056
	v_fmac_f64_e32 v[2:3], v[42:43], v[52:53]
	v_fmac_f64_e32 v[0:1], v[44:45], v[52:53]
	ds_read2_b64 v[42:45], v20 offset0:160 offset1:176
	ds_read2_b64 v[50:53], v20 offset0:192 offset1:208
	v_fmac_f64_e32 v[10:11], v[46:47], v[26:27]
	v_fmac_f64_e32 v[6:7], v[48:49], v[26:27]
	s_waitcnt lgkmcnt(5)
	v_fmac_f64_e32 v[2:3], v[46:47], v[54:55]
	v_fmac_f64_e32 v[0:1], v[48:49], v[54:55]
	ds_read_b128 v[46:49], v21 offset:1072
	s_waitcnt lgkmcnt(5)
	v_fmac_f64_e32 v[10:11], v[58:59], v[28:29]
	v_fmac_f64_e32 v[6:7], v[60:61], v[28:29]
	ds_read2_b64 v[26:29], v20 offset0:224 offset1:240
	v_fmac_f64_e32 v[2:3], v[58:59], v[56:57]
	v_fmac_f64_e32 v[0:1], v[60:61], v[56:57]
	s_waitcnt lgkmcnt(5)
	v_fmac_f64_e32 v[10:11], v[38:39], v[30:31]
	v_fmac_f64_e32 v[6:7], v[40:41], v[30:31]
	s_waitcnt lgkmcnt(4)
	;; [unrolled: 3-line block ×3, first 2 shown]
	v_fmac_f64_e32 v[10:11], v[42:43], v[32:33]
	v_fmac_f64_e32 v[6:7], v[44:45], v[32:33]
	;; [unrolled: 1-line block ×4, first 2 shown]
	s_waitcnt lgkmcnt(2)
	v_fmac_f64_e32 v[10:11], v[50:51], v[34:35]
	v_fmac_f64_e32 v[6:7], v[52:53], v[34:35]
	s_waitcnt lgkmcnt(1)
	v_fmac_f64_e32 v[2:3], v[50:51], v[46:47]
	v_fmac_f64_e32 v[0:1], v[52:53], v[46:47]
	;; [unrolled: 3-line block ×3, first 2 shown]
	v_fmac_f64_e32 v[2:3], v[26:27], v[48:49]
	v_fmac_f64_e32 v[0:1], v[28:29], v[48:49]
	s_barrier
	s_cbranch_vccnz .LBB71_2
	s_branch .LBB71_4
.LBB71_3:
	v_mov_b64_e32 v[10:11], 0
	v_mov_b64_e32 v[6:7], 0
	;; [unrolled: 1-line block ×4, first 2 shown]
.LBB71_4:
	s_load_dwordx8 s[20:27], s[0:1], 0x70
	s_load_dwordx8 s[12:19], s[0:1], 0x50
	v_lshl_add_u64 v[8:9], s[6:7], 0, v[8:9]
	v_lshl_add_u64 v[4:5], s[2:3], 0, v[4:5]
	s_mov_b64 s[6:7], 0
	s_waitcnt lgkmcnt(0)
	s_mul_i32 s1, s25, s4
	s_mul_hi_u32 s5, s24, s4
	s_mul_i32 s0, s24, s4
	s_add_i32 s1, s5, s1
	s_lshl_b64 s[0:1], s[0:1], 3
	s_add_u32 s0, s20, s0
	v_cmp_neq_f64_e64 s[8:9], s[12:13], 0
	s_addc_u32 s1, s21, s1
	s_and_b64 vcc, exec, s[8:9]
	v_mul_lo_u32 v12, v9, s22
	v_mul_lo_u32 v13, v8, s23
	v_lshlrev_b64 v[4:5], 3, v[4:5]
	s_cbranch_vccnz .LBB71_8
; %bb.5:
	v_mad_u64_u32 v[14:15], s[2:3], v8, s22, 0
	v_add3_u32 v15, v15, v13, v12
	v_lshl_add_u64 v[14:15], v[14:15], 3, s[0:1]
	v_mul_f64 v[16:17], s[10:11], v[10:11]
	v_lshl_add_u64 v[18:19], v[14:15], 0, v[4:5]
	s_lshl_b64 s[2:3], s[22:23], 7
	global_store_dwordx2 v[18:19], v[16:17], off
	v_mul_f64 v[16:17], s[10:11], v[6:7]
	v_lshl_add_u64 v[14:15], v[14:15], 0, s[2:3]
	global_store_dwordx2 v[18:19], v[16:17], off offset:128
	v_mul_f64 v[16:17], s[10:11], v[2:3]
	v_lshl_add_u64 v[14:15], v[14:15], 0, v[4:5]
	global_store_dwordx2 v[14:15], v[16:17], off
	v_mul_f64 v[16:17], s[10:11], v[0:1]
	global_store_dwordx2 v[14:15], v[16:17], off offset:128
	s_andn2_b64 vcc, exec, s[6:7]
	s_cbranch_vccnz .LBB71_7
.LBB71_6:
	s_mul_i32 s2, s19, s4
	s_mul_hi_u32 s3, s18, s4
	s_add_i32 s3, s3, s2
	s_mul_i32 s2, s18, s4
	s_lshl_b64 s[2:3], s[2:3], 3
	s_add_u32 s2, s14, s2
	v_mul_lo_u32 v9, v9, s16
	v_mul_lo_u32 v16, v8, s17
	v_mad_u64_u32 v[14:15], s[4:5], v8, s16, 0
	s_addc_u32 s3, s15, s3
	v_add3_u32 v15, v15, v16, v9
	v_lshl_add_u64 v[14:15], v[14:15], 3, s[2:3]
	v_lshl_add_u64 v[16:17], v[14:15], 0, v[4:5]
	global_load_dwordx2 v[18:19], v[16:17], off
	v_mad_u64_u32 v[8:9], s[2:3], v8, s22, 0
	v_add3_u32 v9, v9, v13, v12
	v_lshl_add_u64 v[8:9], v[8:9], 3, s[0:1]
	v_lshl_add_u64 v[12:13], v[8:9], 0, v[4:5]
	s_lshl_b64 s[0:1], s[16:17], 7
	v_lshl_add_u64 v[14:15], v[14:15], 0, s[0:1]
	v_lshl_add_u64 v[14:15], v[14:15], 0, v[4:5]
	s_lshl_b64 s[0:1], s[22:23], 7
	v_lshl_add_u64 v[8:9], v[8:9], 0, s[0:1]
	s_waitcnt vmcnt(0)
	v_mul_f64 v[18:19], s[12:13], v[18:19]
	v_fmac_f64_e32 v[18:19], s[10:11], v[10:11]
	global_store_dwordx2 v[12:13], v[18:19], off
	global_load_dwordx2 v[10:11], v[16:17], off offset:128
	s_waitcnt vmcnt(0)
	v_mul_f64 v[10:11], s[12:13], v[10:11]
	v_fmac_f64_e32 v[10:11], s[10:11], v[6:7]
	global_store_dwordx2 v[12:13], v[10:11], off offset:128
	global_load_dwordx2 v[6:7], v[14:15], off
	s_waitcnt vmcnt(0)
	v_mul_f64 v[6:7], s[12:13], v[6:7]
	v_fmac_f64_e32 v[6:7], s[10:11], v[2:3]
	v_lshl_add_u64 v[2:3], v[8:9], 0, v[4:5]
	global_store_dwordx2 v[2:3], v[6:7], off
	global_load_dwordx2 v[4:5], v[14:15], off offset:128
	s_waitcnt vmcnt(0)
	v_mul_f64 v[4:5], s[12:13], v[4:5]
	v_fmac_f64_e32 v[4:5], s[10:11], v[0:1]
	global_store_dwordx2 v[2:3], v[4:5], off offset:128
.LBB71_7:
	s_endpgm
.LBB71_8:
	s_branch .LBB71_6
	.section	.rodata,"a",@progbits
	.p2align	6, 0x0
	.amdhsa_kernel _ZN12_GLOBAL__N_127rocblas_gemm_batched_kernelIdLi16ELi16ELi32ELi32ELi8ELi32ELi8ELi8ELi32ELc78ELc84EKdS1_dEEvlllT_PT11_llS4_llS2_PT12_llPT13_lli
		.amdhsa_group_segment_fixed_size 4096
		.amdhsa_private_segment_fixed_size 0
		.amdhsa_kernarg_size 140
		.amdhsa_user_sgpr_count 2
		.amdhsa_user_sgpr_dispatch_ptr 0
		.amdhsa_user_sgpr_queue_ptr 0
		.amdhsa_user_sgpr_kernarg_segment_ptr 1
		.amdhsa_user_sgpr_dispatch_id 0
		.amdhsa_user_sgpr_kernarg_preload_length 0
		.amdhsa_user_sgpr_kernarg_preload_offset 0
		.amdhsa_user_sgpr_private_segment_size 0
		.amdhsa_uses_dynamic_stack 0
		.amdhsa_enable_private_segment 0
		.amdhsa_system_sgpr_workgroup_id_x 1
		.amdhsa_system_sgpr_workgroup_id_y 1
		.amdhsa_system_sgpr_workgroup_id_z 1
		.amdhsa_system_sgpr_workgroup_info 0
		.amdhsa_system_vgpr_workitem_id 1
		.amdhsa_next_free_vgpr 62
		.amdhsa_next_free_sgpr 28
		.amdhsa_accum_offset 64
		.amdhsa_reserve_vcc 1
		.amdhsa_float_round_mode_32 0
		.amdhsa_float_round_mode_16_64 0
		.amdhsa_float_denorm_mode_32 3
		.amdhsa_float_denorm_mode_16_64 3
		.amdhsa_dx10_clamp 1
		.amdhsa_ieee_mode 1
		.amdhsa_fp16_overflow 0
		.amdhsa_tg_split 0
		.amdhsa_exception_fp_ieee_invalid_op 0
		.amdhsa_exception_fp_denorm_src 0
		.amdhsa_exception_fp_ieee_div_zero 0
		.amdhsa_exception_fp_ieee_overflow 0
		.amdhsa_exception_fp_ieee_underflow 0
		.amdhsa_exception_fp_ieee_inexact 0
		.amdhsa_exception_int_div_zero 0
	.end_amdhsa_kernel
	.section	.text._ZN12_GLOBAL__N_127rocblas_gemm_batched_kernelIdLi16ELi16ELi32ELi32ELi8ELi32ELi8ELi8ELi32ELc78ELc84EKdS1_dEEvlllT_PT11_llS4_llS2_PT12_llPT13_lli,"axG",@progbits,_ZN12_GLOBAL__N_127rocblas_gemm_batched_kernelIdLi16ELi16ELi32ELi32ELi8ELi32ELi8ELi8ELi32ELc78ELc84EKdS1_dEEvlllT_PT11_llS4_llS2_PT12_llPT13_lli,comdat
.Lfunc_end71:
	.size	_ZN12_GLOBAL__N_127rocblas_gemm_batched_kernelIdLi16ELi16ELi32ELi32ELi8ELi32ELi8ELi8ELi32ELc78ELc84EKdS1_dEEvlllT_PT11_llS4_llS2_PT12_llPT13_lli, .Lfunc_end71-_ZN12_GLOBAL__N_127rocblas_gemm_batched_kernelIdLi16ELi16ELi32ELi32ELi8ELi32ELi8ELi8ELi32ELc78ELc84EKdS1_dEEvlllT_PT11_llS4_llS2_PT12_llPT13_lli
                                        ; -- End function
	.set _ZN12_GLOBAL__N_127rocblas_gemm_batched_kernelIdLi16ELi16ELi32ELi32ELi8ELi32ELi8ELi8ELi32ELc78ELc84EKdS1_dEEvlllT_PT11_llS4_llS2_PT12_llPT13_lli.num_vgpr, 62
	.set _ZN12_GLOBAL__N_127rocblas_gemm_batched_kernelIdLi16ELi16ELi32ELi32ELi8ELi32ELi8ELi8ELi32ELc78ELc84EKdS1_dEEvlllT_PT11_llS4_llS2_PT12_llPT13_lli.num_agpr, 0
	.set _ZN12_GLOBAL__N_127rocblas_gemm_batched_kernelIdLi16ELi16ELi32ELi32ELi8ELi32ELi8ELi8ELi32ELc78ELc84EKdS1_dEEvlllT_PT11_llS4_llS2_PT12_llPT13_lli.numbered_sgpr, 28
	.set _ZN12_GLOBAL__N_127rocblas_gemm_batched_kernelIdLi16ELi16ELi32ELi32ELi8ELi32ELi8ELi8ELi32ELc78ELc84EKdS1_dEEvlllT_PT11_llS4_llS2_PT12_llPT13_lli.num_named_barrier, 0
	.set _ZN12_GLOBAL__N_127rocblas_gemm_batched_kernelIdLi16ELi16ELi32ELi32ELi8ELi32ELi8ELi8ELi32ELc78ELc84EKdS1_dEEvlllT_PT11_llS4_llS2_PT12_llPT13_lli.private_seg_size, 0
	.set _ZN12_GLOBAL__N_127rocblas_gemm_batched_kernelIdLi16ELi16ELi32ELi32ELi8ELi32ELi8ELi8ELi32ELc78ELc84EKdS1_dEEvlllT_PT11_llS4_llS2_PT12_llPT13_lli.uses_vcc, 1
	.set _ZN12_GLOBAL__N_127rocblas_gemm_batched_kernelIdLi16ELi16ELi32ELi32ELi8ELi32ELi8ELi8ELi32ELc78ELc84EKdS1_dEEvlllT_PT11_llS4_llS2_PT12_llPT13_lli.uses_flat_scratch, 0
	.set _ZN12_GLOBAL__N_127rocblas_gemm_batched_kernelIdLi16ELi16ELi32ELi32ELi8ELi32ELi8ELi8ELi32ELc78ELc84EKdS1_dEEvlllT_PT11_llS4_llS2_PT12_llPT13_lli.has_dyn_sized_stack, 0
	.set _ZN12_GLOBAL__N_127rocblas_gemm_batched_kernelIdLi16ELi16ELi32ELi32ELi8ELi32ELi8ELi8ELi32ELc78ELc84EKdS1_dEEvlllT_PT11_llS4_llS2_PT12_llPT13_lli.has_recursion, 0
	.set _ZN12_GLOBAL__N_127rocblas_gemm_batched_kernelIdLi16ELi16ELi32ELi32ELi8ELi32ELi8ELi8ELi32ELc78ELc84EKdS1_dEEvlllT_PT11_llS4_llS2_PT12_llPT13_lli.has_indirect_call, 0
	.section	.AMDGPU.csdata,"",@progbits
; Kernel info:
; codeLenInByte = 1248
; TotalNumSgprs: 34
; NumVgprs: 62
; NumAgprs: 0
; TotalNumVgprs: 62
; ScratchSize: 0
; MemoryBound: 0
; FloatMode: 240
; IeeeMode: 1
; LDSByteSize: 4096 bytes/workgroup (compile time only)
; SGPRBlocks: 4
; VGPRBlocks: 7
; NumSGPRsForWavesPerEU: 34
; NumVGPRsForWavesPerEU: 62
; AccumOffset: 64
; Occupancy: 8
; WaveLimiterHint : 1
; COMPUTE_PGM_RSRC2:SCRATCH_EN: 0
; COMPUTE_PGM_RSRC2:USER_SGPR: 2
; COMPUTE_PGM_RSRC2:TRAP_HANDLER: 0
; COMPUTE_PGM_RSRC2:TGID_X_EN: 1
; COMPUTE_PGM_RSRC2:TGID_Y_EN: 1
; COMPUTE_PGM_RSRC2:TGID_Z_EN: 1
; COMPUTE_PGM_RSRC2:TIDIG_COMP_CNT: 1
; COMPUTE_PGM_RSRC3_GFX90A:ACCUM_OFFSET: 15
; COMPUTE_PGM_RSRC3_GFX90A:TG_SPLIT: 0
	.section	.text._ZN12_GLOBAL__N_127rocblas_gemm_batched_kernelIdLi16ELi16ELi32ELi32ELi8ELi32ELi8ELi8ELi32ELc84ELc84EKdS1_dEEvlllT_PT11_llS4_llS2_PT12_llPT13_lli,"axG",@progbits,_ZN12_GLOBAL__N_127rocblas_gemm_batched_kernelIdLi16ELi16ELi32ELi32ELi8ELi32ELi8ELi8ELi32ELc84ELc84EKdS1_dEEvlllT_PT11_llS4_llS2_PT12_llPT13_lli,comdat
	.globl	_ZN12_GLOBAL__N_127rocblas_gemm_batched_kernelIdLi16ELi16ELi32ELi32ELi8ELi32ELi8ELi8ELi32ELc84ELc84EKdS1_dEEvlllT_PT11_llS4_llS2_PT12_llPT13_lli ; -- Begin function _ZN12_GLOBAL__N_127rocblas_gemm_batched_kernelIdLi16ELi16ELi32ELi32ELi8ELi32ELi8ELi8ELi32ELc84ELc84EKdS1_dEEvlllT_PT11_llS4_llS2_PT12_llPT13_lli
	.p2align	8
	.type	_ZN12_GLOBAL__N_127rocblas_gemm_batched_kernelIdLi16ELi16ELi32ELi32ELi8ELi32ELi8ELi8ELi32ELc84ELc84EKdS1_dEEvlllT_PT11_llS4_llS2_PT12_llPT13_lli,@function
_ZN12_GLOBAL__N_127rocblas_gemm_batched_kernelIdLi16ELi16ELi32ELi32ELi8ELi32ELi8ELi8ELi32ELc84ELc84EKdS1_dEEvlllT_PT11_llS4_llS2_PT12_llPT13_lli: ; @_ZN12_GLOBAL__N_127rocblas_gemm_batched_kernelIdLi16ELi16ELi32ELi32ELi8ELi32ELi8ELi8ELi32ELc84ELc84EKdS1_dEEvlllT_PT11_llS4_llS2_PT12_llPT13_lli
; %bb.0:
	s_load_dwordx16 s[8:23], s[0:1], 0x10
	s_mov_b32 s6, s3
	v_mov_b32_e32 v9, 0
	s_ashr_i32 s3, s2, 31
	s_ashr_i32 s7, s6, 31
	s_waitcnt lgkmcnt(0)
	v_cmp_lt_i64_e64 s[24:25], s[8:9], 1
	v_bfe_u32 v8, v0, 10, 10
	v_and_b32_e32 v4, 0x3ff, v0
	v_mov_b32_e32 v5, v9
	s_lshl_b64 s[2:3], s[2:3], 5
	s_lshl_b64 s[6:7], s[6:7], 5
	s_and_b64 vcc, exec, s[24:25]
	s_cbranch_vccnz .LBB72_3
; %bb.1:
	v_lshl_add_u32 v6, v8, 4, v4
	v_and_b32_e32 v2, 31, v6
	v_lshrrev_b32_e32 v0, 3, v6
	v_and_b32_e32 v7, 7, v4
	v_lshrrev_b32_e32 v10, 5, v6
	v_lshlrev_b32_e32 v6, 3, v2
	v_lshl_or_b32 v18, v10, 8, v6
	v_lshlrev_b32_e32 v6, 3, v7
	v_mov_b32_e32 v1, v9
	v_lshl_or_b32 v6, v0, 6, v6
	v_add_u32_e32 v19, 0x800, v6
	v_mov_b32_e32 v6, 0x800
	s_mul_i32 s5, s23, s4
	s_mul_hi_u32 s23, s22, s4
	v_mad_u64_u32 v[0:1], s[24:25], s20, v7, v[0:1]
	v_lshl_add_u32 v21, v8, 6, v6
	s_add_i32 s23, s23, s5
	s_mul_i32 s22, s22, s4
	v_mov_b32_e32 v6, v1
	s_lshl_b64 s[22:23], s[22:23], 3
	v_mad_u64_u32 v[6:7], s[24:25], s21, v7, v[6:7]
	v_mov_b32_e32 v1, v6
	s_add_u32 s18, s18, s22
	v_mov_b32_e32 v3, v9
	v_lshl_add_u64 v[0:1], v[0:1], 0, s[6:7]
	s_addc_u32 s19, s19, s23
	v_lshl_add_u64 v[12:13], v[0:1], 3, s[18:19]
	v_lshl_add_u64 v[0:1], s[2:3], 0, v[2:3]
	v_mul_lo_u32 v2, s15, v0
	v_mul_lo_u32 v3, s14, v1
	v_mad_u64_u32 v[0:1], s[14:15], s14, v0, 0
	s_mul_i32 s5, s17, s4
	s_mul_hi_u32 s14, s16, s4
	s_add_i32 s15, s14, s5
	s_mul_i32 s14, s16, s4
	v_add3_u32 v1, v1, v3, v2
	s_lshl_b64 s[14:15], s[14:15], 3
	v_lshl_add_u64 v[0:1], v[0:1], 3, s[14:15]
	v_lshlrev_b32_e32 v2, 3, v10
	v_mov_b32_e32 v3, v9
	v_lshl_add_u64 v[0:1], v[0:1], 0, v[2:3]
	v_lshlrev_b32_e32 v20, 3, v4
	s_lshl_b64 s[18:19], s[20:21], 6
	v_lshl_add_u64 v[14:15], s[12:13], 0, v[0:1]
	s_mov_b64 s[12:13], 0
	v_mov_b64_e32 v[0:1], 0
	v_mov_b64_e32 v[16:17], s[8:9]
	;; [unrolled: 1-line block ×5, first 2 shown]
.LBB72_2:                               ; =>This Inner Loop Header: Depth=1
	global_load_dwordx2 v[22:23], v[14:15], off
	global_load_dwordx2 v[24:25], v[12:13], off
	s_add_u32 s12, s12, 8
	s_addc_u32 s13, s13, 0
	v_cmp_lt_i64_e32 vcc, s[12:13], v[16:17]
	v_lshl_add_u64 v[12:13], v[12:13], 0, s[18:19]
	v_lshl_add_u64 v[14:15], v[14:15], 0, 64
	s_and_b64 vcc, exec, vcc
	s_waitcnt vmcnt(1)
	ds_write_b64 v18, v[22:23]
	s_waitcnt vmcnt(0)
	ds_write_b64 v19, v[24:25]
	s_waitcnt lgkmcnt(0)
	s_barrier
	ds_read_b128 v[22:25], v21
	ds_read_b128 v[26:29], v21 offset:16
	ds_read_b128 v[30:33], v21 offset:32
	;; [unrolled: 1-line block ×3, first 2 shown]
	ds_read2_b64 v[38:41], v20 offset1:16
	ds_read2_b64 v[42:45], v20 offset0:32 offset1:48
	ds_read2_b64 v[46:49], v20 offset0:64 offset1:80
	ds_read_b128 v[50:53], v21 offset:1024
	ds_read_b128 v[54:57], v21 offset:1040
	ds_read2_b64 v[58:61], v20 offset0:96 offset1:112
	s_waitcnt lgkmcnt(5)
	v_fmac_f64_e32 v[10:11], v[38:39], v[22:23]
	v_fmac_f64_e32 v[6:7], v[40:41], v[22:23]
	s_waitcnt lgkmcnt(2)
	v_fmac_f64_e32 v[2:3], v[38:39], v[50:51]
	v_fmac_f64_e32 v[0:1], v[40:41], v[50:51]
	ds_read2_b64 v[38:41], v20 offset0:128 offset1:144
	v_fmac_f64_e32 v[10:11], v[42:43], v[24:25]
	v_fmac_f64_e32 v[6:7], v[44:45], v[24:25]
	ds_read_b128 v[22:25], v21 offset:1056
	v_fmac_f64_e32 v[2:3], v[42:43], v[52:53]
	v_fmac_f64_e32 v[0:1], v[44:45], v[52:53]
	ds_read2_b64 v[42:45], v20 offset0:160 offset1:176
	ds_read2_b64 v[50:53], v20 offset0:192 offset1:208
	v_fmac_f64_e32 v[10:11], v[46:47], v[26:27]
	v_fmac_f64_e32 v[6:7], v[48:49], v[26:27]
	s_waitcnt lgkmcnt(5)
	v_fmac_f64_e32 v[2:3], v[46:47], v[54:55]
	v_fmac_f64_e32 v[0:1], v[48:49], v[54:55]
	ds_read_b128 v[46:49], v21 offset:1072
	s_waitcnt lgkmcnt(5)
	v_fmac_f64_e32 v[10:11], v[58:59], v[28:29]
	v_fmac_f64_e32 v[6:7], v[60:61], v[28:29]
	ds_read2_b64 v[26:29], v20 offset0:224 offset1:240
	v_fmac_f64_e32 v[2:3], v[58:59], v[56:57]
	v_fmac_f64_e32 v[0:1], v[60:61], v[56:57]
	s_waitcnt lgkmcnt(5)
	v_fmac_f64_e32 v[10:11], v[38:39], v[30:31]
	v_fmac_f64_e32 v[6:7], v[40:41], v[30:31]
	s_waitcnt lgkmcnt(4)
	v_fmac_f64_e32 v[2:3], v[38:39], v[22:23]
	v_fmac_f64_e32 v[0:1], v[40:41], v[22:23]
	s_waitcnt lgkmcnt(3)
	v_fmac_f64_e32 v[10:11], v[42:43], v[32:33]
	v_fmac_f64_e32 v[6:7], v[44:45], v[32:33]
	;; [unrolled: 1-line block ×4, first 2 shown]
	s_waitcnt lgkmcnt(2)
	v_fmac_f64_e32 v[10:11], v[50:51], v[34:35]
	v_fmac_f64_e32 v[6:7], v[52:53], v[34:35]
	s_waitcnt lgkmcnt(1)
	v_fmac_f64_e32 v[2:3], v[50:51], v[46:47]
	v_fmac_f64_e32 v[0:1], v[52:53], v[46:47]
	;; [unrolled: 3-line block ×3, first 2 shown]
	v_fmac_f64_e32 v[2:3], v[26:27], v[48:49]
	v_fmac_f64_e32 v[0:1], v[28:29], v[48:49]
	s_barrier
	s_cbranch_vccnz .LBB72_2
	s_branch .LBB72_4
.LBB72_3:
	v_mov_b64_e32 v[10:11], 0
	v_mov_b64_e32 v[6:7], 0
	v_mov_b64_e32 v[2:3], 0
	v_mov_b64_e32 v[0:1], 0
.LBB72_4:
	s_load_dwordx8 s[20:27], s[0:1], 0x70
	s_load_dwordx8 s[12:19], s[0:1], 0x50
	v_lshl_add_u64 v[8:9], s[6:7], 0, v[8:9]
	v_lshl_add_u64 v[4:5], s[2:3], 0, v[4:5]
	s_mov_b64 s[6:7], 0
	s_waitcnt lgkmcnt(0)
	s_mul_i32 s1, s25, s4
	s_mul_hi_u32 s5, s24, s4
	s_mul_i32 s0, s24, s4
	s_add_i32 s1, s5, s1
	s_lshl_b64 s[0:1], s[0:1], 3
	s_add_u32 s0, s20, s0
	v_cmp_neq_f64_e64 s[8:9], s[12:13], 0
	s_addc_u32 s1, s21, s1
	s_and_b64 vcc, exec, s[8:9]
	v_mul_lo_u32 v12, v9, s22
	v_mul_lo_u32 v13, v8, s23
	v_lshlrev_b64 v[4:5], 3, v[4:5]
	s_cbranch_vccnz .LBB72_8
; %bb.5:
	v_mad_u64_u32 v[14:15], s[2:3], v8, s22, 0
	v_add3_u32 v15, v15, v13, v12
	v_lshl_add_u64 v[14:15], v[14:15], 3, s[0:1]
	v_mul_f64 v[16:17], s[10:11], v[10:11]
	v_lshl_add_u64 v[18:19], v[14:15], 0, v[4:5]
	s_lshl_b64 s[2:3], s[22:23], 7
	global_store_dwordx2 v[18:19], v[16:17], off
	v_mul_f64 v[16:17], s[10:11], v[6:7]
	v_lshl_add_u64 v[14:15], v[14:15], 0, s[2:3]
	global_store_dwordx2 v[18:19], v[16:17], off offset:128
	v_mul_f64 v[16:17], s[10:11], v[2:3]
	v_lshl_add_u64 v[14:15], v[14:15], 0, v[4:5]
	global_store_dwordx2 v[14:15], v[16:17], off
	v_mul_f64 v[16:17], s[10:11], v[0:1]
	global_store_dwordx2 v[14:15], v[16:17], off offset:128
	s_andn2_b64 vcc, exec, s[6:7]
	s_cbranch_vccnz .LBB72_7
.LBB72_6:
	s_mul_i32 s2, s19, s4
	s_mul_hi_u32 s3, s18, s4
	s_add_i32 s3, s3, s2
	s_mul_i32 s2, s18, s4
	s_lshl_b64 s[2:3], s[2:3], 3
	s_add_u32 s2, s14, s2
	v_mul_lo_u32 v9, v9, s16
	v_mul_lo_u32 v16, v8, s17
	v_mad_u64_u32 v[14:15], s[4:5], v8, s16, 0
	s_addc_u32 s3, s15, s3
	v_add3_u32 v15, v15, v16, v9
	v_lshl_add_u64 v[14:15], v[14:15], 3, s[2:3]
	v_lshl_add_u64 v[16:17], v[14:15], 0, v[4:5]
	global_load_dwordx2 v[18:19], v[16:17], off
	v_mad_u64_u32 v[8:9], s[2:3], v8, s22, 0
	v_add3_u32 v9, v9, v13, v12
	v_lshl_add_u64 v[8:9], v[8:9], 3, s[0:1]
	v_lshl_add_u64 v[12:13], v[8:9], 0, v[4:5]
	s_lshl_b64 s[0:1], s[16:17], 7
	v_lshl_add_u64 v[14:15], v[14:15], 0, s[0:1]
	v_lshl_add_u64 v[14:15], v[14:15], 0, v[4:5]
	s_lshl_b64 s[0:1], s[22:23], 7
	v_lshl_add_u64 v[8:9], v[8:9], 0, s[0:1]
	s_waitcnt vmcnt(0)
	v_mul_f64 v[18:19], s[12:13], v[18:19]
	v_fmac_f64_e32 v[18:19], s[10:11], v[10:11]
	global_store_dwordx2 v[12:13], v[18:19], off
	global_load_dwordx2 v[10:11], v[16:17], off offset:128
	s_waitcnt vmcnt(0)
	v_mul_f64 v[10:11], s[12:13], v[10:11]
	v_fmac_f64_e32 v[10:11], s[10:11], v[6:7]
	global_store_dwordx2 v[12:13], v[10:11], off offset:128
	global_load_dwordx2 v[6:7], v[14:15], off
	s_waitcnt vmcnt(0)
	v_mul_f64 v[6:7], s[12:13], v[6:7]
	v_fmac_f64_e32 v[6:7], s[10:11], v[2:3]
	v_lshl_add_u64 v[2:3], v[8:9], 0, v[4:5]
	global_store_dwordx2 v[2:3], v[6:7], off
	global_load_dwordx2 v[4:5], v[14:15], off offset:128
	s_waitcnt vmcnt(0)
	v_mul_f64 v[4:5], s[12:13], v[4:5]
	v_fmac_f64_e32 v[4:5], s[10:11], v[0:1]
	global_store_dwordx2 v[2:3], v[4:5], off offset:128
.LBB72_7:
	s_endpgm
.LBB72_8:
	s_branch .LBB72_6
	.section	.rodata,"a",@progbits
	.p2align	6, 0x0
	.amdhsa_kernel _ZN12_GLOBAL__N_127rocblas_gemm_batched_kernelIdLi16ELi16ELi32ELi32ELi8ELi32ELi8ELi8ELi32ELc84ELc84EKdS1_dEEvlllT_PT11_llS4_llS2_PT12_llPT13_lli
		.amdhsa_group_segment_fixed_size 4096
		.amdhsa_private_segment_fixed_size 0
		.amdhsa_kernarg_size 140
		.amdhsa_user_sgpr_count 2
		.amdhsa_user_sgpr_dispatch_ptr 0
		.amdhsa_user_sgpr_queue_ptr 0
		.amdhsa_user_sgpr_kernarg_segment_ptr 1
		.amdhsa_user_sgpr_dispatch_id 0
		.amdhsa_user_sgpr_kernarg_preload_length 0
		.amdhsa_user_sgpr_kernarg_preload_offset 0
		.amdhsa_user_sgpr_private_segment_size 0
		.amdhsa_uses_dynamic_stack 0
		.amdhsa_enable_private_segment 0
		.amdhsa_system_sgpr_workgroup_id_x 1
		.amdhsa_system_sgpr_workgroup_id_y 1
		.amdhsa_system_sgpr_workgroup_id_z 1
		.amdhsa_system_sgpr_workgroup_info 0
		.amdhsa_system_vgpr_workitem_id 1
		.amdhsa_next_free_vgpr 62
		.amdhsa_next_free_sgpr 28
		.amdhsa_accum_offset 64
		.amdhsa_reserve_vcc 1
		.amdhsa_float_round_mode_32 0
		.amdhsa_float_round_mode_16_64 0
		.amdhsa_float_denorm_mode_32 3
		.amdhsa_float_denorm_mode_16_64 3
		.amdhsa_dx10_clamp 1
		.amdhsa_ieee_mode 1
		.amdhsa_fp16_overflow 0
		.amdhsa_tg_split 0
		.amdhsa_exception_fp_ieee_invalid_op 0
		.amdhsa_exception_fp_denorm_src 0
		.amdhsa_exception_fp_ieee_div_zero 0
		.amdhsa_exception_fp_ieee_overflow 0
		.amdhsa_exception_fp_ieee_underflow 0
		.amdhsa_exception_fp_ieee_inexact 0
		.amdhsa_exception_int_div_zero 0
	.end_amdhsa_kernel
	.section	.text._ZN12_GLOBAL__N_127rocblas_gemm_batched_kernelIdLi16ELi16ELi32ELi32ELi8ELi32ELi8ELi8ELi32ELc84ELc84EKdS1_dEEvlllT_PT11_llS4_llS2_PT12_llPT13_lli,"axG",@progbits,_ZN12_GLOBAL__N_127rocblas_gemm_batched_kernelIdLi16ELi16ELi32ELi32ELi8ELi32ELi8ELi8ELi32ELc84ELc84EKdS1_dEEvlllT_PT11_llS4_llS2_PT12_llPT13_lli,comdat
.Lfunc_end72:
	.size	_ZN12_GLOBAL__N_127rocblas_gemm_batched_kernelIdLi16ELi16ELi32ELi32ELi8ELi32ELi8ELi8ELi32ELc84ELc84EKdS1_dEEvlllT_PT11_llS4_llS2_PT12_llPT13_lli, .Lfunc_end72-_ZN12_GLOBAL__N_127rocblas_gemm_batched_kernelIdLi16ELi16ELi32ELi32ELi8ELi32ELi8ELi8ELi32ELc84ELc84EKdS1_dEEvlllT_PT11_llS4_llS2_PT12_llPT13_lli
                                        ; -- End function
	.set _ZN12_GLOBAL__N_127rocblas_gemm_batched_kernelIdLi16ELi16ELi32ELi32ELi8ELi32ELi8ELi8ELi32ELc84ELc84EKdS1_dEEvlllT_PT11_llS4_llS2_PT12_llPT13_lli.num_vgpr, 62
	.set _ZN12_GLOBAL__N_127rocblas_gemm_batched_kernelIdLi16ELi16ELi32ELi32ELi8ELi32ELi8ELi8ELi32ELc84ELc84EKdS1_dEEvlllT_PT11_llS4_llS2_PT12_llPT13_lli.num_agpr, 0
	.set _ZN12_GLOBAL__N_127rocblas_gemm_batched_kernelIdLi16ELi16ELi32ELi32ELi8ELi32ELi8ELi8ELi32ELc84ELc84EKdS1_dEEvlllT_PT11_llS4_llS2_PT12_llPT13_lli.numbered_sgpr, 28
	.set _ZN12_GLOBAL__N_127rocblas_gemm_batched_kernelIdLi16ELi16ELi32ELi32ELi8ELi32ELi8ELi8ELi32ELc84ELc84EKdS1_dEEvlllT_PT11_llS4_llS2_PT12_llPT13_lli.num_named_barrier, 0
	.set _ZN12_GLOBAL__N_127rocblas_gemm_batched_kernelIdLi16ELi16ELi32ELi32ELi8ELi32ELi8ELi8ELi32ELc84ELc84EKdS1_dEEvlllT_PT11_llS4_llS2_PT12_llPT13_lli.private_seg_size, 0
	.set _ZN12_GLOBAL__N_127rocblas_gemm_batched_kernelIdLi16ELi16ELi32ELi32ELi8ELi32ELi8ELi8ELi32ELc84ELc84EKdS1_dEEvlllT_PT11_llS4_llS2_PT12_llPT13_lli.uses_vcc, 1
	.set _ZN12_GLOBAL__N_127rocblas_gemm_batched_kernelIdLi16ELi16ELi32ELi32ELi8ELi32ELi8ELi8ELi32ELc84ELc84EKdS1_dEEvlllT_PT11_llS4_llS2_PT12_llPT13_lli.uses_flat_scratch, 0
	.set _ZN12_GLOBAL__N_127rocblas_gemm_batched_kernelIdLi16ELi16ELi32ELi32ELi8ELi32ELi8ELi8ELi32ELc84ELc84EKdS1_dEEvlllT_PT11_llS4_llS2_PT12_llPT13_lli.has_dyn_sized_stack, 0
	.set _ZN12_GLOBAL__N_127rocblas_gemm_batched_kernelIdLi16ELi16ELi32ELi32ELi8ELi32ELi8ELi8ELi32ELc84ELc84EKdS1_dEEvlllT_PT11_llS4_llS2_PT12_llPT13_lli.has_recursion, 0
	.set _ZN12_GLOBAL__N_127rocblas_gemm_batched_kernelIdLi16ELi16ELi32ELi32ELi8ELi32ELi8ELi8ELi32ELc84ELc84EKdS1_dEEvlllT_PT11_llS4_llS2_PT12_llPT13_lli.has_indirect_call, 0
	.section	.AMDGPU.csdata,"",@progbits
; Kernel info:
; codeLenInByte = 1264
; TotalNumSgprs: 34
; NumVgprs: 62
; NumAgprs: 0
; TotalNumVgprs: 62
; ScratchSize: 0
; MemoryBound: 0
; FloatMode: 240
; IeeeMode: 1
; LDSByteSize: 4096 bytes/workgroup (compile time only)
; SGPRBlocks: 4
; VGPRBlocks: 7
; NumSGPRsForWavesPerEU: 34
; NumVGPRsForWavesPerEU: 62
; AccumOffset: 64
; Occupancy: 8
; WaveLimiterHint : 1
; COMPUTE_PGM_RSRC2:SCRATCH_EN: 0
; COMPUTE_PGM_RSRC2:USER_SGPR: 2
; COMPUTE_PGM_RSRC2:TRAP_HANDLER: 0
; COMPUTE_PGM_RSRC2:TGID_X_EN: 1
; COMPUTE_PGM_RSRC2:TGID_Y_EN: 1
; COMPUTE_PGM_RSRC2:TGID_Z_EN: 1
; COMPUTE_PGM_RSRC2:TIDIG_COMP_CNT: 1
; COMPUTE_PGM_RSRC3_GFX90A:ACCUM_OFFSET: 15
; COMPUTE_PGM_RSRC3_GFX90A:TG_SPLIT: 0
	.section	.text._ZN12_GLOBAL__N_127rocblas_gemm_batched_kernelIdLi16ELi16ELi32ELi32ELi8ELi32ELi8ELi8ELi32ELc67ELc67EKdS1_dEEvlllT_PT11_llS4_llS2_PT12_llPT13_lli,"axG",@progbits,_ZN12_GLOBAL__N_127rocblas_gemm_batched_kernelIdLi16ELi16ELi32ELi32ELi8ELi32ELi8ELi8ELi32ELc67ELc67EKdS1_dEEvlllT_PT11_llS4_llS2_PT12_llPT13_lli,comdat
	.globl	_ZN12_GLOBAL__N_127rocblas_gemm_batched_kernelIdLi16ELi16ELi32ELi32ELi8ELi32ELi8ELi8ELi32ELc67ELc67EKdS1_dEEvlllT_PT11_llS4_llS2_PT12_llPT13_lli ; -- Begin function _ZN12_GLOBAL__N_127rocblas_gemm_batched_kernelIdLi16ELi16ELi32ELi32ELi8ELi32ELi8ELi8ELi32ELc67ELc67EKdS1_dEEvlllT_PT11_llS4_llS2_PT12_llPT13_lli
	.p2align	8
	.type	_ZN12_GLOBAL__N_127rocblas_gemm_batched_kernelIdLi16ELi16ELi32ELi32ELi8ELi32ELi8ELi8ELi32ELc67ELc67EKdS1_dEEvlllT_PT11_llS4_llS2_PT12_llPT13_lli,@function
_ZN12_GLOBAL__N_127rocblas_gemm_batched_kernelIdLi16ELi16ELi32ELi32ELi8ELi32ELi8ELi8ELi32ELc67ELc67EKdS1_dEEvlllT_PT11_llS4_llS2_PT12_llPT13_lli: ; @_ZN12_GLOBAL__N_127rocblas_gemm_batched_kernelIdLi16ELi16ELi32ELi32ELi8ELi32ELi8ELi8ELi32ELc67ELc67EKdS1_dEEvlllT_PT11_llS4_llS2_PT12_llPT13_lli
; %bb.0:
	s_load_dwordx16 s[8:23], s[0:1], 0x10
	s_mov_b32 s6, s3
	v_mov_b32_e32 v9, 0
	s_ashr_i32 s3, s2, 31
	s_ashr_i32 s7, s6, 31
	s_waitcnt lgkmcnt(0)
	v_cmp_lt_i64_e64 s[24:25], s[8:9], 1
	v_bfe_u32 v8, v0, 10, 10
	v_and_b32_e32 v4, 0x3ff, v0
	v_mov_b32_e32 v5, v9
	s_lshl_b64 s[2:3], s[2:3], 5
	s_lshl_b64 s[6:7], s[6:7], 5
	s_and_b64 vcc, exec, s[24:25]
	s_cbranch_vccnz .LBB73_3
; %bb.1:
	v_lshl_add_u32 v6, v8, 4, v4
	v_and_b32_e32 v2, 31, v6
	v_lshrrev_b32_e32 v0, 3, v6
	v_and_b32_e32 v7, 7, v4
	v_lshrrev_b32_e32 v10, 5, v6
	v_lshlrev_b32_e32 v6, 3, v2
	v_lshl_or_b32 v18, v10, 8, v6
	v_lshlrev_b32_e32 v6, 3, v7
	v_mov_b32_e32 v1, v9
	v_lshl_or_b32 v6, v0, 6, v6
	v_add_u32_e32 v19, 0x800, v6
	v_mov_b32_e32 v6, 0x800
	s_mul_i32 s5, s23, s4
	s_mul_hi_u32 s23, s22, s4
	v_mad_u64_u32 v[0:1], s[24:25], s20, v7, v[0:1]
	v_lshl_add_u32 v21, v8, 6, v6
	s_add_i32 s23, s23, s5
	s_mul_i32 s22, s22, s4
	v_mov_b32_e32 v6, v1
	s_lshl_b64 s[22:23], s[22:23], 3
	v_mad_u64_u32 v[6:7], s[24:25], s21, v7, v[6:7]
	v_mov_b32_e32 v1, v6
	s_add_u32 s18, s18, s22
	v_mov_b32_e32 v3, v9
	v_lshl_add_u64 v[0:1], v[0:1], 0, s[6:7]
	s_addc_u32 s19, s19, s23
	v_lshl_add_u64 v[12:13], v[0:1], 3, s[18:19]
	v_lshl_add_u64 v[0:1], s[2:3], 0, v[2:3]
	v_mul_lo_u32 v2, s15, v0
	v_mul_lo_u32 v3, s14, v1
	v_mad_u64_u32 v[0:1], s[14:15], s14, v0, 0
	s_mul_i32 s5, s17, s4
	s_mul_hi_u32 s14, s16, s4
	s_add_i32 s15, s14, s5
	s_mul_i32 s14, s16, s4
	v_add3_u32 v1, v1, v3, v2
	s_lshl_b64 s[14:15], s[14:15], 3
	v_lshl_add_u64 v[0:1], v[0:1], 3, s[14:15]
	v_lshlrev_b32_e32 v2, 3, v10
	v_mov_b32_e32 v3, v9
	v_lshl_add_u64 v[0:1], v[0:1], 0, v[2:3]
	v_lshlrev_b32_e32 v20, 3, v4
	s_lshl_b64 s[18:19], s[20:21], 6
	v_lshl_add_u64 v[14:15], s[12:13], 0, v[0:1]
	s_mov_b64 s[12:13], 0
	v_mov_b64_e32 v[0:1], 0
	v_mov_b64_e32 v[16:17], s[8:9]
	;; [unrolled: 1-line block ×5, first 2 shown]
.LBB73_2:                               ; =>This Inner Loop Header: Depth=1
	global_load_dwordx2 v[22:23], v[14:15], off
	global_load_dwordx2 v[24:25], v[12:13], off
	s_add_u32 s12, s12, 8
	s_addc_u32 s13, s13, 0
	v_cmp_lt_i64_e32 vcc, s[12:13], v[16:17]
	v_lshl_add_u64 v[12:13], v[12:13], 0, s[18:19]
	v_lshl_add_u64 v[14:15], v[14:15], 0, 64
	s_and_b64 vcc, exec, vcc
	s_waitcnt vmcnt(1)
	ds_write_b64 v18, v[22:23]
	s_waitcnt vmcnt(0)
	ds_write_b64 v19, v[24:25]
	s_waitcnt lgkmcnt(0)
	s_barrier
	ds_read_b128 v[22:25], v21
	ds_read_b128 v[26:29], v21 offset:16
	ds_read_b128 v[30:33], v21 offset:32
	;; [unrolled: 1-line block ×3, first 2 shown]
	ds_read2_b64 v[38:41], v20 offset1:16
	ds_read2_b64 v[42:45], v20 offset0:32 offset1:48
	ds_read2_b64 v[46:49], v20 offset0:64 offset1:80
	ds_read_b128 v[50:53], v21 offset:1024
	ds_read_b128 v[54:57], v21 offset:1040
	ds_read2_b64 v[58:61], v20 offset0:96 offset1:112
	s_waitcnt lgkmcnt(5)
	v_fmac_f64_e32 v[10:11], v[38:39], v[22:23]
	v_fmac_f64_e32 v[6:7], v[40:41], v[22:23]
	s_waitcnt lgkmcnt(2)
	v_fmac_f64_e32 v[2:3], v[38:39], v[50:51]
	v_fmac_f64_e32 v[0:1], v[40:41], v[50:51]
	ds_read2_b64 v[38:41], v20 offset0:128 offset1:144
	v_fmac_f64_e32 v[10:11], v[42:43], v[24:25]
	v_fmac_f64_e32 v[6:7], v[44:45], v[24:25]
	ds_read_b128 v[22:25], v21 offset:1056
	v_fmac_f64_e32 v[2:3], v[42:43], v[52:53]
	v_fmac_f64_e32 v[0:1], v[44:45], v[52:53]
	ds_read2_b64 v[42:45], v20 offset0:160 offset1:176
	ds_read2_b64 v[50:53], v20 offset0:192 offset1:208
	v_fmac_f64_e32 v[10:11], v[46:47], v[26:27]
	v_fmac_f64_e32 v[6:7], v[48:49], v[26:27]
	s_waitcnt lgkmcnt(5)
	v_fmac_f64_e32 v[2:3], v[46:47], v[54:55]
	v_fmac_f64_e32 v[0:1], v[48:49], v[54:55]
	ds_read_b128 v[46:49], v21 offset:1072
	s_waitcnt lgkmcnt(5)
	v_fmac_f64_e32 v[10:11], v[58:59], v[28:29]
	v_fmac_f64_e32 v[6:7], v[60:61], v[28:29]
	ds_read2_b64 v[26:29], v20 offset0:224 offset1:240
	v_fmac_f64_e32 v[2:3], v[58:59], v[56:57]
	v_fmac_f64_e32 v[0:1], v[60:61], v[56:57]
	s_waitcnt lgkmcnt(5)
	v_fmac_f64_e32 v[10:11], v[38:39], v[30:31]
	v_fmac_f64_e32 v[6:7], v[40:41], v[30:31]
	s_waitcnt lgkmcnt(4)
	;; [unrolled: 3-line block ×3, first 2 shown]
	v_fmac_f64_e32 v[10:11], v[42:43], v[32:33]
	v_fmac_f64_e32 v[6:7], v[44:45], v[32:33]
	v_fmac_f64_e32 v[2:3], v[42:43], v[24:25]
	v_fmac_f64_e32 v[0:1], v[44:45], v[24:25]
	s_waitcnt lgkmcnt(2)
	v_fmac_f64_e32 v[10:11], v[50:51], v[34:35]
	v_fmac_f64_e32 v[6:7], v[52:53], v[34:35]
	s_waitcnt lgkmcnt(1)
	v_fmac_f64_e32 v[2:3], v[50:51], v[46:47]
	v_fmac_f64_e32 v[0:1], v[52:53], v[46:47]
	;; [unrolled: 3-line block ×3, first 2 shown]
	v_fmac_f64_e32 v[2:3], v[26:27], v[48:49]
	v_fmac_f64_e32 v[0:1], v[28:29], v[48:49]
	s_barrier
	s_cbranch_vccnz .LBB73_2
	s_branch .LBB73_4
.LBB73_3:
	v_mov_b64_e32 v[10:11], 0
	v_mov_b64_e32 v[6:7], 0
	;; [unrolled: 1-line block ×4, first 2 shown]
.LBB73_4:
	s_load_dwordx8 s[20:27], s[0:1], 0x70
	s_load_dwordx8 s[12:19], s[0:1], 0x50
	v_lshl_add_u64 v[8:9], s[6:7], 0, v[8:9]
	v_lshl_add_u64 v[4:5], s[2:3], 0, v[4:5]
	s_mov_b64 s[6:7], 0
	s_waitcnt lgkmcnt(0)
	s_mul_i32 s1, s25, s4
	s_mul_hi_u32 s5, s24, s4
	s_mul_i32 s0, s24, s4
	s_add_i32 s1, s5, s1
	s_lshl_b64 s[0:1], s[0:1], 3
	s_add_u32 s0, s20, s0
	v_cmp_neq_f64_e64 s[8:9], s[12:13], 0
	s_addc_u32 s1, s21, s1
	s_and_b64 vcc, exec, s[8:9]
	v_mul_lo_u32 v12, v9, s22
	v_mul_lo_u32 v13, v8, s23
	v_lshlrev_b64 v[4:5], 3, v[4:5]
	s_cbranch_vccnz .LBB73_8
; %bb.5:
	v_mad_u64_u32 v[14:15], s[2:3], v8, s22, 0
	v_add3_u32 v15, v15, v13, v12
	v_lshl_add_u64 v[14:15], v[14:15], 3, s[0:1]
	v_mul_f64 v[16:17], s[10:11], v[10:11]
	v_lshl_add_u64 v[18:19], v[14:15], 0, v[4:5]
	s_lshl_b64 s[2:3], s[22:23], 7
	global_store_dwordx2 v[18:19], v[16:17], off
	v_mul_f64 v[16:17], s[10:11], v[6:7]
	v_lshl_add_u64 v[14:15], v[14:15], 0, s[2:3]
	global_store_dwordx2 v[18:19], v[16:17], off offset:128
	v_mul_f64 v[16:17], s[10:11], v[2:3]
	v_lshl_add_u64 v[14:15], v[14:15], 0, v[4:5]
	global_store_dwordx2 v[14:15], v[16:17], off
	v_mul_f64 v[16:17], s[10:11], v[0:1]
	global_store_dwordx2 v[14:15], v[16:17], off offset:128
	s_andn2_b64 vcc, exec, s[6:7]
	s_cbranch_vccnz .LBB73_7
.LBB73_6:
	s_mul_i32 s2, s19, s4
	s_mul_hi_u32 s3, s18, s4
	s_add_i32 s3, s3, s2
	s_mul_i32 s2, s18, s4
	s_lshl_b64 s[2:3], s[2:3], 3
	s_add_u32 s2, s14, s2
	v_mul_lo_u32 v9, v9, s16
	v_mul_lo_u32 v16, v8, s17
	v_mad_u64_u32 v[14:15], s[4:5], v8, s16, 0
	s_addc_u32 s3, s15, s3
	v_add3_u32 v15, v15, v16, v9
	v_lshl_add_u64 v[14:15], v[14:15], 3, s[2:3]
	v_lshl_add_u64 v[16:17], v[14:15], 0, v[4:5]
	global_load_dwordx2 v[18:19], v[16:17], off
	v_mad_u64_u32 v[8:9], s[2:3], v8, s22, 0
	v_add3_u32 v9, v9, v13, v12
	v_lshl_add_u64 v[8:9], v[8:9], 3, s[0:1]
	v_lshl_add_u64 v[12:13], v[8:9], 0, v[4:5]
	s_lshl_b64 s[0:1], s[16:17], 7
	v_lshl_add_u64 v[14:15], v[14:15], 0, s[0:1]
	v_lshl_add_u64 v[14:15], v[14:15], 0, v[4:5]
	s_lshl_b64 s[0:1], s[22:23], 7
	v_lshl_add_u64 v[8:9], v[8:9], 0, s[0:1]
	s_waitcnt vmcnt(0)
	v_mul_f64 v[18:19], s[12:13], v[18:19]
	v_fmac_f64_e32 v[18:19], s[10:11], v[10:11]
	global_store_dwordx2 v[12:13], v[18:19], off
	global_load_dwordx2 v[10:11], v[16:17], off offset:128
	s_waitcnt vmcnt(0)
	v_mul_f64 v[10:11], s[12:13], v[10:11]
	v_fmac_f64_e32 v[10:11], s[10:11], v[6:7]
	global_store_dwordx2 v[12:13], v[10:11], off offset:128
	global_load_dwordx2 v[6:7], v[14:15], off
	s_waitcnt vmcnt(0)
	v_mul_f64 v[6:7], s[12:13], v[6:7]
	v_fmac_f64_e32 v[6:7], s[10:11], v[2:3]
	v_lshl_add_u64 v[2:3], v[8:9], 0, v[4:5]
	global_store_dwordx2 v[2:3], v[6:7], off
	global_load_dwordx2 v[4:5], v[14:15], off offset:128
	s_waitcnt vmcnt(0)
	v_mul_f64 v[4:5], s[12:13], v[4:5]
	v_fmac_f64_e32 v[4:5], s[10:11], v[0:1]
	global_store_dwordx2 v[2:3], v[4:5], off offset:128
.LBB73_7:
	s_endpgm
.LBB73_8:
	s_branch .LBB73_6
	.section	.rodata,"a",@progbits
	.p2align	6, 0x0
	.amdhsa_kernel _ZN12_GLOBAL__N_127rocblas_gemm_batched_kernelIdLi16ELi16ELi32ELi32ELi8ELi32ELi8ELi8ELi32ELc67ELc67EKdS1_dEEvlllT_PT11_llS4_llS2_PT12_llPT13_lli
		.amdhsa_group_segment_fixed_size 4096
		.amdhsa_private_segment_fixed_size 0
		.amdhsa_kernarg_size 140
		.amdhsa_user_sgpr_count 2
		.amdhsa_user_sgpr_dispatch_ptr 0
		.amdhsa_user_sgpr_queue_ptr 0
		.amdhsa_user_sgpr_kernarg_segment_ptr 1
		.amdhsa_user_sgpr_dispatch_id 0
		.amdhsa_user_sgpr_kernarg_preload_length 0
		.amdhsa_user_sgpr_kernarg_preload_offset 0
		.amdhsa_user_sgpr_private_segment_size 0
		.amdhsa_uses_dynamic_stack 0
		.amdhsa_enable_private_segment 0
		.amdhsa_system_sgpr_workgroup_id_x 1
		.amdhsa_system_sgpr_workgroup_id_y 1
		.amdhsa_system_sgpr_workgroup_id_z 1
		.amdhsa_system_sgpr_workgroup_info 0
		.amdhsa_system_vgpr_workitem_id 1
		.amdhsa_next_free_vgpr 62
		.amdhsa_next_free_sgpr 28
		.amdhsa_accum_offset 64
		.amdhsa_reserve_vcc 1
		.amdhsa_float_round_mode_32 0
		.amdhsa_float_round_mode_16_64 0
		.amdhsa_float_denorm_mode_32 3
		.amdhsa_float_denorm_mode_16_64 3
		.amdhsa_dx10_clamp 1
		.amdhsa_ieee_mode 1
		.amdhsa_fp16_overflow 0
		.amdhsa_tg_split 0
		.amdhsa_exception_fp_ieee_invalid_op 0
		.amdhsa_exception_fp_denorm_src 0
		.amdhsa_exception_fp_ieee_div_zero 0
		.amdhsa_exception_fp_ieee_overflow 0
		.amdhsa_exception_fp_ieee_underflow 0
		.amdhsa_exception_fp_ieee_inexact 0
		.amdhsa_exception_int_div_zero 0
	.end_amdhsa_kernel
	.section	.text._ZN12_GLOBAL__N_127rocblas_gemm_batched_kernelIdLi16ELi16ELi32ELi32ELi8ELi32ELi8ELi8ELi32ELc67ELc67EKdS1_dEEvlllT_PT11_llS4_llS2_PT12_llPT13_lli,"axG",@progbits,_ZN12_GLOBAL__N_127rocblas_gemm_batched_kernelIdLi16ELi16ELi32ELi32ELi8ELi32ELi8ELi8ELi32ELc67ELc67EKdS1_dEEvlllT_PT11_llS4_llS2_PT12_llPT13_lli,comdat
.Lfunc_end73:
	.size	_ZN12_GLOBAL__N_127rocblas_gemm_batched_kernelIdLi16ELi16ELi32ELi32ELi8ELi32ELi8ELi8ELi32ELc67ELc67EKdS1_dEEvlllT_PT11_llS4_llS2_PT12_llPT13_lli, .Lfunc_end73-_ZN12_GLOBAL__N_127rocblas_gemm_batched_kernelIdLi16ELi16ELi32ELi32ELi8ELi32ELi8ELi8ELi32ELc67ELc67EKdS1_dEEvlllT_PT11_llS4_llS2_PT12_llPT13_lli
                                        ; -- End function
	.set _ZN12_GLOBAL__N_127rocblas_gemm_batched_kernelIdLi16ELi16ELi32ELi32ELi8ELi32ELi8ELi8ELi32ELc67ELc67EKdS1_dEEvlllT_PT11_llS4_llS2_PT12_llPT13_lli.num_vgpr, 62
	.set _ZN12_GLOBAL__N_127rocblas_gemm_batched_kernelIdLi16ELi16ELi32ELi32ELi8ELi32ELi8ELi8ELi32ELc67ELc67EKdS1_dEEvlllT_PT11_llS4_llS2_PT12_llPT13_lli.num_agpr, 0
	.set _ZN12_GLOBAL__N_127rocblas_gemm_batched_kernelIdLi16ELi16ELi32ELi32ELi8ELi32ELi8ELi8ELi32ELc67ELc67EKdS1_dEEvlllT_PT11_llS4_llS2_PT12_llPT13_lli.numbered_sgpr, 28
	.set _ZN12_GLOBAL__N_127rocblas_gemm_batched_kernelIdLi16ELi16ELi32ELi32ELi8ELi32ELi8ELi8ELi32ELc67ELc67EKdS1_dEEvlllT_PT11_llS4_llS2_PT12_llPT13_lli.num_named_barrier, 0
	.set _ZN12_GLOBAL__N_127rocblas_gemm_batched_kernelIdLi16ELi16ELi32ELi32ELi8ELi32ELi8ELi8ELi32ELc67ELc67EKdS1_dEEvlllT_PT11_llS4_llS2_PT12_llPT13_lli.private_seg_size, 0
	.set _ZN12_GLOBAL__N_127rocblas_gemm_batched_kernelIdLi16ELi16ELi32ELi32ELi8ELi32ELi8ELi8ELi32ELc67ELc67EKdS1_dEEvlllT_PT11_llS4_llS2_PT12_llPT13_lli.uses_vcc, 1
	.set _ZN12_GLOBAL__N_127rocblas_gemm_batched_kernelIdLi16ELi16ELi32ELi32ELi8ELi32ELi8ELi8ELi32ELc67ELc67EKdS1_dEEvlllT_PT11_llS4_llS2_PT12_llPT13_lli.uses_flat_scratch, 0
	.set _ZN12_GLOBAL__N_127rocblas_gemm_batched_kernelIdLi16ELi16ELi32ELi32ELi8ELi32ELi8ELi8ELi32ELc67ELc67EKdS1_dEEvlllT_PT11_llS4_llS2_PT12_llPT13_lli.has_dyn_sized_stack, 0
	.set _ZN12_GLOBAL__N_127rocblas_gemm_batched_kernelIdLi16ELi16ELi32ELi32ELi8ELi32ELi8ELi8ELi32ELc67ELc67EKdS1_dEEvlllT_PT11_llS4_llS2_PT12_llPT13_lli.has_recursion, 0
	.set _ZN12_GLOBAL__N_127rocblas_gemm_batched_kernelIdLi16ELi16ELi32ELi32ELi8ELi32ELi8ELi8ELi32ELc67ELc67EKdS1_dEEvlllT_PT11_llS4_llS2_PT12_llPT13_lli.has_indirect_call, 0
	.section	.AMDGPU.csdata,"",@progbits
; Kernel info:
; codeLenInByte = 1264
; TotalNumSgprs: 34
; NumVgprs: 62
; NumAgprs: 0
; TotalNumVgprs: 62
; ScratchSize: 0
; MemoryBound: 0
; FloatMode: 240
; IeeeMode: 1
; LDSByteSize: 4096 bytes/workgroup (compile time only)
; SGPRBlocks: 4
; VGPRBlocks: 7
; NumSGPRsForWavesPerEU: 34
; NumVGPRsForWavesPerEU: 62
; AccumOffset: 64
; Occupancy: 8
; WaveLimiterHint : 1
; COMPUTE_PGM_RSRC2:SCRATCH_EN: 0
; COMPUTE_PGM_RSRC2:USER_SGPR: 2
; COMPUTE_PGM_RSRC2:TRAP_HANDLER: 0
; COMPUTE_PGM_RSRC2:TGID_X_EN: 1
; COMPUTE_PGM_RSRC2:TGID_Y_EN: 1
; COMPUTE_PGM_RSRC2:TGID_Z_EN: 1
; COMPUTE_PGM_RSRC2:TIDIG_COMP_CNT: 1
; COMPUTE_PGM_RSRC3_GFX90A:ACCUM_OFFSET: 15
; COMPUTE_PGM_RSRC3_GFX90A:TG_SPLIT: 0
	.section	.text._ZN12_GLOBAL__N_127rocblas_gemm_batched_kernelIdLi16ELi16ELi32ELi32ELi8ELi32ELi8ELi8ELi32ELc67ELc78EKdS1_dEEvlllT_PT11_llS4_llS2_PT12_llPT13_lli,"axG",@progbits,_ZN12_GLOBAL__N_127rocblas_gemm_batched_kernelIdLi16ELi16ELi32ELi32ELi8ELi32ELi8ELi8ELi32ELc67ELc78EKdS1_dEEvlllT_PT11_llS4_llS2_PT12_llPT13_lli,comdat
	.globl	_ZN12_GLOBAL__N_127rocblas_gemm_batched_kernelIdLi16ELi16ELi32ELi32ELi8ELi32ELi8ELi8ELi32ELc67ELc78EKdS1_dEEvlllT_PT11_llS4_llS2_PT12_llPT13_lli ; -- Begin function _ZN12_GLOBAL__N_127rocblas_gemm_batched_kernelIdLi16ELi16ELi32ELi32ELi8ELi32ELi8ELi8ELi32ELc67ELc78EKdS1_dEEvlllT_PT11_llS4_llS2_PT12_llPT13_lli
	.p2align	8
	.type	_ZN12_GLOBAL__N_127rocblas_gemm_batched_kernelIdLi16ELi16ELi32ELi32ELi8ELi32ELi8ELi8ELi32ELc67ELc78EKdS1_dEEvlllT_PT11_llS4_llS2_PT12_llPT13_lli,@function
_ZN12_GLOBAL__N_127rocblas_gemm_batched_kernelIdLi16ELi16ELi32ELi32ELi8ELi32ELi8ELi8ELi32ELc67ELc78EKdS1_dEEvlllT_PT11_llS4_llS2_PT12_llPT13_lli: ; @_ZN12_GLOBAL__N_127rocblas_gemm_batched_kernelIdLi16ELi16ELi32ELi32ELi8ELi32ELi8ELi8ELi32ELc67ELc78EKdS1_dEEvlllT_PT11_llS4_llS2_PT12_llPT13_lli
; %bb.0:
	s_load_dwordx16 s[8:23], s[0:1], 0x10
	s_mov_b32 s6, s3
	v_mov_b32_e32 v9, 0
	s_ashr_i32 s3, s2, 31
	s_ashr_i32 s7, s6, 31
	s_waitcnt lgkmcnt(0)
	v_cmp_lt_i64_e64 s[24:25], s[8:9], 1
	v_bfe_u32 v8, v0, 10, 10
	v_and_b32_e32 v4, 0x3ff, v0
	v_mov_b32_e32 v5, v9
	s_lshl_b64 s[2:3], s[2:3], 5
	s_lshl_b64 s[6:7], s[6:7], 5
	s_and_b64 vcc, exec, s[24:25]
	s_cbranch_vccnz .LBB74_3
; %bb.1:
	v_lshl_add_u32 v10, v8, 4, v4
	v_lshrrev_b32_e32 v0, 3, v10
	v_mov_b32_e32 v1, v9
	v_and_b32_e32 v6, 31, v10
	v_lshl_add_u64 v[2:3], v[0:1], 0, s[6:7]
	v_and_b32_e32 v1, 7, v4
	v_lshrrev_b32_e32 v14, 5, v10
	v_lshlrev_b32_e32 v10, 3, v6
	v_lshl_or_b32 v18, v14, 8, v10
	v_lshlrev_b32_e32 v10, 3, v1
	v_lshl_or_b32 v0, v0, 6, v10
	v_add_u32_e32 v19, 0x800, v0
	v_mov_b32_e32 v0, 0x800
	v_lshl_add_u32 v21, v8, 6, v0
	v_mul_lo_u32 v11, s21, v2
	v_mul_lo_u32 v3, s20, v3
	v_mad_u64_u32 v[0:1], s[20:21], s20, v2, 0
	s_mul_i32 s5, s23, s4
	s_mul_hi_u32 s20, s22, s4
	s_add_i32 s21, s20, s5
	s_mul_i32 s20, s22, s4
	v_add3_u32 v1, v1, v3, v11
	s_lshl_b64 s[20:21], s[20:21], 3
	v_lshl_add_u64 v[0:1], v[0:1], 3, s[20:21]
	v_mov_b32_e32 v11, v9
	v_mov_b32_e32 v7, v9
	v_lshl_add_u64 v[0:1], v[0:1], 0, v[10:11]
	v_lshl_add_u64 v[12:13], s[18:19], 0, v[0:1]
	;; [unrolled: 1-line block ×3, first 2 shown]
	v_mul_lo_u32 v2, s15, v0
	v_mul_lo_u32 v3, s14, v1
	v_mad_u64_u32 v[0:1], s[14:15], s14, v0, 0
	s_mul_i32 s5, s17, s4
	s_mul_hi_u32 s14, s16, s4
	s_add_i32 s15, s14, s5
	s_mul_i32 s14, s16, s4
	v_add3_u32 v1, v1, v3, v2
	s_lshl_b64 s[14:15], s[14:15], 3
	v_lshl_add_u64 v[0:1], v[0:1], 3, s[14:15]
	v_lshlrev_b32_e32 v2, 3, v14
	v_mov_b32_e32 v3, v9
	v_lshl_add_u64 v[0:1], v[0:1], 0, v[2:3]
	v_lshlrev_b32_e32 v20, 3, v4
	v_lshl_add_u64 v[14:15], s[12:13], 0, v[0:1]
	s_mov_b64 s[12:13], 0
	v_mov_b64_e32 v[0:1], 0
	v_mov_b64_e32 v[16:17], s[8:9]
	;; [unrolled: 1-line block ×5, first 2 shown]
.LBB74_2:                               ; =>This Inner Loop Header: Depth=1
	global_load_dwordx2 v[22:23], v[14:15], off
	global_load_dwordx2 v[24:25], v[12:13], off
	s_add_u32 s12, s12, 8
	s_addc_u32 s13, s13, 0
	v_cmp_lt_i64_e32 vcc, s[12:13], v[16:17]
	v_lshl_add_u64 v[12:13], v[12:13], 0, 64
	v_lshl_add_u64 v[14:15], v[14:15], 0, 64
	s_and_b64 vcc, exec, vcc
	s_waitcnt vmcnt(1)
	ds_write_b64 v18, v[22:23]
	s_waitcnt vmcnt(0)
	ds_write_b64 v19, v[24:25]
	s_waitcnt lgkmcnt(0)
	s_barrier
	ds_read_b128 v[22:25], v21
	ds_read_b128 v[26:29], v21 offset:16
	ds_read_b128 v[30:33], v21 offset:32
	;; [unrolled: 1-line block ×3, first 2 shown]
	ds_read2_b64 v[38:41], v20 offset1:16
	ds_read2_b64 v[42:45], v20 offset0:32 offset1:48
	ds_read2_b64 v[46:49], v20 offset0:64 offset1:80
	ds_read_b128 v[50:53], v21 offset:1024
	ds_read_b128 v[54:57], v21 offset:1040
	ds_read2_b64 v[58:61], v20 offset0:96 offset1:112
	s_waitcnt lgkmcnt(5)
	v_fmac_f64_e32 v[10:11], v[38:39], v[22:23]
	v_fmac_f64_e32 v[6:7], v[40:41], v[22:23]
	s_waitcnt lgkmcnt(2)
	v_fmac_f64_e32 v[2:3], v[38:39], v[50:51]
	v_fmac_f64_e32 v[0:1], v[40:41], v[50:51]
	ds_read2_b64 v[38:41], v20 offset0:128 offset1:144
	v_fmac_f64_e32 v[10:11], v[42:43], v[24:25]
	v_fmac_f64_e32 v[6:7], v[44:45], v[24:25]
	ds_read_b128 v[22:25], v21 offset:1056
	v_fmac_f64_e32 v[2:3], v[42:43], v[52:53]
	v_fmac_f64_e32 v[0:1], v[44:45], v[52:53]
	ds_read2_b64 v[42:45], v20 offset0:160 offset1:176
	ds_read2_b64 v[50:53], v20 offset0:192 offset1:208
	v_fmac_f64_e32 v[10:11], v[46:47], v[26:27]
	v_fmac_f64_e32 v[6:7], v[48:49], v[26:27]
	s_waitcnt lgkmcnt(5)
	v_fmac_f64_e32 v[2:3], v[46:47], v[54:55]
	v_fmac_f64_e32 v[0:1], v[48:49], v[54:55]
	ds_read_b128 v[46:49], v21 offset:1072
	s_waitcnt lgkmcnt(5)
	v_fmac_f64_e32 v[10:11], v[58:59], v[28:29]
	v_fmac_f64_e32 v[6:7], v[60:61], v[28:29]
	ds_read2_b64 v[26:29], v20 offset0:224 offset1:240
	v_fmac_f64_e32 v[2:3], v[58:59], v[56:57]
	v_fmac_f64_e32 v[0:1], v[60:61], v[56:57]
	s_waitcnt lgkmcnt(5)
	v_fmac_f64_e32 v[10:11], v[38:39], v[30:31]
	v_fmac_f64_e32 v[6:7], v[40:41], v[30:31]
	s_waitcnt lgkmcnt(4)
	;; [unrolled: 3-line block ×3, first 2 shown]
	v_fmac_f64_e32 v[10:11], v[42:43], v[32:33]
	v_fmac_f64_e32 v[6:7], v[44:45], v[32:33]
	;; [unrolled: 1-line block ×4, first 2 shown]
	s_waitcnt lgkmcnt(2)
	v_fmac_f64_e32 v[10:11], v[50:51], v[34:35]
	v_fmac_f64_e32 v[6:7], v[52:53], v[34:35]
	s_waitcnt lgkmcnt(1)
	v_fmac_f64_e32 v[2:3], v[50:51], v[46:47]
	v_fmac_f64_e32 v[0:1], v[52:53], v[46:47]
	;; [unrolled: 3-line block ×3, first 2 shown]
	v_fmac_f64_e32 v[2:3], v[26:27], v[48:49]
	v_fmac_f64_e32 v[0:1], v[28:29], v[48:49]
	s_barrier
	s_cbranch_vccnz .LBB74_2
	s_branch .LBB74_4
.LBB74_3:
	v_mov_b64_e32 v[10:11], 0
	v_mov_b64_e32 v[6:7], 0
	;; [unrolled: 1-line block ×4, first 2 shown]
.LBB74_4:
	s_load_dwordx8 s[20:27], s[0:1], 0x70
	s_load_dwordx8 s[12:19], s[0:1], 0x50
	v_lshl_add_u64 v[8:9], s[6:7], 0, v[8:9]
	v_lshl_add_u64 v[4:5], s[2:3], 0, v[4:5]
	s_mov_b64 s[6:7], 0
	s_waitcnt lgkmcnt(0)
	s_mul_i32 s1, s25, s4
	s_mul_hi_u32 s5, s24, s4
	s_mul_i32 s0, s24, s4
	s_add_i32 s1, s5, s1
	s_lshl_b64 s[0:1], s[0:1], 3
	s_add_u32 s0, s20, s0
	v_cmp_neq_f64_e64 s[8:9], s[12:13], 0
	s_addc_u32 s1, s21, s1
	s_and_b64 vcc, exec, s[8:9]
	v_mul_lo_u32 v12, v9, s22
	v_mul_lo_u32 v13, v8, s23
	v_lshlrev_b64 v[4:5], 3, v[4:5]
	s_cbranch_vccnz .LBB74_8
; %bb.5:
	v_mad_u64_u32 v[14:15], s[2:3], v8, s22, 0
	v_add3_u32 v15, v15, v13, v12
	v_lshl_add_u64 v[14:15], v[14:15], 3, s[0:1]
	v_mul_f64 v[16:17], s[10:11], v[10:11]
	v_lshl_add_u64 v[18:19], v[14:15], 0, v[4:5]
	s_lshl_b64 s[2:3], s[22:23], 7
	global_store_dwordx2 v[18:19], v[16:17], off
	v_mul_f64 v[16:17], s[10:11], v[6:7]
	v_lshl_add_u64 v[14:15], v[14:15], 0, s[2:3]
	global_store_dwordx2 v[18:19], v[16:17], off offset:128
	v_mul_f64 v[16:17], s[10:11], v[2:3]
	v_lshl_add_u64 v[14:15], v[14:15], 0, v[4:5]
	global_store_dwordx2 v[14:15], v[16:17], off
	v_mul_f64 v[16:17], s[10:11], v[0:1]
	global_store_dwordx2 v[14:15], v[16:17], off offset:128
	s_andn2_b64 vcc, exec, s[6:7]
	s_cbranch_vccnz .LBB74_7
.LBB74_6:
	s_mul_i32 s2, s19, s4
	s_mul_hi_u32 s3, s18, s4
	s_add_i32 s3, s3, s2
	s_mul_i32 s2, s18, s4
	s_lshl_b64 s[2:3], s[2:3], 3
	s_add_u32 s2, s14, s2
	v_mul_lo_u32 v9, v9, s16
	v_mul_lo_u32 v16, v8, s17
	v_mad_u64_u32 v[14:15], s[4:5], v8, s16, 0
	s_addc_u32 s3, s15, s3
	v_add3_u32 v15, v15, v16, v9
	v_lshl_add_u64 v[14:15], v[14:15], 3, s[2:3]
	v_lshl_add_u64 v[16:17], v[14:15], 0, v[4:5]
	global_load_dwordx2 v[18:19], v[16:17], off
	v_mad_u64_u32 v[8:9], s[2:3], v8, s22, 0
	v_add3_u32 v9, v9, v13, v12
	v_lshl_add_u64 v[8:9], v[8:9], 3, s[0:1]
	v_lshl_add_u64 v[12:13], v[8:9], 0, v[4:5]
	s_lshl_b64 s[0:1], s[16:17], 7
	v_lshl_add_u64 v[14:15], v[14:15], 0, s[0:1]
	v_lshl_add_u64 v[14:15], v[14:15], 0, v[4:5]
	s_lshl_b64 s[0:1], s[22:23], 7
	v_lshl_add_u64 v[8:9], v[8:9], 0, s[0:1]
	s_waitcnt vmcnt(0)
	v_mul_f64 v[18:19], s[12:13], v[18:19]
	v_fmac_f64_e32 v[18:19], s[10:11], v[10:11]
	global_store_dwordx2 v[12:13], v[18:19], off
	global_load_dwordx2 v[10:11], v[16:17], off offset:128
	s_waitcnt vmcnt(0)
	v_mul_f64 v[10:11], s[12:13], v[10:11]
	v_fmac_f64_e32 v[10:11], s[10:11], v[6:7]
	global_store_dwordx2 v[12:13], v[10:11], off offset:128
	global_load_dwordx2 v[6:7], v[14:15], off
	s_waitcnt vmcnt(0)
	v_mul_f64 v[6:7], s[12:13], v[6:7]
	v_fmac_f64_e32 v[6:7], s[10:11], v[2:3]
	v_lshl_add_u64 v[2:3], v[8:9], 0, v[4:5]
	global_store_dwordx2 v[2:3], v[6:7], off
	global_load_dwordx2 v[4:5], v[14:15], off offset:128
	s_waitcnt vmcnt(0)
	v_mul_f64 v[4:5], s[12:13], v[4:5]
	v_fmac_f64_e32 v[4:5], s[10:11], v[0:1]
	global_store_dwordx2 v[2:3], v[4:5], off offset:128
.LBB74_7:
	s_endpgm
.LBB74_8:
	s_branch .LBB74_6
	.section	.rodata,"a",@progbits
	.p2align	6, 0x0
	.amdhsa_kernel _ZN12_GLOBAL__N_127rocblas_gemm_batched_kernelIdLi16ELi16ELi32ELi32ELi8ELi32ELi8ELi8ELi32ELc67ELc78EKdS1_dEEvlllT_PT11_llS4_llS2_PT12_llPT13_lli
		.amdhsa_group_segment_fixed_size 4096
		.amdhsa_private_segment_fixed_size 0
		.amdhsa_kernarg_size 140
		.amdhsa_user_sgpr_count 2
		.amdhsa_user_sgpr_dispatch_ptr 0
		.amdhsa_user_sgpr_queue_ptr 0
		.amdhsa_user_sgpr_kernarg_segment_ptr 1
		.amdhsa_user_sgpr_dispatch_id 0
		.amdhsa_user_sgpr_kernarg_preload_length 0
		.amdhsa_user_sgpr_kernarg_preload_offset 0
		.amdhsa_user_sgpr_private_segment_size 0
		.amdhsa_uses_dynamic_stack 0
		.amdhsa_enable_private_segment 0
		.amdhsa_system_sgpr_workgroup_id_x 1
		.amdhsa_system_sgpr_workgroup_id_y 1
		.amdhsa_system_sgpr_workgroup_id_z 1
		.amdhsa_system_sgpr_workgroup_info 0
		.amdhsa_system_vgpr_workitem_id 1
		.amdhsa_next_free_vgpr 62
		.amdhsa_next_free_sgpr 28
		.amdhsa_accum_offset 64
		.amdhsa_reserve_vcc 1
		.amdhsa_float_round_mode_32 0
		.amdhsa_float_round_mode_16_64 0
		.amdhsa_float_denorm_mode_32 3
		.amdhsa_float_denorm_mode_16_64 3
		.amdhsa_dx10_clamp 1
		.amdhsa_ieee_mode 1
		.amdhsa_fp16_overflow 0
		.amdhsa_tg_split 0
		.amdhsa_exception_fp_ieee_invalid_op 0
		.amdhsa_exception_fp_denorm_src 0
		.amdhsa_exception_fp_ieee_div_zero 0
		.amdhsa_exception_fp_ieee_overflow 0
		.amdhsa_exception_fp_ieee_underflow 0
		.amdhsa_exception_fp_ieee_inexact 0
		.amdhsa_exception_int_div_zero 0
	.end_amdhsa_kernel
	.section	.text._ZN12_GLOBAL__N_127rocblas_gemm_batched_kernelIdLi16ELi16ELi32ELi32ELi8ELi32ELi8ELi8ELi32ELc67ELc78EKdS1_dEEvlllT_PT11_llS4_llS2_PT12_llPT13_lli,"axG",@progbits,_ZN12_GLOBAL__N_127rocblas_gemm_batched_kernelIdLi16ELi16ELi32ELi32ELi8ELi32ELi8ELi8ELi32ELc67ELc78EKdS1_dEEvlllT_PT11_llS4_llS2_PT12_llPT13_lli,comdat
.Lfunc_end74:
	.size	_ZN12_GLOBAL__N_127rocblas_gemm_batched_kernelIdLi16ELi16ELi32ELi32ELi8ELi32ELi8ELi8ELi32ELc67ELc78EKdS1_dEEvlllT_PT11_llS4_llS2_PT12_llPT13_lli, .Lfunc_end74-_ZN12_GLOBAL__N_127rocblas_gemm_batched_kernelIdLi16ELi16ELi32ELi32ELi8ELi32ELi8ELi8ELi32ELc67ELc78EKdS1_dEEvlllT_PT11_llS4_llS2_PT12_llPT13_lli
                                        ; -- End function
	.set _ZN12_GLOBAL__N_127rocblas_gemm_batched_kernelIdLi16ELi16ELi32ELi32ELi8ELi32ELi8ELi8ELi32ELc67ELc78EKdS1_dEEvlllT_PT11_llS4_llS2_PT12_llPT13_lli.num_vgpr, 62
	.set _ZN12_GLOBAL__N_127rocblas_gemm_batched_kernelIdLi16ELi16ELi32ELi32ELi8ELi32ELi8ELi8ELi32ELc67ELc78EKdS1_dEEvlllT_PT11_llS4_llS2_PT12_llPT13_lli.num_agpr, 0
	.set _ZN12_GLOBAL__N_127rocblas_gemm_batched_kernelIdLi16ELi16ELi32ELi32ELi8ELi32ELi8ELi8ELi32ELc67ELc78EKdS1_dEEvlllT_PT11_llS4_llS2_PT12_llPT13_lli.numbered_sgpr, 28
	.set _ZN12_GLOBAL__N_127rocblas_gemm_batched_kernelIdLi16ELi16ELi32ELi32ELi8ELi32ELi8ELi8ELi32ELc67ELc78EKdS1_dEEvlllT_PT11_llS4_llS2_PT12_llPT13_lli.num_named_barrier, 0
	.set _ZN12_GLOBAL__N_127rocblas_gemm_batched_kernelIdLi16ELi16ELi32ELi32ELi8ELi32ELi8ELi8ELi32ELc67ELc78EKdS1_dEEvlllT_PT11_llS4_llS2_PT12_llPT13_lli.private_seg_size, 0
	.set _ZN12_GLOBAL__N_127rocblas_gemm_batched_kernelIdLi16ELi16ELi32ELi32ELi8ELi32ELi8ELi8ELi32ELc67ELc78EKdS1_dEEvlllT_PT11_llS4_llS2_PT12_llPT13_lli.uses_vcc, 1
	.set _ZN12_GLOBAL__N_127rocblas_gemm_batched_kernelIdLi16ELi16ELi32ELi32ELi8ELi32ELi8ELi8ELi32ELc67ELc78EKdS1_dEEvlllT_PT11_llS4_llS2_PT12_llPT13_lli.uses_flat_scratch, 0
	.set _ZN12_GLOBAL__N_127rocblas_gemm_batched_kernelIdLi16ELi16ELi32ELi32ELi8ELi32ELi8ELi8ELi32ELc67ELc78EKdS1_dEEvlllT_PT11_llS4_llS2_PT12_llPT13_lli.has_dyn_sized_stack, 0
	.set _ZN12_GLOBAL__N_127rocblas_gemm_batched_kernelIdLi16ELi16ELi32ELi32ELi8ELi32ELi8ELi8ELi32ELc67ELc78EKdS1_dEEvlllT_PT11_llS4_llS2_PT12_llPT13_lli.has_recursion, 0
	.set _ZN12_GLOBAL__N_127rocblas_gemm_batched_kernelIdLi16ELi16ELi32ELi32ELi8ELi32ELi8ELi8ELi32ELc67ELc78EKdS1_dEEvlllT_PT11_llS4_llS2_PT12_llPT13_lli.has_indirect_call, 0
	.section	.AMDGPU.csdata,"",@progbits
; Kernel info:
; codeLenInByte = 1280
; TotalNumSgprs: 34
; NumVgprs: 62
; NumAgprs: 0
; TotalNumVgprs: 62
; ScratchSize: 0
; MemoryBound: 0
; FloatMode: 240
; IeeeMode: 1
; LDSByteSize: 4096 bytes/workgroup (compile time only)
; SGPRBlocks: 4
; VGPRBlocks: 7
; NumSGPRsForWavesPerEU: 34
; NumVGPRsForWavesPerEU: 62
; AccumOffset: 64
; Occupancy: 8
; WaveLimiterHint : 1
; COMPUTE_PGM_RSRC2:SCRATCH_EN: 0
; COMPUTE_PGM_RSRC2:USER_SGPR: 2
; COMPUTE_PGM_RSRC2:TRAP_HANDLER: 0
; COMPUTE_PGM_RSRC2:TGID_X_EN: 1
; COMPUTE_PGM_RSRC2:TGID_Y_EN: 1
; COMPUTE_PGM_RSRC2:TGID_Z_EN: 1
; COMPUTE_PGM_RSRC2:TIDIG_COMP_CNT: 1
; COMPUTE_PGM_RSRC3_GFX90A:ACCUM_OFFSET: 15
; COMPUTE_PGM_RSRC3_GFX90A:TG_SPLIT: 0
	.section	.text._ZN12_GLOBAL__N_127rocblas_gemm_batched_kernelIdLi16ELi16ELi32ELi32ELi8ELi32ELi8ELi8ELi32ELc67ELc84EKdS1_dEEvlllT_PT11_llS4_llS2_PT12_llPT13_lli,"axG",@progbits,_ZN12_GLOBAL__N_127rocblas_gemm_batched_kernelIdLi16ELi16ELi32ELi32ELi8ELi32ELi8ELi8ELi32ELc67ELc84EKdS1_dEEvlllT_PT11_llS4_llS2_PT12_llPT13_lli,comdat
	.globl	_ZN12_GLOBAL__N_127rocblas_gemm_batched_kernelIdLi16ELi16ELi32ELi32ELi8ELi32ELi8ELi8ELi32ELc67ELc84EKdS1_dEEvlllT_PT11_llS4_llS2_PT12_llPT13_lli ; -- Begin function _ZN12_GLOBAL__N_127rocblas_gemm_batched_kernelIdLi16ELi16ELi32ELi32ELi8ELi32ELi8ELi8ELi32ELc67ELc84EKdS1_dEEvlllT_PT11_llS4_llS2_PT12_llPT13_lli
	.p2align	8
	.type	_ZN12_GLOBAL__N_127rocblas_gemm_batched_kernelIdLi16ELi16ELi32ELi32ELi8ELi32ELi8ELi8ELi32ELc67ELc84EKdS1_dEEvlllT_PT11_llS4_llS2_PT12_llPT13_lli,@function
_ZN12_GLOBAL__N_127rocblas_gemm_batched_kernelIdLi16ELi16ELi32ELi32ELi8ELi32ELi8ELi8ELi32ELc67ELc84EKdS1_dEEvlllT_PT11_llS4_llS2_PT12_llPT13_lli: ; @_ZN12_GLOBAL__N_127rocblas_gemm_batched_kernelIdLi16ELi16ELi32ELi32ELi8ELi32ELi8ELi8ELi32ELc67ELc84EKdS1_dEEvlllT_PT11_llS4_llS2_PT12_llPT13_lli
; %bb.0:
	s_load_dwordx16 s[8:23], s[0:1], 0x10
	s_mov_b32 s6, s3
	v_mov_b32_e32 v9, 0
	s_ashr_i32 s3, s2, 31
	s_ashr_i32 s7, s6, 31
	s_waitcnt lgkmcnt(0)
	v_cmp_lt_i64_e64 s[24:25], s[8:9], 1
	v_bfe_u32 v8, v0, 10, 10
	v_and_b32_e32 v4, 0x3ff, v0
	v_mov_b32_e32 v5, v9
	s_lshl_b64 s[2:3], s[2:3], 5
	s_lshl_b64 s[6:7], s[6:7], 5
	s_and_b64 vcc, exec, s[24:25]
	s_cbranch_vccnz .LBB75_3
; %bb.1:
	v_lshl_add_u32 v6, v8, 4, v4
	v_and_b32_e32 v2, 31, v6
	v_lshrrev_b32_e32 v0, 3, v6
	v_and_b32_e32 v7, 7, v4
	v_lshrrev_b32_e32 v10, 5, v6
	v_lshlrev_b32_e32 v6, 3, v2
	v_lshl_or_b32 v18, v10, 8, v6
	v_lshlrev_b32_e32 v6, 3, v7
	v_mov_b32_e32 v1, v9
	v_lshl_or_b32 v6, v0, 6, v6
	v_add_u32_e32 v19, 0x800, v6
	v_mov_b32_e32 v6, 0x800
	s_mul_i32 s5, s23, s4
	s_mul_hi_u32 s23, s22, s4
	v_mad_u64_u32 v[0:1], s[24:25], s20, v7, v[0:1]
	v_lshl_add_u32 v21, v8, 6, v6
	s_add_i32 s23, s23, s5
	s_mul_i32 s22, s22, s4
	v_mov_b32_e32 v6, v1
	s_lshl_b64 s[22:23], s[22:23], 3
	v_mad_u64_u32 v[6:7], s[24:25], s21, v7, v[6:7]
	v_mov_b32_e32 v1, v6
	s_add_u32 s18, s18, s22
	v_mov_b32_e32 v3, v9
	v_lshl_add_u64 v[0:1], v[0:1], 0, s[6:7]
	s_addc_u32 s19, s19, s23
	v_lshl_add_u64 v[12:13], v[0:1], 3, s[18:19]
	v_lshl_add_u64 v[0:1], s[2:3], 0, v[2:3]
	v_mul_lo_u32 v2, s15, v0
	v_mul_lo_u32 v3, s14, v1
	v_mad_u64_u32 v[0:1], s[14:15], s14, v0, 0
	s_mul_i32 s5, s17, s4
	s_mul_hi_u32 s14, s16, s4
	s_add_i32 s15, s14, s5
	s_mul_i32 s14, s16, s4
	v_add3_u32 v1, v1, v3, v2
	s_lshl_b64 s[14:15], s[14:15], 3
	v_lshl_add_u64 v[0:1], v[0:1], 3, s[14:15]
	v_lshlrev_b32_e32 v2, 3, v10
	v_mov_b32_e32 v3, v9
	v_lshl_add_u64 v[0:1], v[0:1], 0, v[2:3]
	v_lshlrev_b32_e32 v20, 3, v4
	s_lshl_b64 s[18:19], s[20:21], 6
	v_lshl_add_u64 v[14:15], s[12:13], 0, v[0:1]
	s_mov_b64 s[12:13], 0
	v_mov_b64_e32 v[0:1], 0
	v_mov_b64_e32 v[16:17], s[8:9]
	;; [unrolled: 1-line block ×5, first 2 shown]
.LBB75_2:                               ; =>This Inner Loop Header: Depth=1
	global_load_dwordx2 v[22:23], v[14:15], off
	global_load_dwordx2 v[24:25], v[12:13], off
	s_add_u32 s12, s12, 8
	s_addc_u32 s13, s13, 0
	v_cmp_lt_i64_e32 vcc, s[12:13], v[16:17]
	v_lshl_add_u64 v[12:13], v[12:13], 0, s[18:19]
	v_lshl_add_u64 v[14:15], v[14:15], 0, 64
	s_and_b64 vcc, exec, vcc
	s_waitcnt vmcnt(1)
	ds_write_b64 v18, v[22:23]
	s_waitcnt vmcnt(0)
	ds_write_b64 v19, v[24:25]
	s_waitcnt lgkmcnt(0)
	s_barrier
	ds_read_b128 v[22:25], v21
	ds_read_b128 v[26:29], v21 offset:16
	ds_read_b128 v[30:33], v21 offset:32
	;; [unrolled: 1-line block ×3, first 2 shown]
	ds_read2_b64 v[38:41], v20 offset1:16
	ds_read2_b64 v[42:45], v20 offset0:32 offset1:48
	ds_read2_b64 v[46:49], v20 offset0:64 offset1:80
	ds_read_b128 v[50:53], v21 offset:1024
	ds_read_b128 v[54:57], v21 offset:1040
	ds_read2_b64 v[58:61], v20 offset0:96 offset1:112
	s_waitcnt lgkmcnt(5)
	v_fmac_f64_e32 v[10:11], v[38:39], v[22:23]
	v_fmac_f64_e32 v[6:7], v[40:41], v[22:23]
	s_waitcnt lgkmcnt(2)
	v_fmac_f64_e32 v[2:3], v[38:39], v[50:51]
	v_fmac_f64_e32 v[0:1], v[40:41], v[50:51]
	ds_read2_b64 v[38:41], v20 offset0:128 offset1:144
	v_fmac_f64_e32 v[10:11], v[42:43], v[24:25]
	v_fmac_f64_e32 v[6:7], v[44:45], v[24:25]
	ds_read_b128 v[22:25], v21 offset:1056
	v_fmac_f64_e32 v[2:3], v[42:43], v[52:53]
	v_fmac_f64_e32 v[0:1], v[44:45], v[52:53]
	ds_read2_b64 v[42:45], v20 offset0:160 offset1:176
	ds_read2_b64 v[50:53], v20 offset0:192 offset1:208
	v_fmac_f64_e32 v[10:11], v[46:47], v[26:27]
	v_fmac_f64_e32 v[6:7], v[48:49], v[26:27]
	s_waitcnt lgkmcnt(5)
	v_fmac_f64_e32 v[2:3], v[46:47], v[54:55]
	v_fmac_f64_e32 v[0:1], v[48:49], v[54:55]
	ds_read_b128 v[46:49], v21 offset:1072
	s_waitcnt lgkmcnt(5)
	v_fmac_f64_e32 v[10:11], v[58:59], v[28:29]
	v_fmac_f64_e32 v[6:7], v[60:61], v[28:29]
	ds_read2_b64 v[26:29], v20 offset0:224 offset1:240
	v_fmac_f64_e32 v[2:3], v[58:59], v[56:57]
	v_fmac_f64_e32 v[0:1], v[60:61], v[56:57]
	s_waitcnt lgkmcnt(5)
	v_fmac_f64_e32 v[10:11], v[38:39], v[30:31]
	v_fmac_f64_e32 v[6:7], v[40:41], v[30:31]
	s_waitcnt lgkmcnt(4)
	;; [unrolled: 3-line block ×3, first 2 shown]
	v_fmac_f64_e32 v[10:11], v[42:43], v[32:33]
	v_fmac_f64_e32 v[6:7], v[44:45], v[32:33]
	v_fmac_f64_e32 v[2:3], v[42:43], v[24:25]
	v_fmac_f64_e32 v[0:1], v[44:45], v[24:25]
	s_waitcnt lgkmcnt(2)
	v_fmac_f64_e32 v[10:11], v[50:51], v[34:35]
	v_fmac_f64_e32 v[6:7], v[52:53], v[34:35]
	s_waitcnt lgkmcnt(1)
	v_fmac_f64_e32 v[2:3], v[50:51], v[46:47]
	v_fmac_f64_e32 v[0:1], v[52:53], v[46:47]
	;; [unrolled: 3-line block ×3, first 2 shown]
	v_fmac_f64_e32 v[2:3], v[26:27], v[48:49]
	v_fmac_f64_e32 v[0:1], v[28:29], v[48:49]
	s_barrier
	s_cbranch_vccnz .LBB75_2
	s_branch .LBB75_4
.LBB75_3:
	v_mov_b64_e32 v[10:11], 0
	v_mov_b64_e32 v[6:7], 0
	;; [unrolled: 1-line block ×4, first 2 shown]
.LBB75_4:
	s_load_dwordx8 s[20:27], s[0:1], 0x70
	s_load_dwordx8 s[12:19], s[0:1], 0x50
	v_lshl_add_u64 v[8:9], s[6:7], 0, v[8:9]
	v_lshl_add_u64 v[4:5], s[2:3], 0, v[4:5]
	s_mov_b64 s[6:7], 0
	s_waitcnt lgkmcnt(0)
	s_mul_i32 s1, s25, s4
	s_mul_hi_u32 s5, s24, s4
	s_mul_i32 s0, s24, s4
	s_add_i32 s1, s5, s1
	s_lshl_b64 s[0:1], s[0:1], 3
	s_add_u32 s0, s20, s0
	v_cmp_neq_f64_e64 s[8:9], s[12:13], 0
	s_addc_u32 s1, s21, s1
	s_and_b64 vcc, exec, s[8:9]
	v_mul_lo_u32 v12, v9, s22
	v_mul_lo_u32 v13, v8, s23
	v_lshlrev_b64 v[4:5], 3, v[4:5]
	s_cbranch_vccnz .LBB75_8
; %bb.5:
	v_mad_u64_u32 v[14:15], s[2:3], v8, s22, 0
	v_add3_u32 v15, v15, v13, v12
	v_lshl_add_u64 v[14:15], v[14:15], 3, s[0:1]
	v_mul_f64 v[16:17], s[10:11], v[10:11]
	v_lshl_add_u64 v[18:19], v[14:15], 0, v[4:5]
	s_lshl_b64 s[2:3], s[22:23], 7
	global_store_dwordx2 v[18:19], v[16:17], off
	v_mul_f64 v[16:17], s[10:11], v[6:7]
	v_lshl_add_u64 v[14:15], v[14:15], 0, s[2:3]
	global_store_dwordx2 v[18:19], v[16:17], off offset:128
	v_mul_f64 v[16:17], s[10:11], v[2:3]
	v_lshl_add_u64 v[14:15], v[14:15], 0, v[4:5]
	global_store_dwordx2 v[14:15], v[16:17], off
	v_mul_f64 v[16:17], s[10:11], v[0:1]
	global_store_dwordx2 v[14:15], v[16:17], off offset:128
	s_andn2_b64 vcc, exec, s[6:7]
	s_cbranch_vccnz .LBB75_7
.LBB75_6:
	s_mul_i32 s2, s19, s4
	s_mul_hi_u32 s3, s18, s4
	s_add_i32 s3, s3, s2
	s_mul_i32 s2, s18, s4
	s_lshl_b64 s[2:3], s[2:3], 3
	s_add_u32 s2, s14, s2
	v_mul_lo_u32 v9, v9, s16
	v_mul_lo_u32 v16, v8, s17
	v_mad_u64_u32 v[14:15], s[4:5], v8, s16, 0
	s_addc_u32 s3, s15, s3
	v_add3_u32 v15, v15, v16, v9
	v_lshl_add_u64 v[14:15], v[14:15], 3, s[2:3]
	v_lshl_add_u64 v[16:17], v[14:15], 0, v[4:5]
	global_load_dwordx2 v[18:19], v[16:17], off
	v_mad_u64_u32 v[8:9], s[2:3], v8, s22, 0
	v_add3_u32 v9, v9, v13, v12
	v_lshl_add_u64 v[8:9], v[8:9], 3, s[0:1]
	v_lshl_add_u64 v[12:13], v[8:9], 0, v[4:5]
	s_lshl_b64 s[0:1], s[16:17], 7
	v_lshl_add_u64 v[14:15], v[14:15], 0, s[0:1]
	v_lshl_add_u64 v[14:15], v[14:15], 0, v[4:5]
	s_lshl_b64 s[0:1], s[22:23], 7
	v_lshl_add_u64 v[8:9], v[8:9], 0, s[0:1]
	s_waitcnt vmcnt(0)
	v_mul_f64 v[18:19], s[12:13], v[18:19]
	v_fmac_f64_e32 v[18:19], s[10:11], v[10:11]
	global_store_dwordx2 v[12:13], v[18:19], off
	global_load_dwordx2 v[10:11], v[16:17], off offset:128
	s_waitcnt vmcnt(0)
	v_mul_f64 v[10:11], s[12:13], v[10:11]
	v_fmac_f64_e32 v[10:11], s[10:11], v[6:7]
	global_store_dwordx2 v[12:13], v[10:11], off offset:128
	global_load_dwordx2 v[6:7], v[14:15], off
	s_waitcnt vmcnt(0)
	v_mul_f64 v[6:7], s[12:13], v[6:7]
	v_fmac_f64_e32 v[6:7], s[10:11], v[2:3]
	v_lshl_add_u64 v[2:3], v[8:9], 0, v[4:5]
	global_store_dwordx2 v[2:3], v[6:7], off
	global_load_dwordx2 v[4:5], v[14:15], off offset:128
	s_waitcnt vmcnt(0)
	v_mul_f64 v[4:5], s[12:13], v[4:5]
	v_fmac_f64_e32 v[4:5], s[10:11], v[0:1]
	global_store_dwordx2 v[2:3], v[4:5], off offset:128
.LBB75_7:
	s_endpgm
.LBB75_8:
	s_branch .LBB75_6
	.section	.rodata,"a",@progbits
	.p2align	6, 0x0
	.amdhsa_kernel _ZN12_GLOBAL__N_127rocblas_gemm_batched_kernelIdLi16ELi16ELi32ELi32ELi8ELi32ELi8ELi8ELi32ELc67ELc84EKdS1_dEEvlllT_PT11_llS4_llS2_PT12_llPT13_lli
		.amdhsa_group_segment_fixed_size 4096
		.amdhsa_private_segment_fixed_size 0
		.amdhsa_kernarg_size 140
		.amdhsa_user_sgpr_count 2
		.amdhsa_user_sgpr_dispatch_ptr 0
		.amdhsa_user_sgpr_queue_ptr 0
		.amdhsa_user_sgpr_kernarg_segment_ptr 1
		.amdhsa_user_sgpr_dispatch_id 0
		.amdhsa_user_sgpr_kernarg_preload_length 0
		.amdhsa_user_sgpr_kernarg_preload_offset 0
		.amdhsa_user_sgpr_private_segment_size 0
		.amdhsa_uses_dynamic_stack 0
		.amdhsa_enable_private_segment 0
		.amdhsa_system_sgpr_workgroup_id_x 1
		.amdhsa_system_sgpr_workgroup_id_y 1
		.amdhsa_system_sgpr_workgroup_id_z 1
		.amdhsa_system_sgpr_workgroup_info 0
		.amdhsa_system_vgpr_workitem_id 1
		.amdhsa_next_free_vgpr 62
		.amdhsa_next_free_sgpr 28
		.amdhsa_accum_offset 64
		.amdhsa_reserve_vcc 1
		.amdhsa_float_round_mode_32 0
		.amdhsa_float_round_mode_16_64 0
		.amdhsa_float_denorm_mode_32 3
		.amdhsa_float_denorm_mode_16_64 3
		.amdhsa_dx10_clamp 1
		.amdhsa_ieee_mode 1
		.amdhsa_fp16_overflow 0
		.amdhsa_tg_split 0
		.amdhsa_exception_fp_ieee_invalid_op 0
		.amdhsa_exception_fp_denorm_src 0
		.amdhsa_exception_fp_ieee_div_zero 0
		.amdhsa_exception_fp_ieee_overflow 0
		.amdhsa_exception_fp_ieee_underflow 0
		.amdhsa_exception_fp_ieee_inexact 0
		.amdhsa_exception_int_div_zero 0
	.end_amdhsa_kernel
	.section	.text._ZN12_GLOBAL__N_127rocblas_gemm_batched_kernelIdLi16ELi16ELi32ELi32ELi8ELi32ELi8ELi8ELi32ELc67ELc84EKdS1_dEEvlllT_PT11_llS4_llS2_PT12_llPT13_lli,"axG",@progbits,_ZN12_GLOBAL__N_127rocblas_gemm_batched_kernelIdLi16ELi16ELi32ELi32ELi8ELi32ELi8ELi8ELi32ELc67ELc84EKdS1_dEEvlllT_PT11_llS4_llS2_PT12_llPT13_lli,comdat
.Lfunc_end75:
	.size	_ZN12_GLOBAL__N_127rocblas_gemm_batched_kernelIdLi16ELi16ELi32ELi32ELi8ELi32ELi8ELi8ELi32ELc67ELc84EKdS1_dEEvlllT_PT11_llS4_llS2_PT12_llPT13_lli, .Lfunc_end75-_ZN12_GLOBAL__N_127rocblas_gemm_batched_kernelIdLi16ELi16ELi32ELi32ELi8ELi32ELi8ELi8ELi32ELc67ELc84EKdS1_dEEvlllT_PT11_llS4_llS2_PT12_llPT13_lli
                                        ; -- End function
	.set _ZN12_GLOBAL__N_127rocblas_gemm_batched_kernelIdLi16ELi16ELi32ELi32ELi8ELi32ELi8ELi8ELi32ELc67ELc84EKdS1_dEEvlllT_PT11_llS4_llS2_PT12_llPT13_lli.num_vgpr, 62
	.set _ZN12_GLOBAL__N_127rocblas_gemm_batched_kernelIdLi16ELi16ELi32ELi32ELi8ELi32ELi8ELi8ELi32ELc67ELc84EKdS1_dEEvlllT_PT11_llS4_llS2_PT12_llPT13_lli.num_agpr, 0
	.set _ZN12_GLOBAL__N_127rocblas_gemm_batched_kernelIdLi16ELi16ELi32ELi32ELi8ELi32ELi8ELi8ELi32ELc67ELc84EKdS1_dEEvlllT_PT11_llS4_llS2_PT12_llPT13_lli.numbered_sgpr, 28
	.set _ZN12_GLOBAL__N_127rocblas_gemm_batched_kernelIdLi16ELi16ELi32ELi32ELi8ELi32ELi8ELi8ELi32ELc67ELc84EKdS1_dEEvlllT_PT11_llS4_llS2_PT12_llPT13_lli.num_named_barrier, 0
	.set _ZN12_GLOBAL__N_127rocblas_gemm_batched_kernelIdLi16ELi16ELi32ELi32ELi8ELi32ELi8ELi8ELi32ELc67ELc84EKdS1_dEEvlllT_PT11_llS4_llS2_PT12_llPT13_lli.private_seg_size, 0
	.set _ZN12_GLOBAL__N_127rocblas_gemm_batched_kernelIdLi16ELi16ELi32ELi32ELi8ELi32ELi8ELi8ELi32ELc67ELc84EKdS1_dEEvlllT_PT11_llS4_llS2_PT12_llPT13_lli.uses_vcc, 1
	.set _ZN12_GLOBAL__N_127rocblas_gemm_batched_kernelIdLi16ELi16ELi32ELi32ELi8ELi32ELi8ELi8ELi32ELc67ELc84EKdS1_dEEvlllT_PT11_llS4_llS2_PT12_llPT13_lli.uses_flat_scratch, 0
	.set _ZN12_GLOBAL__N_127rocblas_gemm_batched_kernelIdLi16ELi16ELi32ELi32ELi8ELi32ELi8ELi8ELi32ELc67ELc84EKdS1_dEEvlllT_PT11_llS4_llS2_PT12_llPT13_lli.has_dyn_sized_stack, 0
	.set _ZN12_GLOBAL__N_127rocblas_gemm_batched_kernelIdLi16ELi16ELi32ELi32ELi8ELi32ELi8ELi8ELi32ELc67ELc84EKdS1_dEEvlllT_PT11_llS4_llS2_PT12_llPT13_lli.has_recursion, 0
	.set _ZN12_GLOBAL__N_127rocblas_gemm_batched_kernelIdLi16ELi16ELi32ELi32ELi8ELi32ELi8ELi8ELi32ELc67ELc84EKdS1_dEEvlllT_PT11_llS4_llS2_PT12_llPT13_lli.has_indirect_call, 0
	.section	.AMDGPU.csdata,"",@progbits
; Kernel info:
; codeLenInByte = 1264
; TotalNumSgprs: 34
; NumVgprs: 62
; NumAgprs: 0
; TotalNumVgprs: 62
; ScratchSize: 0
; MemoryBound: 0
; FloatMode: 240
; IeeeMode: 1
; LDSByteSize: 4096 bytes/workgroup (compile time only)
; SGPRBlocks: 4
; VGPRBlocks: 7
; NumSGPRsForWavesPerEU: 34
; NumVGPRsForWavesPerEU: 62
; AccumOffset: 64
; Occupancy: 8
; WaveLimiterHint : 1
; COMPUTE_PGM_RSRC2:SCRATCH_EN: 0
; COMPUTE_PGM_RSRC2:USER_SGPR: 2
; COMPUTE_PGM_RSRC2:TRAP_HANDLER: 0
; COMPUTE_PGM_RSRC2:TGID_X_EN: 1
; COMPUTE_PGM_RSRC2:TGID_Y_EN: 1
; COMPUTE_PGM_RSRC2:TGID_Z_EN: 1
; COMPUTE_PGM_RSRC2:TIDIG_COMP_CNT: 1
; COMPUTE_PGM_RSRC3_GFX90A:ACCUM_OFFSET: 15
; COMPUTE_PGM_RSRC3_GFX90A:TG_SPLIT: 0
	.section	.text._ZN12_GLOBAL__N_127rocblas_gemm_batched_kernelIdLi16ELi16ELi32ELi32ELi8ELi32ELi8ELi8ELi32ELc78ELc67EKdS1_dEEvlllT_PT11_llS4_llS2_PT12_llPT13_lli,"axG",@progbits,_ZN12_GLOBAL__N_127rocblas_gemm_batched_kernelIdLi16ELi16ELi32ELi32ELi8ELi32ELi8ELi8ELi32ELc78ELc67EKdS1_dEEvlllT_PT11_llS4_llS2_PT12_llPT13_lli,comdat
	.globl	_ZN12_GLOBAL__N_127rocblas_gemm_batched_kernelIdLi16ELi16ELi32ELi32ELi8ELi32ELi8ELi8ELi32ELc78ELc67EKdS1_dEEvlllT_PT11_llS4_llS2_PT12_llPT13_lli ; -- Begin function _ZN12_GLOBAL__N_127rocblas_gemm_batched_kernelIdLi16ELi16ELi32ELi32ELi8ELi32ELi8ELi8ELi32ELc78ELc67EKdS1_dEEvlllT_PT11_llS4_llS2_PT12_llPT13_lli
	.p2align	8
	.type	_ZN12_GLOBAL__N_127rocblas_gemm_batched_kernelIdLi16ELi16ELi32ELi32ELi8ELi32ELi8ELi8ELi32ELc78ELc67EKdS1_dEEvlllT_PT11_llS4_llS2_PT12_llPT13_lli,@function
_ZN12_GLOBAL__N_127rocblas_gemm_batched_kernelIdLi16ELi16ELi32ELi32ELi8ELi32ELi8ELi8ELi32ELc78ELc67EKdS1_dEEvlllT_PT11_llS4_llS2_PT12_llPT13_lli: ; @_ZN12_GLOBAL__N_127rocblas_gemm_batched_kernelIdLi16ELi16ELi32ELi32ELi8ELi32ELi8ELi8ELi32ELc78ELc67EKdS1_dEEvlllT_PT11_llS4_llS2_PT12_llPT13_lli
; %bb.0:
	s_load_dwordx16 s[8:23], s[0:1], 0x10
	s_mov_b32 s6, s3
	v_mov_b32_e32 v9, 0
	s_ashr_i32 s3, s2, 31
	s_ashr_i32 s7, s6, 31
	s_waitcnt lgkmcnt(0)
	v_cmp_lt_i64_e64 s[24:25], s[8:9], 1
	v_bfe_u32 v8, v0, 10, 10
	v_and_b32_e32 v4, 0x3ff, v0
	v_mov_b32_e32 v5, v9
	s_lshl_b64 s[2:3], s[2:3], 5
	s_lshl_b64 s[6:7], s[6:7], 5
	s_and_b64 vcc, exec, s[24:25]
	s_cbranch_vccnz .LBB76_3
; %bb.1:
	v_lshl_add_u32 v6, v8, 4, v4
	v_and_b32_e32 v2, 31, v6
	v_lshrrev_b32_e32 v0, 3, v6
	v_and_b32_e32 v7, 7, v4
	v_lshrrev_b32_e32 v10, 5, v6
	v_lshlrev_b32_e32 v6, 3, v2
	v_lshl_or_b32 v18, v10, 8, v6
	v_lshlrev_b32_e32 v6, 3, v7
	v_mov_b32_e32 v1, v9
	v_lshl_or_b32 v6, v0, 6, v6
	v_add_u32_e32 v19, 0x800, v6
	v_mov_b32_e32 v6, 0x800
	s_mul_i32 s5, s23, s4
	s_mul_hi_u32 s23, s22, s4
	v_mad_u64_u32 v[0:1], s[24:25], s20, v7, v[0:1]
	v_lshl_add_u32 v21, v8, 6, v6
	s_add_i32 s23, s23, s5
	s_mul_i32 s22, s22, s4
	v_mov_b32_e32 v6, v1
	s_lshl_b64 s[22:23], s[22:23], 3
	v_mad_u64_u32 v[6:7], s[24:25], s21, v7, v[6:7]
	v_mov_b32_e32 v1, v6
	s_add_u32 s18, s18, s22
	v_lshl_add_u64 v[0:1], v[0:1], 0, s[6:7]
	s_addc_u32 s19, s19, s23
	v_lshl_add_u64 v[12:13], v[0:1], 3, s[18:19]
	v_mov_b64_e32 v[0:1], s[2:3]
	s_lshl_b64 s[18:19], s[20:21], 6
	s_mul_i32 s5, s17, s4
	s_mul_hi_u32 s17, s16, s4
	v_mad_u64_u32 v[0:1], s[20:21], s14, v10, v[0:1]
	s_add_i32 s17, s17, s5
	s_mul_i32 s16, s16, s4
	v_mov_b32_e32 v6, v1
	s_lshl_b64 s[16:17], s[16:17], 3
	v_mad_u64_u32 v[6:7], s[20:21], s15, v10, v[6:7]
	v_mov_b32_e32 v3, v9
	v_mov_b32_e32 v1, v6
	s_add_u32 s12, s12, s16
	v_lshl_add_u64 v[0:1], v[0:1], 0, v[2:3]
	s_addc_u32 s13, s13, s17
	v_lshlrev_b32_e32 v20, 3, v4
	v_lshl_add_u64 v[14:15], v[0:1], 3, s[12:13]
	s_lshl_b64 s[12:13], s[14:15], 6
	s_mov_b64 s[14:15], 0
	v_mov_b64_e32 v[0:1], 0
	v_mov_b64_e32 v[16:17], s[8:9]
	;; [unrolled: 1-line block ×5, first 2 shown]
.LBB76_2:                               ; =>This Inner Loop Header: Depth=1
	global_load_dwordx2 v[22:23], v[14:15], off
	global_load_dwordx2 v[24:25], v[12:13], off
	s_add_u32 s14, s14, 8
	s_addc_u32 s15, s15, 0
	v_cmp_lt_i64_e32 vcc, s[14:15], v[16:17]
	v_lshl_add_u64 v[12:13], v[12:13], 0, s[18:19]
	v_lshl_add_u64 v[14:15], v[14:15], 0, s[12:13]
	s_and_b64 vcc, exec, vcc
	s_waitcnt vmcnt(1)
	ds_write_b64 v18, v[22:23]
	s_waitcnt vmcnt(0)
	ds_write_b64 v19, v[24:25]
	s_waitcnt lgkmcnt(0)
	s_barrier
	ds_read_b128 v[22:25], v21
	ds_read_b128 v[26:29], v21 offset:16
	ds_read_b128 v[30:33], v21 offset:32
	ds_read_b128 v[34:37], v21 offset:48
	ds_read2_b64 v[38:41], v20 offset1:16
	ds_read2_b64 v[42:45], v20 offset0:32 offset1:48
	ds_read2_b64 v[46:49], v20 offset0:64 offset1:80
	ds_read_b128 v[50:53], v21 offset:1024
	ds_read_b128 v[54:57], v21 offset:1040
	ds_read2_b64 v[58:61], v20 offset0:96 offset1:112
	s_waitcnt lgkmcnt(5)
	v_fmac_f64_e32 v[10:11], v[38:39], v[22:23]
	v_fmac_f64_e32 v[6:7], v[40:41], v[22:23]
	s_waitcnt lgkmcnt(2)
	v_fmac_f64_e32 v[2:3], v[38:39], v[50:51]
	v_fmac_f64_e32 v[0:1], v[40:41], v[50:51]
	ds_read2_b64 v[38:41], v20 offset0:128 offset1:144
	v_fmac_f64_e32 v[10:11], v[42:43], v[24:25]
	v_fmac_f64_e32 v[6:7], v[44:45], v[24:25]
	ds_read_b128 v[22:25], v21 offset:1056
	v_fmac_f64_e32 v[2:3], v[42:43], v[52:53]
	v_fmac_f64_e32 v[0:1], v[44:45], v[52:53]
	ds_read2_b64 v[42:45], v20 offset0:160 offset1:176
	ds_read2_b64 v[50:53], v20 offset0:192 offset1:208
	v_fmac_f64_e32 v[10:11], v[46:47], v[26:27]
	v_fmac_f64_e32 v[6:7], v[48:49], v[26:27]
	s_waitcnt lgkmcnt(5)
	v_fmac_f64_e32 v[2:3], v[46:47], v[54:55]
	v_fmac_f64_e32 v[0:1], v[48:49], v[54:55]
	ds_read_b128 v[46:49], v21 offset:1072
	s_waitcnt lgkmcnt(5)
	v_fmac_f64_e32 v[10:11], v[58:59], v[28:29]
	v_fmac_f64_e32 v[6:7], v[60:61], v[28:29]
	ds_read2_b64 v[26:29], v20 offset0:224 offset1:240
	v_fmac_f64_e32 v[2:3], v[58:59], v[56:57]
	v_fmac_f64_e32 v[0:1], v[60:61], v[56:57]
	s_waitcnt lgkmcnt(5)
	v_fmac_f64_e32 v[10:11], v[38:39], v[30:31]
	v_fmac_f64_e32 v[6:7], v[40:41], v[30:31]
	s_waitcnt lgkmcnt(4)
	;; [unrolled: 3-line block ×3, first 2 shown]
	v_fmac_f64_e32 v[10:11], v[42:43], v[32:33]
	v_fmac_f64_e32 v[6:7], v[44:45], v[32:33]
	;; [unrolled: 1-line block ×4, first 2 shown]
	s_waitcnt lgkmcnt(2)
	v_fmac_f64_e32 v[10:11], v[50:51], v[34:35]
	v_fmac_f64_e32 v[6:7], v[52:53], v[34:35]
	s_waitcnt lgkmcnt(1)
	v_fmac_f64_e32 v[2:3], v[50:51], v[46:47]
	v_fmac_f64_e32 v[0:1], v[52:53], v[46:47]
	;; [unrolled: 3-line block ×3, first 2 shown]
	v_fmac_f64_e32 v[2:3], v[26:27], v[48:49]
	v_fmac_f64_e32 v[0:1], v[28:29], v[48:49]
	s_barrier
	s_cbranch_vccnz .LBB76_2
	s_branch .LBB76_4
.LBB76_3:
	v_mov_b64_e32 v[10:11], 0
	v_mov_b64_e32 v[6:7], 0
	;; [unrolled: 1-line block ×4, first 2 shown]
.LBB76_4:
	s_load_dwordx8 s[20:27], s[0:1], 0x70
	s_load_dwordx8 s[12:19], s[0:1], 0x50
	v_lshl_add_u64 v[8:9], s[6:7], 0, v[8:9]
	v_lshl_add_u64 v[4:5], s[2:3], 0, v[4:5]
	s_mov_b64 s[6:7], 0
	s_waitcnt lgkmcnt(0)
	s_mul_i32 s1, s25, s4
	s_mul_hi_u32 s5, s24, s4
	s_mul_i32 s0, s24, s4
	s_add_i32 s1, s5, s1
	s_lshl_b64 s[0:1], s[0:1], 3
	s_add_u32 s0, s20, s0
	v_cmp_neq_f64_e64 s[8:9], s[12:13], 0
	s_addc_u32 s1, s21, s1
	s_and_b64 vcc, exec, s[8:9]
	v_mul_lo_u32 v12, v9, s22
	v_mul_lo_u32 v13, v8, s23
	v_lshlrev_b64 v[4:5], 3, v[4:5]
	s_cbranch_vccnz .LBB76_8
; %bb.5:
	v_mad_u64_u32 v[14:15], s[2:3], v8, s22, 0
	v_add3_u32 v15, v15, v13, v12
	v_lshl_add_u64 v[14:15], v[14:15], 3, s[0:1]
	v_mul_f64 v[16:17], s[10:11], v[10:11]
	v_lshl_add_u64 v[18:19], v[14:15], 0, v[4:5]
	s_lshl_b64 s[2:3], s[22:23], 7
	global_store_dwordx2 v[18:19], v[16:17], off
	v_mul_f64 v[16:17], s[10:11], v[6:7]
	v_lshl_add_u64 v[14:15], v[14:15], 0, s[2:3]
	global_store_dwordx2 v[18:19], v[16:17], off offset:128
	v_mul_f64 v[16:17], s[10:11], v[2:3]
	v_lshl_add_u64 v[14:15], v[14:15], 0, v[4:5]
	global_store_dwordx2 v[14:15], v[16:17], off
	v_mul_f64 v[16:17], s[10:11], v[0:1]
	global_store_dwordx2 v[14:15], v[16:17], off offset:128
	s_andn2_b64 vcc, exec, s[6:7]
	s_cbranch_vccnz .LBB76_7
.LBB76_6:
	s_mul_i32 s2, s19, s4
	s_mul_hi_u32 s3, s18, s4
	s_add_i32 s3, s3, s2
	s_mul_i32 s2, s18, s4
	s_lshl_b64 s[2:3], s[2:3], 3
	s_add_u32 s2, s14, s2
	v_mul_lo_u32 v9, v9, s16
	v_mul_lo_u32 v16, v8, s17
	v_mad_u64_u32 v[14:15], s[4:5], v8, s16, 0
	s_addc_u32 s3, s15, s3
	v_add3_u32 v15, v15, v16, v9
	v_lshl_add_u64 v[14:15], v[14:15], 3, s[2:3]
	v_lshl_add_u64 v[16:17], v[14:15], 0, v[4:5]
	global_load_dwordx2 v[18:19], v[16:17], off
	v_mad_u64_u32 v[8:9], s[2:3], v8, s22, 0
	v_add3_u32 v9, v9, v13, v12
	v_lshl_add_u64 v[8:9], v[8:9], 3, s[0:1]
	v_lshl_add_u64 v[12:13], v[8:9], 0, v[4:5]
	s_lshl_b64 s[0:1], s[16:17], 7
	v_lshl_add_u64 v[14:15], v[14:15], 0, s[0:1]
	v_lshl_add_u64 v[14:15], v[14:15], 0, v[4:5]
	s_lshl_b64 s[0:1], s[22:23], 7
	v_lshl_add_u64 v[8:9], v[8:9], 0, s[0:1]
	s_waitcnt vmcnt(0)
	v_mul_f64 v[18:19], s[12:13], v[18:19]
	v_fmac_f64_e32 v[18:19], s[10:11], v[10:11]
	global_store_dwordx2 v[12:13], v[18:19], off
	global_load_dwordx2 v[10:11], v[16:17], off offset:128
	s_waitcnt vmcnt(0)
	v_mul_f64 v[10:11], s[12:13], v[10:11]
	v_fmac_f64_e32 v[10:11], s[10:11], v[6:7]
	global_store_dwordx2 v[12:13], v[10:11], off offset:128
	global_load_dwordx2 v[6:7], v[14:15], off
	s_waitcnt vmcnt(0)
	v_mul_f64 v[6:7], s[12:13], v[6:7]
	v_fmac_f64_e32 v[6:7], s[10:11], v[2:3]
	v_lshl_add_u64 v[2:3], v[8:9], 0, v[4:5]
	global_store_dwordx2 v[2:3], v[6:7], off
	global_load_dwordx2 v[4:5], v[14:15], off offset:128
	s_waitcnt vmcnt(0)
	v_mul_f64 v[4:5], s[12:13], v[4:5]
	v_fmac_f64_e32 v[4:5], s[10:11], v[0:1]
	global_store_dwordx2 v[2:3], v[4:5], off offset:128
.LBB76_7:
	s_endpgm
.LBB76_8:
	s_branch .LBB76_6
	.section	.rodata,"a",@progbits
	.p2align	6, 0x0
	.amdhsa_kernel _ZN12_GLOBAL__N_127rocblas_gemm_batched_kernelIdLi16ELi16ELi32ELi32ELi8ELi32ELi8ELi8ELi32ELc78ELc67EKdS1_dEEvlllT_PT11_llS4_llS2_PT12_llPT13_lli
		.amdhsa_group_segment_fixed_size 4096
		.amdhsa_private_segment_fixed_size 0
		.amdhsa_kernarg_size 140
		.amdhsa_user_sgpr_count 2
		.amdhsa_user_sgpr_dispatch_ptr 0
		.amdhsa_user_sgpr_queue_ptr 0
		.amdhsa_user_sgpr_kernarg_segment_ptr 1
		.amdhsa_user_sgpr_dispatch_id 0
		.amdhsa_user_sgpr_kernarg_preload_length 0
		.amdhsa_user_sgpr_kernarg_preload_offset 0
		.amdhsa_user_sgpr_private_segment_size 0
		.amdhsa_uses_dynamic_stack 0
		.amdhsa_enable_private_segment 0
		.amdhsa_system_sgpr_workgroup_id_x 1
		.amdhsa_system_sgpr_workgroup_id_y 1
		.amdhsa_system_sgpr_workgroup_id_z 1
		.amdhsa_system_sgpr_workgroup_info 0
		.amdhsa_system_vgpr_workitem_id 1
		.amdhsa_next_free_vgpr 62
		.amdhsa_next_free_sgpr 28
		.amdhsa_accum_offset 64
		.amdhsa_reserve_vcc 1
		.amdhsa_float_round_mode_32 0
		.amdhsa_float_round_mode_16_64 0
		.amdhsa_float_denorm_mode_32 3
		.amdhsa_float_denorm_mode_16_64 3
		.amdhsa_dx10_clamp 1
		.amdhsa_ieee_mode 1
		.amdhsa_fp16_overflow 0
		.amdhsa_tg_split 0
		.amdhsa_exception_fp_ieee_invalid_op 0
		.amdhsa_exception_fp_denorm_src 0
		.amdhsa_exception_fp_ieee_div_zero 0
		.amdhsa_exception_fp_ieee_overflow 0
		.amdhsa_exception_fp_ieee_underflow 0
		.amdhsa_exception_fp_ieee_inexact 0
		.amdhsa_exception_int_div_zero 0
	.end_amdhsa_kernel
	.section	.text._ZN12_GLOBAL__N_127rocblas_gemm_batched_kernelIdLi16ELi16ELi32ELi32ELi8ELi32ELi8ELi8ELi32ELc78ELc67EKdS1_dEEvlllT_PT11_llS4_llS2_PT12_llPT13_lli,"axG",@progbits,_ZN12_GLOBAL__N_127rocblas_gemm_batched_kernelIdLi16ELi16ELi32ELi32ELi8ELi32ELi8ELi8ELi32ELc78ELc67EKdS1_dEEvlllT_PT11_llS4_llS2_PT12_llPT13_lli,comdat
.Lfunc_end76:
	.size	_ZN12_GLOBAL__N_127rocblas_gemm_batched_kernelIdLi16ELi16ELi32ELi32ELi8ELi32ELi8ELi8ELi32ELc78ELc67EKdS1_dEEvlllT_PT11_llS4_llS2_PT12_llPT13_lli, .Lfunc_end76-_ZN12_GLOBAL__N_127rocblas_gemm_batched_kernelIdLi16ELi16ELi32ELi32ELi8ELi32ELi8ELi8ELi32ELc78ELc67EKdS1_dEEvlllT_PT11_llS4_llS2_PT12_llPT13_lli
                                        ; -- End function
	.set _ZN12_GLOBAL__N_127rocblas_gemm_batched_kernelIdLi16ELi16ELi32ELi32ELi8ELi32ELi8ELi8ELi32ELc78ELc67EKdS1_dEEvlllT_PT11_llS4_llS2_PT12_llPT13_lli.num_vgpr, 62
	.set _ZN12_GLOBAL__N_127rocblas_gemm_batched_kernelIdLi16ELi16ELi32ELi32ELi8ELi32ELi8ELi8ELi32ELc78ELc67EKdS1_dEEvlllT_PT11_llS4_llS2_PT12_llPT13_lli.num_agpr, 0
	.set _ZN12_GLOBAL__N_127rocblas_gemm_batched_kernelIdLi16ELi16ELi32ELi32ELi8ELi32ELi8ELi8ELi32ELc78ELc67EKdS1_dEEvlllT_PT11_llS4_llS2_PT12_llPT13_lli.numbered_sgpr, 28
	.set _ZN12_GLOBAL__N_127rocblas_gemm_batched_kernelIdLi16ELi16ELi32ELi32ELi8ELi32ELi8ELi8ELi32ELc78ELc67EKdS1_dEEvlllT_PT11_llS4_llS2_PT12_llPT13_lli.num_named_barrier, 0
	.set _ZN12_GLOBAL__N_127rocblas_gemm_batched_kernelIdLi16ELi16ELi32ELi32ELi8ELi32ELi8ELi8ELi32ELc78ELc67EKdS1_dEEvlllT_PT11_llS4_llS2_PT12_llPT13_lli.private_seg_size, 0
	.set _ZN12_GLOBAL__N_127rocblas_gemm_batched_kernelIdLi16ELi16ELi32ELi32ELi8ELi32ELi8ELi8ELi32ELc78ELc67EKdS1_dEEvlllT_PT11_llS4_llS2_PT12_llPT13_lli.uses_vcc, 1
	.set _ZN12_GLOBAL__N_127rocblas_gemm_batched_kernelIdLi16ELi16ELi32ELi32ELi8ELi32ELi8ELi8ELi32ELc78ELc67EKdS1_dEEvlllT_PT11_llS4_llS2_PT12_llPT13_lli.uses_flat_scratch, 0
	.set _ZN12_GLOBAL__N_127rocblas_gemm_batched_kernelIdLi16ELi16ELi32ELi32ELi8ELi32ELi8ELi8ELi32ELc78ELc67EKdS1_dEEvlllT_PT11_llS4_llS2_PT12_llPT13_lli.has_dyn_sized_stack, 0
	.set _ZN12_GLOBAL__N_127rocblas_gemm_batched_kernelIdLi16ELi16ELi32ELi32ELi8ELi32ELi8ELi8ELi32ELc78ELc67EKdS1_dEEvlllT_PT11_llS4_llS2_PT12_llPT13_lli.has_recursion, 0
	.set _ZN12_GLOBAL__N_127rocblas_gemm_batched_kernelIdLi16ELi16ELi32ELi32ELi8ELi32ELi8ELi8ELi32ELc78ELc67EKdS1_dEEvlllT_PT11_llS4_llS2_PT12_llPT13_lli.has_indirect_call, 0
	.section	.AMDGPU.csdata,"",@progbits
; Kernel info:
; codeLenInByte = 1248
; TotalNumSgprs: 34
; NumVgprs: 62
; NumAgprs: 0
; TotalNumVgprs: 62
; ScratchSize: 0
; MemoryBound: 0
; FloatMode: 240
; IeeeMode: 1
; LDSByteSize: 4096 bytes/workgroup (compile time only)
; SGPRBlocks: 4
; VGPRBlocks: 7
; NumSGPRsForWavesPerEU: 34
; NumVGPRsForWavesPerEU: 62
; AccumOffset: 64
; Occupancy: 8
; WaveLimiterHint : 1
; COMPUTE_PGM_RSRC2:SCRATCH_EN: 0
; COMPUTE_PGM_RSRC2:USER_SGPR: 2
; COMPUTE_PGM_RSRC2:TRAP_HANDLER: 0
; COMPUTE_PGM_RSRC2:TGID_X_EN: 1
; COMPUTE_PGM_RSRC2:TGID_Y_EN: 1
; COMPUTE_PGM_RSRC2:TGID_Z_EN: 1
; COMPUTE_PGM_RSRC2:TIDIG_COMP_CNT: 1
; COMPUTE_PGM_RSRC3_GFX90A:ACCUM_OFFSET: 15
; COMPUTE_PGM_RSRC3_GFX90A:TG_SPLIT: 0
	.section	.text._ZN12_GLOBAL__N_127rocblas_gemm_batched_kernelIdLi16ELi16ELi32ELi32ELi8ELi32ELi8ELi8ELi32ELc84ELc67EKdS1_dEEvlllT_PT11_llS4_llS2_PT12_llPT13_lli,"axG",@progbits,_ZN12_GLOBAL__N_127rocblas_gemm_batched_kernelIdLi16ELi16ELi32ELi32ELi8ELi32ELi8ELi8ELi32ELc84ELc67EKdS1_dEEvlllT_PT11_llS4_llS2_PT12_llPT13_lli,comdat
	.globl	_ZN12_GLOBAL__N_127rocblas_gemm_batched_kernelIdLi16ELi16ELi32ELi32ELi8ELi32ELi8ELi8ELi32ELc84ELc67EKdS1_dEEvlllT_PT11_llS4_llS2_PT12_llPT13_lli ; -- Begin function _ZN12_GLOBAL__N_127rocblas_gemm_batched_kernelIdLi16ELi16ELi32ELi32ELi8ELi32ELi8ELi8ELi32ELc84ELc67EKdS1_dEEvlllT_PT11_llS4_llS2_PT12_llPT13_lli
	.p2align	8
	.type	_ZN12_GLOBAL__N_127rocblas_gemm_batched_kernelIdLi16ELi16ELi32ELi32ELi8ELi32ELi8ELi8ELi32ELc84ELc67EKdS1_dEEvlllT_PT11_llS4_llS2_PT12_llPT13_lli,@function
_ZN12_GLOBAL__N_127rocblas_gemm_batched_kernelIdLi16ELi16ELi32ELi32ELi8ELi32ELi8ELi8ELi32ELc84ELc67EKdS1_dEEvlllT_PT11_llS4_llS2_PT12_llPT13_lli: ; @_ZN12_GLOBAL__N_127rocblas_gemm_batched_kernelIdLi16ELi16ELi32ELi32ELi8ELi32ELi8ELi8ELi32ELc84ELc67EKdS1_dEEvlllT_PT11_llS4_llS2_PT12_llPT13_lli
; %bb.0:
	s_load_dwordx16 s[8:23], s[0:1], 0x10
	s_mov_b32 s6, s3
	v_mov_b32_e32 v9, 0
	s_ashr_i32 s3, s2, 31
	s_ashr_i32 s7, s6, 31
	s_waitcnt lgkmcnt(0)
	v_cmp_lt_i64_e64 s[24:25], s[8:9], 1
	v_bfe_u32 v8, v0, 10, 10
	v_and_b32_e32 v4, 0x3ff, v0
	v_mov_b32_e32 v5, v9
	s_lshl_b64 s[2:3], s[2:3], 5
	s_lshl_b64 s[6:7], s[6:7], 5
	s_and_b64 vcc, exec, s[24:25]
	s_cbranch_vccnz .LBB77_3
; %bb.1:
	v_lshl_add_u32 v6, v8, 4, v4
	v_and_b32_e32 v2, 31, v6
	v_lshrrev_b32_e32 v0, 3, v6
	v_and_b32_e32 v7, 7, v4
	v_lshrrev_b32_e32 v10, 5, v6
	v_lshlrev_b32_e32 v6, 3, v2
	v_lshl_or_b32 v18, v10, 8, v6
	v_lshlrev_b32_e32 v6, 3, v7
	v_mov_b32_e32 v1, v9
	v_lshl_or_b32 v6, v0, 6, v6
	v_add_u32_e32 v19, 0x800, v6
	v_mov_b32_e32 v6, 0x800
	s_mul_i32 s5, s23, s4
	s_mul_hi_u32 s23, s22, s4
	v_mad_u64_u32 v[0:1], s[24:25], s20, v7, v[0:1]
	v_lshl_add_u32 v21, v8, 6, v6
	s_add_i32 s23, s23, s5
	s_mul_i32 s22, s22, s4
	v_mov_b32_e32 v6, v1
	s_lshl_b64 s[22:23], s[22:23], 3
	v_mad_u64_u32 v[6:7], s[24:25], s21, v7, v[6:7]
	v_mov_b32_e32 v1, v6
	s_add_u32 s18, s18, s22
	v_mov_b32_e32 v3, v9
	v_lshl_add_u64 v[0:1], v[0:1], 0, s[6:7]
	s_addc_u32 s19, s19, s23
	v_lshl_add_u64 v[12:13], v[0:1], 3, s[18:19]
	v_lshl_add_u64 v[0:1], s[2:3], 0, v[2:3]
	v_mul_lo_u32 v2, s15, v0
	v_mul_lo_u32 v3, s14, v1
	v_mad_u64_u32 v[0:1], s[14:15], s14, v0, 0
	s_mul_i32 s5, s17, s4
	s_mul_hi_u32 s14, s16, s4
	s_add_i32 s15, s14, s5
	s_mul_i32 s14, s16, s4
	v_add3_u32 v1, v1, v3, v2
	s_lshl_b64 s[14:15], s[14:15], 3
	v_lshl_add_u64 v[0:1], v[0:1], 3, s[14:15]
	v_lshlrev_b32_e32 v2, 3, v10
	v_mov_b32_e32 v3, v9
	v_lshl_add_u64 v[0:1], v[0:1], 0, v[2:3]
	v_lshlrev_b32_e32 v20, 3, v4
	s_lshl_b64 s[18:19], s[20:21], 6
	v_lshl_add_u64 v[14:15], s[12:13], 0, v[0:1]
	s_mov_b64 s[12:13], 0
	v_mov_b64_e32 v[0:1], 0
	v_mov_b64_e32 v[16:17], s[8:9]
	;; [unrolled: 1-line block ×5, first 2 shown]
.LBB77_2:                               ; =>This Inner Loop Header: Depth=1
	global_load_dwordx2 v[22:23], v[14:15], off
	global_load_dwordx2 v[24:25], v[12:13], off
	s_add_u32 s12, s12, 8
	s_addc_u32 s13, s13, 0
	v_cmp_lt_i64_e32 vcc, s[12:13], v[16:17]
	v_lshl_add_u64 v[12:13], v[12:13], 0, s[18:19]
	v_lshl_add_u64 v[14:15], v[14:15], 0, 64
	s_and_b64 vcc, exec, vcc
	s_waitcnt vmcnt(1)
	ds_write_b64 v18, v[22:23]
	s_waitcnt vmcnt(0)
	ds_write_b64 v19, v[24:25]
	s_waitcnt lgkmcnt(0)
	s_barrier
	ds_read_b128 v[22:25], v21
	ds_read_b128 v[26:29], v21 offset:16
	ds_read_b128 v[30:33], v21 offset:32
	;; [unrolled: 1-line block ×3, first 2 shown]
	ds_read2_b64 v[38:41], v20 offset1:16
	ds_read2_b64 v[42:45], v20 offset0:32 offset1:48
	ds_read2_b64 v[46:49], v20 offset0:64 offset1:80
	ds_read_b128 v[50:53], v21 offset:1024
	ds_read_b128 v[54:57], v21 offset:1040
	ds_read2_b64 v[58:61], v20 offset0:96 offset1:112
	s_waitcnt lgkmcnt(5)
	v_fmac_f64_e32 v[10:11], v[38:39], v[22:23]
	v_fmac_f64_e32 v[6:7], v[40:41], v[22:23]
	s_waitcnt lgkmcnt(2)
	v_fmac_f64_e32 v[2:3], v[38:39], v[50:51]
	v_fmac_f64_e32 v[0:1], v[40:41], v[50:51]
	ds_read2_b64 v[38:41], v20 offset0:128 offset1:144
	v_fmac_f64_e32 v[10:11], v[42:43], v[24:25]
	v_fmac_f64_e32 v[6:7], v[44:45], v[24:25]
	ds_read_b128 v[22:25], v21 offset:1056
	v_fmac_f64_e32 v[2:3], v[42:43], v[52:53]
	v_fmac_f64_e32 v[0:1], v[44:45], v[52:53]
	ds_read2_b64 v[42:45], v20 offset0:160 offset1:176
	ds_read2_b64 v[50:53], v20 offset0:192 offset1:208
	v_fmac_f64_e32 v[10:11], v[46:47], v[26:27]
	v_fmac_f64_e32 v[6:7], v[48:49], v[26:27]
	s_waitcnt lgkmcnt(5)
	v_fmac_f64_e32 v[2:3], v[46:47], v[54:55]
	v_fmac_f64_e32 v[0:1], v[48:49], v[54:55]
	ds_read_b128 v[46:49], v21 offset:1072
	s_waitcnt lgkmcnt(5)
	v_fmac_f64_e32 v[10:11], v[58:59], v[28:29]
	v_fmac_f64_e32 v[6:7], v[60:61], v[28:29]
	ds_read2_b64 v[26:29], v20 offset0:224 offset1:240
	v_fmac_f64_e32 v[2:3], v[58:59], v[56:57]
	v_fmac_f64_e32 v[0:1], v[60:61], v[56:57]
	s_waitcnt lgkmcnt(5)
	v_fmac_f64_e32 v[10:11], v[38:39], v[30:31]
	v_fmac_f64_e32 v[6:7], v[40:41], v[30:31]
	s_waitcnt lgkmcnt(4)
	v_fmac_f64_e32 v[2:3], v[38:39], v[22:23]
	v_fmac_f64_e32 v[0:1], v[40:41], v[22:23]
	s_waitcnt lgkmcnt(3)
	v_fmac_f64_e32 v[10:11], v[42:43], v[32:33]
	v_fmac_f64_e32 v[6:7], v[44:45], v[32:33]
	;; [unrolled: 1-line block ×4, first 2 shown]
	s_waitcnt lgkmcnt(2)
	v_fmac_f64_e32 v[10:11], v[50:51], v[34:35]
	v_fmac_f64_e32 v[6:7], v[52:53], v[34:35]
	s_waitcnt lgkmcnt(1)
	v_fmac_f64_e32 v[2:3], v[50:51], v[46:47]
	v_fmac_f64_e32 v[0:1], v[52:53], v[46:47]
	;; [unrolled: 3-line block ×3, first 2 shown]
	v_fmac_f64_e32 v[2:3], v[26:27], v[48:49]
	v_fmac_f64_e32 v[0:1], v[28:29], v[48:49]
	s_barrier
	s_cbranch_vccnz .LBB77_2
	s_branch .LBB77_4
.LBB77_3:
	v_mov_b64_e32 v[10:11], 0
	v_mov_b64_e32 v[6:7], 0
	;; [unrolled: 1-line block ×4, first 2 shown]
.LBB77_4:
	s_load_dwordx8 s[20:27], s[0:1], 0x70
	s_load_dwordx8 s[12:19], s[0:1], 0x50
	v_lshl_add_u64 v[8:9], s[6:7], 0, v[8:9]
	v_lshl_add_u64 v[4:5], s[2:3], 0, v[4:5]
	s_mov_b64 s[6:7], 0
	s_waitcnt lgkmcnt(0)
	s_mul_i32 s1, s25, s4
	s_mul_hi_u32 s5, s24, s4
	s_mul_i32 s0, s24, s4
	s_add_i32 s1, s5, s1
	s_lshl_b64 s[0:1], s[0:1], 3
	s_add_u32 s0, s20, s0
	v_cmp_neq_f64_e64 s[8:9], s[12:13], 0
	s_addc_u32 s1, s21, s1
	s_and_b64 vcc, exec, s[8:9]
	v_mul_lo_u32 v12, v9, s22
	v_mul_lo_u32 v13, v8, s23
	v_lshlrev_b64 v[4:5], 3, v[4:5]
	s_cbranch_vccnz .LBB77_8
; %bb.5:
	v_mad_u64_u32 v[14:15], s[2:3], v8, s22, 0
	v_add3_u32 v15, v15, v13, v12
	v_lshl_add_u64 v[14:15], v[14:15], 3, s[0:1]
	v_mul_f64 v[16:17], s[10:11], v[10:11]
	v_lshl_add_u64 v[18:19], v[14:15], 0, v[4:5]
	s_lshl_b64 s[2:3], s[22:23], 7
	global_store_dwordx2 v[18:19], v[16:17], off
	v_mul_f64 v[16:17], s[10:11], v[6:7]
	v_lshl_add_u64 v[14:15], v[14:15], 0, s[2:3]
	global_store_dwordx2 v[18:19], v[16:17], off offset:128
	v_mul_f64 v[16:17], s[10:11], v[2:3]
	v_lshl_add_u64 v[14:15], v[14:15], 0, v[4:5]
	global_store_dwordx2 v[14:15], v[16:17], off
	v_mul_f64 v[16:17], s[10:11], v[0:1]
	global_store_dwordx2 v[14:15], v[16:17], off offset:128
	s_andn2_b64 vcc, exec, s[6:7]
	s_cbranch_vccnz .LBB77_7
.LBB77_6:
	s_mul_i32 s2, s19, s4
	s_mul_hi_u32 s3, s18, s4
	s_add_i32 s3, s3, s2
	s_mul_i32 s2, s18, s4
	s_lshl_b64 s[2:3], s[2:3], 3
	s_add_u32 s2, s14, s2
	v_mul_lo_u32 v9, v9, s16
	v_mul_lo_u32 v16, v8, s17
	v_mad_u64_u32 v[14:15], s[4:5], v8, s16, 0
	s_addc_u32 s3, s15, s3
	v_add3_u32 v15, v15, v16, v9
	v_lshl_add_u64 v[14:15], v[14:15], 3, s[2:3]
	v_lshl_add_u64 v[16:17], v[14:15], 0, v[4:5]
	global_load_dwordx2 v[18:19], v[16:17], off
	v_mad_u64_u32 v[8:9], s[2:3], v8, s22, 0
	v_add3_u32 v9, v9, v13, v12
	v_lshl_add_u64 v[8:9], v[8:9], 3, s[0:1]
	v_lshl_add_u64 v[12:13], v[8:9], 0, v[4:5]
	s_lshl_b64 s[0:1], s[16:17], 7
	v_lshl_add_u64 v[14:15], v[14:15], 0, s[0:1]
	v_lshl_add_u64 v[14:15], v[14:15], 0, v[4:5]
	s_lshl_b64 s[0:1], s[22:23], 7
	v_lshl_add_u64 v[8:9], v[8:9], 0, s[0:1]
	s_waitcnt vmcnt(0)
	v_mul_f64 v[18:19], s[12:13], v[18:19]
	v_fmac_f64_e32 v[18:19], s[10:11], v[10:11]
	global_store_dwordx2 v[12:13], v[18:19], off
	global_load_dwordx2 v[10:11], v[16:17], off offset:128
	s_waitcnt vmcnt(0)
	v_mul_f64 v[10:11], s[12:13], v[10:11]
	v_fmac_f64_e32 v[10:11], s[10:11], v[6:7]
	global_store_dwordx2 v[12:13], v[10:11], off offset:128
	global_load_dwordx2 v[6:7], v[14:15], off
	s_waitcnt vmcnt(0)
	v_mul_f64 v[6:7], s[12:13], v[6:7]
	v_fmac_f64_e32 v[6:7], s[10:11], v[2:3]
	v_lshl_add_u64 v[2:3], v[8:9], 0, v[4:5]
	global_store_dwordx2 v[2:3], v[6:7], off
	global_load_dwordx2 v[4:5], v[14:15], off offset:128
	s_waitcnt vmcnt(0)
	v_mul_f64 v[4:5], s[12:13], v[4:5]
	v_fmac_f64_e32 v[4:5], s[10:11], v[0:1]
	global_store_dwordx2 v[2:3], v[4:5], off offset:128
.LBB77_7:
	s_endpgm
.LBB77_8:
	s_branch .LBB77_6
	.section	.rodata,"a",@progbits
	.p2align	6, 0x0
	.amdhsa_kernel _ZN12_GLOBAL__N_127rocblas_gemm_batched_kernelIdLi16ELi16ELi32ELi32ELi8ELi32ELi8ELi8ELi32ELc84ELc67EKdS1_dEEvlllT_PT11_llS4_llS2_PT12_llPT13_lli
		.amdhsa_group_segment_fixed_size 4096
		.amdhsa_private_segment_fixed_size 0
		.amdhsa_kernarg_size 140
		.amdhsa_user_sgpr_count 2
		.amdhsa_user_sgpr_dispatch_ptr 0
		.amdhsa_user_sgpr_queue_ptr 0
		.amdhsa_user_sgpr_kernarg_segment_ptr 1
		.amdhsa_user_sgpr_dispatch_id 0
		.amdhsa_user_sgpr_kernarg_preload_length 0
		.amdhsa_user_sgpr_kernarg_preload_offset 0
		.amdhsa_user_sgpr_private_segment_size 0
		.amdhsa_uses_dynamic_stack 0
		.amdhsa_enable_private_segment 0
		.amdhsa_system_sgpr_workgroup_id_x 1
		.amdhsa_system_sgpr_workgroup_id_y 1
		.amdhsa_system_sgpr_workgroup_id_z 1
		.amdhsa_system_sgpr_workgroup_info 0
		.amdhsa_system_vgpr_workitem_id 1
		.amdhsa_next_free_vgpr 62
		.amdhsa_next_free_sgpr 28
		.amdhsa_accum_offset 64
		.amdhsa_reserve_vcc 1
		.amdhsa_float_round_mode_32 0
		.amdhsa_float_round_mode_16_64 0
		.amdhsa_float_denorm_mode_32 3
		.amdhsa_float_denorm_mode_16_64 3
		.amdhsa_dx10_clamp 1
		.amdhsa_ieee_mode 1
		.amdhsa_fp16_overflow 0
		.amdhsa_tg_split 0
		.amdhsa_exception_fp_ieee_invalid_op 0
		.amdhsa_exception_fp_denorm_src 0
		.amdhsa_exception_fp_ieee_div_zero 0
		.amdhsa_exception_fp_ieee_overflow 0
		.amdhsa_exception_fp_ieee_underflow 0
		.amdhsa_exception_fp_ieee_inexact 0
		.amdhsa_exception_int_div_zero 0
	.end_amdhsa_kernel
	.section	.text._ZN12_GLOBAL__N_127rocblas_gemm_batched_kernelIdLi16ELi16ELi32ELi32ELi8ELi32ELi8ELi8ELi32ELc84ELc67EKdS1_dEEvlllT_PT11_llS4_llS2_PT12_llPT13_lli,"axG",@progbits,_ZN12_GLOBAL__N_127rocblas_gemm_batched_kernelIdLi16ELi16ELi32ELi32ELi8ELi32ELi8ELi8ELi32ELc84ELc67EKdS1_dEEvlllT_PT11_llS4_llS2_PT12_llPT13_lli,comdat
.Lfunc_end77:
	.size	_ZN12_GLOBAL__N_127rocblas_gemm_batched_kernelIdLi16ELi16ELi32ELi32ELi8ELi32ELi8ELi8ELi32ELc84ELc67EKdS1_dEEvlllT_PT11_llS4_llS2_PT12_llPT13_lli, .Lfunc_end77-_ZN12_GLOBAL__N_127rocblas_gemm_batched_kernelIdLi16ELi16ELi32ELi32ELi8ELi32ELi8ELi8ELi32ELc84ELc67EKdS1_dEEvlllT_PT11_llS4_llS2_PT12_llPT13_lli
                                        ; -- End function
	.set _ZN12_GLOBAL__N_127rocblas_gemm_batched_kernelIdLi16ELi16ELi32ELi32ELi8ELi32ELi8ELi8ELi32ELc84ELc67EKdS1_dEEvlllT_PT11_llS4_llS2_PT12_llPT13_lli.num_vgpr, 62
	.set _ZN12_GLOBAL__N_127rocblas_gemm_batched_kernelIdLi16ELi16ELi32ELi32ELi8ELi32ELi8ELi8ELi32ELc84ELc67EKdS1_dEEvlllT_PT11_llS4_llS2_PT12_llPT13_lli.num_agpr, 0
	.set _ZN12_GLOBAL__N_127rocblas_gemm_batched_kernelIdLi16ELi16ELi32ELi32ELi8ELi32ELi8ELi8ELi32ELc84ELc67EKdS1_dEEvlllT_PT11_llS4_llS2_PT12_llPT13_lli.numbered_sgpr, 28
	.set _ZN12_GLOBAL__N_127rocblas_gemm_batched_kernelIdLi16ELi16ELi32ELi32ELi8ELi32ELi8ELi8ELi32ELc84ELc67EKdS1_dEEvlllT_PT11_llS4_llS2_PT12_llPT13_lli.num_named_barrier, 0
	.set _ZN12_GLOBAL__N_127rocblas_gemm_batched_kernelIdLi16ELi16ELi32ELi32ELi8ELi32ELi8ELi8ELi32ELc84ELc67EKdS1_dEEvlllT_PT11_llS4_llS2_PT12_llPT13_lli.private_seg_size, 0
	.set _ZN12_GLOBAL__N_127rocblas_gemm_batched_kernelIdLi16ELi16ELi32ELi32ELi8ELi32ELi8ELi8ELi32ELc84ELc67EKdS1_dEEvlllT_PT11_llS4_llS2_PT12_llPT13_lli.uses_vcc, 1
	.set _ZN12_GLOBAL__N_127rocblas_gemm_batched_kernelIdLi16ELi16ELi32ELi32ELi8ELi32ELi8ELi8ELi32ELc84ELc67EKdS1_dEEvlllT_PT11_llS4_llS2_PT12_llPT13_lli.uses_flat_scratch, 0
	.set _ZN12_GLOBAL__N_127rocblas_gemm_batched_kernelIdLi16ELi16ELi32ELi32ELi8ELi32ELi8ELi8ELi32ELc84ELc67EKdS1_dEEvlllT_PT11_llS4_llS2_PT12_llPT13_lli.has_dyn_sized_stack, 0
	.set _ZN12_GLOBAL__N_127rocblas_gemm_batched_kernelIdLi16ELi16ELi32ELi32ELi8ELi32ELi8ELi8ELi32ELc84ELc67EKdS1_dEEvlllT_PT11_llS4_llS2_PT12_llPT13_lli.has_recursion, 0
	.set _ZN12_GLOBAL__N_127rocblas_gemm_batched_kernelIdLi16ELi16ELi32ELi32ELi8ELi32ELi8ELi8ELi32ELc84ELc67EKdS1_dEEvlllT_PT11_llS4_llS2_PT12_llPT13_lli.has_indirect_call, 0
	.section	.AMDGPU.csdata,"",@progbits
; Kernel info:
; codeLenInByte = 1264
; TotalNumSgprs: 34
; NumVgprs: 62
; NumAgprs: 0
; TotalNumVgprs: 62
; ScratchSize: 0
; MemoryBound: 0
; FloatMode: 240
; IeeeMode: 1
; LDSByteSize: 4096 bytes/workgroup (compile time only)
; SGPRBlocks: 4
; VGPRBlocks: 7
; NumSGPRsForWavesPerEU: 34
; NumVGPRsForWavesPerEU: 62
; AccumOffset: 64
; Occupancy: 8
; WaveLimiterHint : 1
; COMPUTE_PGM_RSRC2:SCRATCH_EN: 0
; COMPUTE_PGM_RSRC2:USER_SGPR: 2
; COMPUTE_PGM_RSRC2:TRAP_HANDLER: 0
; COMPUTE_PGM_RSRC2:TGID_X_EN: 1
; COMPUTE_PGM_RSRC2:TGID_Y_EN: 1
; COMPUTE_PGM_RSRC2:TGID_Z_EN: 1
; COMPUTE_PGM_RSRC2:TIDIG_COMP_CNT: 1
; COMPUTE_PGM_RSRC3_GFX90A:ACCUM_OFFSET: 15
; COMPUTE_PGM_RSRC3_GFX90A:TG_SPLIT: 0
	.section	.text._ZN12_GLOBAL__N_135rocblas_gemm_batched_general_kernelIdLi16ELi16ELi32ELi32ELi8ELi32ELi8ELi8ELi32ELc78ELc78EKdS1_dEEvlllT_PT11_llS4_llS2_PT12_llPT13_lli,"axG",@progbits,_ZN12_GLOBAL__N_135rocblas_gemm_batched_general_kernelIdLi16ELi16ELi32ELi32ELi8ELi32ELi8ELi8ELi32ELc78ELc78EKdS1_dEEvlllT_PT11_llS4_llS2_PT12_llPT13_lli,comdat
	.globl	_ZN12_GLOBAL__N_135rocblas_gemm_batched_general_kernelIdLi16ELi16ELi32ELi32ELi8ELi32ELi8ELi8ELi32ELc78ELc78EKdS1_dEEvlllT_PT11_llS4_llS2_PT12_llPT13_lli ; -- Begin function _ZN12_GLOBAL__N_135rocblas_gemm_batched_general_kernelIdLi16ELi16ELi32ELi32ELi8ELi32ELi8ELi8ELi32ELc78ELc78EKdS1_dEEvlllT_PT11_llS4_llS2_PT12_llPT13_lli
	.p2align	8
	.type	_ZN12_GLOBAL__N_135rocblas_gemm_batched_general_kernelIdLi16ELi16ELi32ELi32ELi8ELi32ELi8ELi8ELi32ELc78ELc78EKdS1_dEEvlllT_PT11_llS4_llS2_PT12_llPT13_lli,@function
_ZN12_GLOBAL__N_135rocblas_gemm_batched_general_kernelIdLi16ELi16ELi32ELi32ELi8ELi32ELi8ELi8ELi32ELc78ELc78EKdS1_dEEvlllT_PT11_llS4_llS2_PT12_llPT13_lli: ; @_ZN12_GLOBAL__N_135rocblas_gemm_batched_general_kernelIdLi16ELi16ELi32ELi32ELi8ELi32ELi8ELi8ELi32ELc78ELc78EKdS1_dEEvlllT_PT11_llS4_llS2_PT12_llPT13_lli
; %bb.0:
	s_load_dwordx16 s[12:27], s[0:1], 0x0
	s_load_dwordx16 s[36:51], s[0:1], 0x40
	s_mov_b32 s6, s3
	s_ashr_i32 s7, s6, 31
	v_mov_b32_e32 v11, 0
	s_ashr_i32 s3, s2, 31
	s_lshl_b64 s[28:29], s[6:7], 5
	s_waitcnt lgkmcnt(0)
	v_cmp_lt_i64_e64 s[6:7], s[16:17], 1
	v_and_b32_e32 v2, 0x3ff, v0
	v_bfe_u32 v10, v0, 10, 10
	v_mov_b32_e32 v3, v11
	s_lshl_b64 s[10:11], s[2:3], 5
	s_and_b64 vcc, exec, s[6:7]
	s_cbranch_vccnz .LBB78_7
; %bb.1:
	v_lshl_add_u32 v6, v10, 4, v2
	v_and_b32_e32 v14, 7, v2
	v_lshrrev_b32_e32 v0, 3, v6
	v_mov_b32_e32 v1, v11
	v_lshlrev_b32_e32 v8, 3, v14
	v_lshl_add_u64 v[4:5], v[0:1], 0, s[28:29]
	v_and_b32_e32 v1, 31, v6
	v_lshl_or_b32 v0, v0, 6, v8
	v_lshrrev_b32_e32 v12, 5, v6
	v_or_b32_e32 v6, s10, v1
	v_mov_b32_e32 v7, s11
	v_add_u32_e32 v23, 0x800, v0
	v_mov_b32_e32 v0, 0x800
	v_cmp_gt_i64_e64 s[6:7], s[12:13], v[6:7]
	v_lshlrev_b32_e32 v6, 3, v1
	v_lshl_add_u32 v25, v10, 6, v0
	v_mad_u64_u32 v[0:1], s[30:31], s36, v4, 0
	s_mul_i32 s5, s39, s4
	s_mul_hi_u32 s30, s38, s4
	v_cmp_gt_i64_e64 s[8:9], s[14:15], v[4:5]
	v_mul_lo_u32 v7, s37, v4
	v_mul_lo_u32 v5, s36, v5
	s_add_i32 s31, s30, s5
	s_mul_i32 s30, s38, s4
	v_add3_u32 v1, v1, v5, v7
	s_lshl_b64 s[30:31], s[30:31], 3
	v_lshl_add_u64 v[0:1], v[0:1], 3, s[30:31]
	v_mov_b32_e32 v9, v11
	v_lshl_add_u64 v[0:1], v[0:1], 0, v[8:9]
	s_mul_i32 s5, s25, s4
	s_mul_hi_u32 s25, s24, s4
	v_lshl_add_u64 v[16:17], s[26:27], 0, v[0:1]
	v_mad_u64_u32 v[0:1], s[26:27], s22, v12, 0
	s_add_i32 s25, s25, s5
	s_mul_i32 s24, s24, s4
	v_mov_b32_e32 v4, v1
	s_lshl_b64 s[24:25], s[24:25], 3
	s_lshl_b64 s[2:3], s[2:3], 8
	v_mad_u64_u32 v[4:5], s[26:27], s23, v12, v[4:5]
	s_add_u32 s2, s2, s24
	v_mov_b32_e32 v1, v4
	s_addc_u32 s3, s3, s25
	v_lshl_add_u64 v[0:1], v[0:1], 3, s[2:3]
	v_mov_b32_e32 v7, v11
	v_lshl_add_u64 v[0:1], v[0:1], 0, v[6:7]
	v_mov_b32_e32 v13, v11
	v_mov_b32_e32 v15, v11
	v_lshl_or_b32 v22, v12, 8, v6
	v_lshlrev_b32_e32 v24, 3, v2
	v_lshl_add_u64 v[18:19], s[20:21], 0, v[0:1]
	s_lshl_b64 s[2:3], s[22:23], 6
	s_mov_b64 s[20:21], 0
	v_mov_b64_e32 v[0:1], 0
	v_mov_b64_e32 v[20:21], s[16:17]
	;; [unrolled: 1-line block ×5, first 2 shown]
	s_branch .LBB78_3
.LBB78_2:                               ;   in Loop: Header=BB78_3 Depth=1
	s_or_b64 exec, exec, s[22:23]
	s_waitcnt vmcnt(0)
	ds_write_b64 v23, v[26:27]
	s_waitcnt lgkmcnt(0)
	s_barrier
	ds_read2_b64 v[26:29], v24 offset1:16
	ds_read_b128 v[30:33], v25
	ds_read_b128 v[34:37], v25 offset:16
	ds_read_b128 v[38:41], v25 offset:32
	;; [unrolled: 1-line block ×4, first 2 shown]
	ds_read2_b64 v[50:53], v24 offset0:32 offset1:48
	s_waitcnt lgkmcnt(5)
	v_fmac_f64_e32 v[8:9], v[26:27], v[30:31]
	v_fmac_f64_e32 v[6:7], v[28:29], v[30:31]
	ds_read_b128 v[54:57], v25 offset:1040
	s_waitcnt lgkmcnt(2)
	v_fmac_f64_e32 v[4:5], v[26:27], v[46:47]
	v_fmac_f64_e32 v[0:1], v[28:29], v[46:47]
	ds_read2_b64 v[26:29], v24 offset0:64 offset1:80
	s_waitcnt lgkmcnt(2)
	v_fmac_f64_e32 v[8:9], v[50:51], v[32:33]
	v_fmac_f64_e32 v[6:7], v[52:53], v[32:33]
	ds_read2_b64 v[30:33], v24 offset0:96 offset1:112
	v_fmac_f64_e32 v[4:5], v[50:51], v[48:49]
	v_fmac_f64_e32 v[0:1], v[52:53], v[48:49]
	s_waitcnt lgkmcnt(1)
	v_fmac_f64_e32 v[8:9], v[26:27], v[34:35]
	v_fmac_f64_e32 v[6:7], v[28:29], v[34:35]
	ds_read_b128 v[46:49], v25 offset:1072
	v_fmac_f64_e32 v[4:5], v[26:27], v[54:55]
	v_fmac_f64_e32 v[0:1], v[28:29], v[54:55]
	s_waitcnt lgkmcnt(1)
	v_fmac_f64_e32 v[8:9], v[30:31], v[36:37]
	ds_read2_b64 v[26:29], v24 offset0:128 offset1:144
	v_fmac_f64_e32 v[6:7], v[32:33], v[36:37]
	v_fmac_f64_e32 v[4:5], v[30:31], v[56:57]
	;; [unrolled: 1-line block ×3, first 2 shown]
	ds_read_b128 v[30:33], v25 offset:1056
	ds_read2_b64 v[34:37], v24 offset0:160 offset1:176
	s_waitcnt lgkmcnt(2)
	v_fmac_f64_e32 v[8:9], v[26:27], v[38:39]
	v_fmac_f64_e32 v[6:7], v[28:29], v[38:39]
	s_add_u32 s20, s20, 8
	s_waitcnt lgkmcnt(1)
	v_fmac_f64_e32 v[4:5], v[26:27], v[30:31]
	v_fmac_f64_e32 v[0:1], v[28:29], v[30:31]
	ds_read2_b64 v[26:29], v24 offset0:192 offset1:208
	s_waitcnt lgkmcnt(1)
	v_fmac_f64_e32 v[4:5], v[34:35], v[32:33]
	v_fmac_f64_e32 v[0:1], v[36:37], v[32:33]
	ds_read2_b64 v[30:33], v24 offset0:224 offset1:240
	v_fmac_f64_e32 v[8:9], v[34:35], v[40:41]
	v_fmac_f64_e32 v[6:7], v[36:37], v[40:41]
	s_addc_u32 s21, s21, 0
	s_waitcnt lgkmcnt(1)
	v_fmac_f64_e32 v[8:9], v[26:27], v[42:43]
	v_fmac_f64_e32 v[6:7], v[28:29], v[42:43]
	;; [unrolled: 1-line block ×4, first 2 shown]
	v_cmp_lt_i64_e32 vcc, s[20:21], v[20:21]
	s_waitcnt lgkmcnt(0)
	v_fmac_f64_e32 v[8:9], v[30:31], v[44:45]
	v_fmac_f64_e32 v[6:7], v[32:33], v[44:45]
	;; [unrolled: 1-line block ×4, first 2 shown]
	v_lshl_add_u64 v[16:17], v[16:17], 0, 64
	v_lshl_add_u64 v[18:19], v[18:19], 0, s[2:3]
	s_barrier
	s_cbranch_vccz .LBB78_8
.LBB78_3:                               ; =>This Inner Loop Header: Depth=1
	v_lshl_add_u64 v[26:27], v[12:13], 0, s[20:21]
	v_cmp_gt_i64_e32 vcc, s[16:17], v[26:27]
	s_and_b64 s[24:25], s[6:7], vcc
	v_mov_b64_e32 v[26:27], 0
	s_and_saveexec_b64 s[22:23], s[24:25]
	s_cbranch_execz .LBB78_5
; %bb.4:                                ;   in Loop: Header=BB78_3 Depth=1
	global_load_dwordx2 v[26:27], v[18:19], off
.LBB78_5:                               ;   in Loop: Header=BB78_3 Depth=1
	s_or_b64 exec, exec, s[22:23]
	s_waitcnt vmcnt(0)
	ds_write_b64 v22, v[26:27]
	v_lshl_add_u64 v[26:27], v[14:15], 0, s[20:21]
	v_cmp_gt_i64_e32 vcc, s[16:17], v[26:27]
	s_and_b64 s[24:25], vcc, s[8:9]
	v_mov_b64_e32 v[26:27], 0
	s_and_saveexec_b64 s[22:23], s[24:25]
	s_cbranch_execz .LBB78_2
; %bb.6:                                ;   in Loop: Header=BB78_3 Depth=1
	global_load_dwordx2 v[26:27], v[16:17], off
	s_branch .LBB78_2
.LBB78_7:
	v_mov_b64_e32 v[8:9], 0
	v_mov_b64_e32 v[6:7], 0
	;; [unrolled: 1-line block ×4, first 2 shown]
.LBB78_8:
	s_load_dwordx2 s[0:1], s[0:1], 0x80
	v_lshl_add_u64 v[10:11], s[28:29], 0, v[10:11]
	v_cmp_neq_f64_e64 s[2:3], s[40:41], 0
	s_waitcnt lgkmcnt(0)
	s_mul_i32 s1, s1, s4
	s_mul_hi_u32 s5, s0, s4
	s_mul_i32 s0, s0, s4
	s_add_i32 s1, s5, s1
	s_lshl_b64 s[0:1], s[0:1], 3
	s_add_u32 s8, s48, s0
	s_addc_u32 s9, s49, s1
	v_cmp_gt_i64_e64 s[0:1], s[14:15], v[10:11]
	s_and_b64 vcc, exec, s[2:3]
	s_cbranch_vccnz .LBB78_21
; %bb.9:
	s_and_saveexec_b64 s[16:17], s[0:1]
	s_cbranch_execz .LBB78_19
; %bb.10:
	v_mul_lo_u32 v16, v11, s50
	v_mul_lo_u32 v17, v10, s51
	v_mad_u64_u32 v[14:15], s[2:3], v10, s50, 0
	v_add3_u32 v15, v15, v17, v16
	v_lshl_add_u64 v[12:13], s[10:11], 0, v[2:3]
	v_lshl_add_u64 v[14:15], v[14:15], 3, s[8:9]
	v_cmp_gt_i64_e32 vcc, s[12:13], v[12:13]
	v_lshl_add_u64 v[16:17], v[12:13], 3, v[14:15]
	s_and_saveexec_b64 s[2:3], vcc
	s_cbranch_execz .LBB78_12
; %bb.11:
	v_mul_f64 v[18:19], s[18:19], v[8:9]
	global_store_dwordx2 v[16:17], v[18:19], off
.LBB78_12:
	s_or_b64 exec, exec, s[2:3]
	v_lshl_add_u64 v[18:19], v[12:13], 0, 16
	v_cmp_gt_i64_e64 s[2:3], s[12:13], v[18:19]
	s_and_saveexec_b64 s[6:7], s[2:3]
	s_cbranch_execz .LBB78_14
; %bb.13:
	v_mul_f64 v[18:19], s[18:19], v[6:7]
	global_store_dwordx2 v[16:17], v[18:19], off offset:128
.LBB78_14:
	s_or_b64 exec, exec, s[6:7]
	v_lshl_add_u64 v[16:17], v[10:11], 0, 16
	v_cmp_gt_i64_e64 s[6:7], s[14:15], v[16:17]
	s_and_b64 exec, exec, s[6:7]
	s_cbranch_execz .LBB78_19
; %bb.15:
	s_lshl_b64 s[6:7], s[50:51], 7
	v_lshl_add_u64 v[14:15], v[14:15], 0, s[6:7]
	v_lshl_add_u64 v[12:13], v[12:13], 3, v[14:15]
	s_and_saveexec_b64 s[6:7], vcc
	s_cbranch_execz .LBB78_17
; %bb.16:
	v_mul_f64 v[14:15], s[18:19], v[4:5]
	global_store_dwordx2 v[12:13], v[14:15], off
.LBB78_17:
	s_or_b64 exec, exec, s[6:7]
	s_and_b64 exec, exec, s[2:3]
	s_cbranch_execz .LBB78_19
; %bb.18:
	v_mul_f64 v[14:15], s[18:19], v[0:1]
	global_store_dwordx2 v[12:13], v[14:15], off offset:128
.LBB78_19:
	s_or_b64 exec, exec, s[16:17]
	s_cbranch_execz .LBB78_22
.LBB78_20:
	s_endpgm
.LBB78_21:
.LBB78_22:
	s_and_saveexec_b64 s[2:3], s[0:1]
	s_cbranch_execz .LBB78_20
; %bb.23:
	s_mul_i32 s0, s47, s4
	s_mul_hi_u32 s1, s46, s4
	s_add_i32 s1, s1, s0
	s_mul_i32 s0, s46, s4
	s_lshl_b64 s[0:1], s[0:1], 3
	v_lshl_add_u64 v[16:17], s[10:11], 0, v[2:3]
	v_mul_lo_u32 v12, v11, s44
	v_mul_lo_u32 v13, v10, s45
	v_mad_u64_u32 v[2:3], s[2:3], v10, s44, 0
	s_add_u32 s0, s42, s0
	v_add3_u32 v3, v3, v13, v12
	v_mul_lo_u32 v14, v11, s50
	v_mul_lo_u32 v15, v10, s51
	v_mad_u64_u32 v[12:13], s[2:3], v10, s50, 0
	s_addc_u32 s1, s43, s1
	v_add3_u32 v13, v13, v15, v14
	v_cmp_gt_i64_e32 vcc, s[12:13], v[16:17]
	v_lshl_add_u64 v[14:15], v[2:3], 3, s[0:1]
	v_lshl_add_u64 v[12:13], v[12:13], 3, s[8:9]
	v_lshlrev_b64 v[2:3], 3, v[16:17]
	s_and_saveexec_b64 s[0:1], vcc
	s_cbranch_execz .LBB78_25
; %bb.24:
	v_lshl_add_u64 v[18:19], v[14:15], 0, v[2:3]
	global_load_dwordx2 v[18:19], v[18:19], off
	s_waitcnt vmcnt(0)
	v_mul_f64 v[18:19], s[40:41], v[18:19]
	v_fmac_f64_e32 v[18:19], s[18:19], v[8:9]
	v_lshl_add_u64 v[8:9], v[12:13], 0, v[2:3]
	global_store_dwordx2 v[8:9], v[18:19], off
.LBB78_25:
	s_or_b64 exec, exec, s[0:1]
	v_lshl_add_u64 v[8:9], v[16:17], 0, 16
	v_cmp_gt_i64_e64 s[0:1], s[12:13], v[8:9]
	s_and_saveexec_b64 s[2:3], s[0:1]
	s_cbranch_execz .LBB78_27
; %bb.26:
	v_lshl_add_u64 v[8:9], v[14:15], 0, v[2:3]
	global_load_dwordx2 v[8:9], v[8:9], off offset:128
	s_waitcnt vmcnt(0)
	v_mul_f64 v[8:9], s[40:41], v[8:9]
	v_fmac_f64_e32 v[8:9], s[18:19], v[6:7]
	v_lshl_add_u64 v[6:7], v[12:13], 0, v[2:3]
	global_store_dwordx2 v[6:7], v[8:9], off offset:128
.LBB78_27:
	s_or_b64 exec, exec, s[2:3]
	v_lshl_add_u64 v[6:7], v[10:11], 0, 16
	v_cmp_gt_i64_e64 s[2:3], s[14:15], v[6:7]
	s_and_b64 exec, exec, s[2:3]
	s_cbranch_execz .LBB78_20
; %bb.28:
	s_lshl_b64 s[2:3], s[44:45], 7
	v_lshl_add_u64 v[6:7], v[14:15], 0, s[2:3]
	s_lshl_b64 s[2:3], s[50:51], 7
	v_lshl_add_u64 v[8:9], v[12:13], 0, s[2:3]
	v_lshl_add_u64 v[6:7], v[6:7], 0, v[2:3]
	;; [unrolled: 1-line block ×3, first 2 shown]
	s_and_saveexec_b64 s[2:3], vcc
	s_cbranch_execz .LBB78_30
; %bb.29:
	global_load_dwordx2 v[8:9], v[6:7], off
	s_waitcnt vmcnt(0)
	v_mul_f64 v[8:9], s[40:41], v[8:9]
	v_fmac_f64_e32 v[8:9], s[18:19], v[4:5]
	global_store_dwordx2 v[2:3], v[8:9], off
.LBB78_30:
	s_or_b64 exec, exec, s[2:3]
	s_and_b64 exec, exec, s[0:1]
	s_cbranch_execz .LBB78_20
; %bb.31:
	global_load_dwordx2 v[4:5], v[6:7], off offset:128
	s_waitcnt vmcnt(0)
	v_mul_f64 v[4:5], s[40:41], v[4:5]
	v_fmac_f64_e32 v[4:5], s[18:19], v[0:1]
	global_store_dwordx2 v[2:3], v[4:5], off offset:128
	s_endpgm
	.section	.rodata,"a",@progbits
	.p2align	6, 0x0
	.amdhsa_kernel _ZN12_GLOBAL__N_135rocblas_gemm_batched_general_kernelIdLi16ELi16ELi32ELi32ELi8ELi32ELi8ELi8ELi32ELc78ELc78EKdS1_dEEvlllT_PT11_llS4_llS2_PT12_llPT13_lli
		.amdhsa_group_segment_fixed_size 4096
		.amdhsa_private_segment_fixed_size 0
		.amdhsa_kernarg_size 140
		.amdhsa_user_sgpr_count 2
		.amdhsa_user_sgpr_dispatch_ptr 0
		.amdhsa_user_sgpr_queue_ptr 0
		.amdhsa_user_sgpr_kernarg_segment_ptr 1
		.amdhsa_user_sgpr_dispatch_id 0
		.amdhsa_user_sgpr_kernarg_preload_length 0
		.amdhsa_user_sgpr_kernarg_preload_offset 0
		.amdhsa_user_sgpr_private_segment_size 0
		.amdhsa_uses_dynamic_stack 0
		.amdhsa_enable_private_segment 0
		.amdhsa_system_sgpr_workgroup_id_x 1
		.amdhsa_system_sgpr_workgroup_id_y 1
		.amdhsa_system_sgpr_workgroup_id_z 1
		.amdhsa_system_sgpr_workgroup_info 0
		.amdhsa_system_vgpr_workitem_id 1
		.amdhsa_next_free_vgpr 58
		.amdhsa_next_free_sgpr 52
		.amdhsa_accum_offset 60
		.amdhsa_reserve_vcc 1
		.amdhsa_float_round_mode_32 0
		.amdhsa_float_round_mode_16_64 0
		.amdhsa_float_denorm_mode_32 3
		.amdhsa_float_denorm_mode_16_64 3
		.amdhsa_dx10_clamp 1
		.amdhsa_ieee_mode 1
		.amdhsa_fp16_overflow 0
		.amdhsa_tg_split 0
		.amdhsa_exception_fp_ieee_invalid_op 0
		.amdhsa_exception_fp_denorm_src 0
		.amdhsa_exception_fp_ieee_div_zero 0
		.amdhsa_exception_fp_ieee_overflow 0
		.amdhsa_exception_fp_ieee_underflow 0
		.amdhsa_exception_fp_ieee_inexact 0
		.amdhsa_exception_int_div_zero 0
	.end_amdhsa_kernel
	.section	.text._ZN12_GLOBAL__N_135rocblas_gemm_batched_general_kernelIdLi16ELi16ELi32ELi32ELi8ELi32ELi8ELi8ELi32ELc78ELc78EKdS1_dEEvlllT_PT11_llS4_llS2_PT12_llPT13_lli,"axG",@progbits,_ZN12_GLOBAL__N_135rocblas_gemm_batched_general_kernelIdLi16ELi16ELi32ELi32ELi8ELi32ELi8ELi8ELi32ELc78ELc78EKdS1_dEEvlllT_PT11_llS4_llS2_PT12_llPT13_lli,comdat
.Lfunc_end78:
	.size	_ZN12_GLOBAL__N_135rocblas_gemm_batched_general_kernelIdLi16ELi16ELi32ELi32ELi8ELi32ELi8ELi8ELi32ELc78ELc78EKdS1_dEEvlllT_PT11_llS4_llS2_PT12_llPT13_lli, .Lfunc_end78-_ZN12_GLOBAL__N_135rocblas_gemm_batched_general_kernelIdLi16ELi16ELi32ELi32ELi8ELi32ELi8ELi8ELi32ELc78ELc78EKdS1_dEEvlllT_PT11_llS4_llS2_PT12_llPT13_lli
                                        ; -- End function
	.set _ZN12_GLOBAL__N_135rocblas_gemm_batched_general_kernelIdLi16ELi16ELi32ELi32ELi8ELi32ELi8ELi8ELi32ELc78ELc78EKdS1_dEEvlllT_PT11_llS4_llS2_PT12_llPT13_lli.num_vgpr, 58
	.set _ZN12_GLOBAL__N_135rocblas_gemm_batched_general_kernelIdLi16ELi16ELi32ELi32ELi8ELi32ELi8ELi8ELi32ELc78ELc78EKdS1_dEEvlllT_PT11_llS4_llS2_PT12_llPT13_lli.num_agpr, 0
	.set _ZN12_GLOBAL__N_135rocblas_gemm_batched_general_kernelIdLi16ELi16ELi32ELi32ELi8ELi32ELi8ELi8ELi32ELc78ELc78EKdS1_dEEvlllT_PT11_llS4_llS2_PT12_llPT13_lli.numbered_sgpr, 52
	.set _ZN12_GLOBAL__N_135rocblas_gemm_batched_general_kernelIdLi16ELi16ELi32ELi32ELi8ELi32ELi8ELi8ELi32ELc78ELc78EKdS1_dEEvlllT_PT11_llS4_llS2_PT12_llPT13_lli.num_named_barrier, 0
	.set _ZN12_GLOBAL__N_135rocblas_gemm_batched_general_kernelIdLi16ELi16ELi32ELi32ELi8ELi32ELi8ELi8ELi32ELc78ELc78EKdS1_dEEvlllT_PT11_llS4_llS2_PT12_llPT13_lli.private_seg_size, 0
	.set _ZN12_GLOBAL__N_135rocblas_gemm_batched_general_kernelIdLi16ELi16ELi32ELi32ELi8ELi32ELi8ELi8ELi32ELc78ELc78EKdS1_dEEvlllT_PT11_llS4_llS2_PT12_llPT13_lli.uses_vcc, 1
	.set _ZN12_GLOBAL__N_135rocblas_gemm_batched_general_kernelIdLi16ELi16ELi32ELi32ELi8ELi32ELi8ELi8ELi32ELc78ELc78EKdS1_dEEvlllT_PT11_llS4_llS2_PT12_llPT13_lli.uses_flat_scratch, 0
	.set _ZN12_GLOBAL__N_135rocblas_gemm_batched_general_kernelIdLi16ELi16ELi32ELi32ELi8ELi32ELi8ELi8ELi32ELc78ELc78EKdS1_dEEvlllT_PT11_llS4_llS2_PT12_llPT13_lli.has_dyn_sized_stack, 0
	.set _ZN12_GLOBAL__N_135rocblas_gemm_batched_general_kernelIdLi16ELi16ELi32ELi32ELi8ELi32ELi8ELi8ELi32ELc78ELc78EKdS1_dEEvlllT_PT11_llS4_llS2_PT12_llPT13_lli.has_recursion, 0
	.set _ZN12_GLOBAL__N_135rocblas_gemm_batched_general_kernelIdLi16ELi16ELi32ELi32ELi8ELi32ELi8ELi8ELi32ELc78ELc78EKdS1_dEEvlllT_PT11_llS4_llS2_PT12_llPT13_lli.has_indirect_call, 0
	.section	.AMDGPU.csdata,"",@progbits
; Kernel info:
; codeLenInByte = 1604
; TotalNumSgprs: 58
; NumVgprs: 58
; NumAgprs: 0
; TotalNumVgprs: 58
; ScratchSize: 0
; MemoryBound: 0
; FloatMode: 240
; IeeeMode: 1
; LDSByteSize: 4096 bytes/workgroup (compile time only)
; SGPRBlocks: 7
; VGPRBlocks: 7
; NumSGPRsForWavesPerEU: 58
; NumVGPRsForWavesPerEU: 58
; AccumOffset: 60
; Occupancy: 8
; WaveLimiterHint : 0
; COMPUTE_PGM_RSRC2:SCRATCH_EN: 0
; COMPUTE_PGM_RSRC2:USER_SGPR: 2
; COMPUTE_PGM_RSRC2:TRAP_HANDLER: 0
; COMPUTE_PGM_RSRC2:TGID_X_EN: 1
; COMPUTE_PGM_RSRC2:TGID_Y_EN: 1
; COMPUTE_PGM_RSRC2:TGID_Z_EN: 1
; COMPUTE_PGM_RSRC2:TIDIG_COMP_CNT: 1
; COMPUTE_PGM_RSRC3_GFX90A:ACCUM_OFFSET: 14
; COMPUTE_PGM_RSRC3_GFX90A:TG_SPLIT: 0
	.section	.text._ZN12_GLOBAL__N_135rocblas_gemm_batched_general_kernelIdLi16ELi16ELi32ELi32ELi8ELi32ELi8ELi8ELi32ELc84ELc78EKdS1_dEEvlllT_PT11_llS4_llS2_PT12_llPT13_lli,"axG",@progbits,_ZN12_GLOBAL__N_135rocblas_gemm_batched_general_kernelIdLi16ELi16ELi32ELi32ELi8ELi32ELi8ELi8ELi32ELc84ELc78EKdS1_dEEvlllT_PT11_llS4_llS2_PT12_llPT13_lli,comdat
	.globl	_ZN12_GLOBAL__N_135rocblas_gemm_batched_general_kernelIdLi16ELi16ELi32ELi32ELi8ELi32ELi8ELi8ELi32ELc84ELc78EKdS1_dEEvlllT_PT11_llS4_llS2_PT12_llPT13_lli ; -- Begin function _ZN12_GLOBAL__N_135rocblas_gemm_batched_general_kernelIdLi16ELi16ELi32ELi32ELi8ELi32ELi8ELi8ELi32ELc84ELc78EKdS1_dEEvlllT_PT11_llS4_llS2_PT12_llPT13_lli
	.p2align	8
	.type	_ZN12_GLOBAL__N_135rocblas_gemm_batched_general_kernelIdLi16ELi16ELi32ELi32ELi8ELi32ELi8ELi8ELi32ELc84ELc78EKdS1_dEEvlllT_PT11_llS4_llS2_PT12_llPT13_lli,@function
_ZN12_GLOBAL__N_135rocblas_gemm_batched_general_kernelIdLi16ELi16ELi32ELi32ELi8ELi32ELi8ELi8ELi32ELc84ELc78EKdS1_dEEvlllT_PT11_llS4_llS2_PT12_llPT13_lli: ; @_ZN12_GLOBAL__N_135rocblas_gemm_batched_general_kernelIdLi16ELi16ELi32ELi32ELi8ELi32ELi8ELi8ELi32ELc84ELc78EKdS1_dEEvlllT_PT11_llS4_llS2_PT12_llPT13_lli
; %bb.0:
	s_load_dwordx16 s[8:23], s[0:1], 0x0
	s_load_dwordx16 s[36:51], s[0:1], 0x40
	s_mov_b32 s6, s3
	s_ashr_i32 s3, s2, 31
	v_mov_b32_e32 v11, 0
	s_lshl_b64 s[24:25], s[2:3], 5
	s_ashr_i32 s7, s6, 31
	s_waitcnt lgkmcnt(0)
	v_cmp_lt_i64_e64 s[2:3], s[12:13], 1
	v_and_b32_e32 v2, 0x3ff, v0
	v_bfe_u32 v10, v0, 10, 10
	v_mov_b32_e32 v3, v11
	s_lshl_b64 s[26:27], s[6:7], 5
	s_and_b64 vcc, exec, s[2:3]
	s_cbranch_vccnz .LBB79_7
; %bb.1:
	v_lshl_add_u32 v6, v10, 4, v2
	v_lshrrev_b32_e32 v12, 5, v6
	v_lshrrev_b32_e32 v0, 3, v6
	v_and_b32_e32 v6, 31, v6
	v_and_b32_e32 v14, 7, v2
	v_or_b32_e32 v8, s24, v6
	v_mov_b32_e32 v9, s25
	v_mov_b32_e32 v1, v11
	v_cmp_gt_i64_e64 s[2:3], s[8:9], v[8:9]
	v_lshlrev_b32_e32 v8, 3, v14
	v_lshl_add_u64 v[4:5], v[0:1], 0, s[26:27]
	v_lshl_or_b32 v0, v0, 6, v8
	v_lshlrev_b32_e32 v1, 3, v6
	v_add_u32_e32 v23, 0x800, v0
	v_mov_b32_e32 v0, 0x800
	v_lshl_or_b32 v22, v12, 8, v1
	v_lshl_add_u32 v25, v10, 6, v0
	v_mad_u64_u32 v[0:1], s[28:29], s36, v4, 0
	s_mul_i32 s5, s39, s4
	s_mul_hi_u32 s28, s38, s4
	v_cmp_gt_i64_e64 s[6:7], s[10:11], v[4:5]
	v_mul_lo_u32 v9, s37, v4
	v_mul_lo_u32 v5, s36, v5
	s_add_i32 s29, s28, s5
	s_mul_i32 s28, s38, s4
	v_add3_u32 v1, v1, v5, v9
	s_lshl_b64 s[28:29], s[28:29], 3
	v_lshl_add_u64 v[0:1], v[0:1], 3, s[28:29]
	v_mov_b32_e32 v9, v11
	v_mov_b32_e32 v7, v11
	v_lshl_add_u64 v[0:1], v[0:1], 0, v[8:9]
	v_lshl_add_u64 v[16:17], s[22:23], 0, v[0:1]
	;; [unrolled: 1-line block ×3, first 2 shown]
	v_mul_lo_u32 v4, s19, v0
	v_mul_lo_u32 v5, s18, v1
	v_mad_u64_u32 v[0:1], s[18:19], s18, v0, 0
	s_mul_i32 s5, s21, s4
	s_mul_hi_u32 s18, s20, s4
	s_add_i32 s19, s18, s5
	s_mul_i32 s18, s20, s4
	v_add3_u32 v1, v1, v5, v4
	s_lshl_b64 s[18:19], s[18:19], 3
	v_lshl_add_u64 v[0:1], v[0:1], 3, s[18:19]
	v_lshlrev_b32_e32 v4, 3, v12
	v_mov_b32_e32 v5, v11
	v_lshl_add_u64 v[0:1], v[0:1], 0, v[4:5]
	v_mov_b32_e32 v13, v11
	v_mov_b32_e32 v15, v11
	v_lshlrev_b32_e32 v24, 3, v2
	v_lshl_add_u64 v[18:19], s[16:17], 0, v[0:1]
	s_mov_b64 s[16:17], 0
	v_mov_b64_e32 v[0:1], 0
	v_mov_b64_e32 v[20:21], s[12:13]
	;; [unrolled: 1-line block ×5, first 2 shown]
	s_branch .LBB79_3
.LBB79_2:                               ;   in Loop: Header=BB79_3 Depth=1
	s_or_b64 exec, exec, s[18:19]
	s_waitcnt vmcnt(0)
	ds_write_b64 v23, v[26:27]
	s_waitcnt lgkmcnt(0)
	s_barrier
	ds_read2_b64 v[26:29], v24 offset1:16
	ds_read_b128 v[30:33], v25
	ds_read_b128 v[34:37], v25 offset:16
	ds_read_b128 v[38:41], v25 offset:32
	;; [unrolled: 1-line block ×4, first 2 shown]
	ds_read2_b64 v[50:53], v24 offset0:32 offset1:48
	s_waitcnt lgkmcnt(5)
	v_fmac_f64_e32 v[8:9], v[26:27], v[30:31]
	v_fmac_f64_e32 v[6:7], v[28:29], v[30:31]
	ds_read_b128 v[54:57], v25 offset:1040
	s_waitcnt lgkmcnt(2)
	v_fmac_f64_e32 v[4:5], v[26:27], v[46:47]
	v_fmac_f64_e32 v[0:1], v[28:29], v[46:47]
	ds_read2_b64 v[26:29], v24 offset0:64 offset1:80
	s_waitcnt lgkmcnt(2)
	v_fmac_f64_e32 v[8:9], v[50:51], v[32:33]
	v_fmac_f64_e32 v[6:7], v[52:53], v[32:33]
	ds_read2_b64 v[30:33], v24 offset0:96 offset1:112
	v_fmac_f64_e32 v[4:5], v[50:51], v[48:49]
	v_fmac_f64_e32 v[0:1], v[52:53], v[48:49]
	s_waitcnt lgkmcnt(1)
	v_fmac_f64_e32 v[8:9], v[26:27], v[34:35]
	v_fmac_f64_e32 v[6:7], v[28:29], v[34:35]
	ds_read_b128 v[46:49], v25 offset:1072
	v_fmac_f64_e32 v[4:5], v[26:27], v[54:55]
	v_fmac_f64_e32 v[0:1], v[28:29], v[54:55]
	s_waitcnt lgkmcnt(1)
	v_fmac_f64_e32 v[8:9], v[30:31], v[36:37]
	ds_read2_b64 v[26:29], v24 offset0:128 offset1:144
	v_fmac_f64_e32 v[6:7], v[32:33], v[36:37]
	v_fmac_f64_e32 v[4:5], v[30:31], v[56:57]
	;; [unrolled: 1-line block ×3, first 2 shown]
	ds_read_b128 v[30:33], v25 offset:1056
	ds_read2_b64 v[34:37], v24 offset0:160 offset1:176
	s_waitcnt lgkmcnt(2)
	v_fmac_f64_e32 v[8:9], v[26:27], v[38:39]
	v_fmac_f64_e32 v[6:7], v[28:29], v[38:39]
	s_add_u32 s16, s16, 8
	s_waitcnt lgkmcnt(1)
	v_fmac_f64_e32 v[4:5], v[26:27], v[30:31]
	v_fmac_f64_e32 v[0:1], v[28:29], v[30:31]
	ds_read2_b64 v[26:29], v24 offset0:192 offset1:208
	s_waitcnt lgkmcnt(1)
	v_fmac_f64_e32 v[4:5], v[34:35], v[32:33]
	v_fmac_f64_e32 v[0:1], v[36:37], v[32:33]
	ds_read2_b64 v[30:33], v24 offset0:224 offset1:240
	v_fmac_f64_e32 v[8:9], v[34:35], v[40:41]
	v_fmac_f64_e32 v[6:7], v[36:37], v[40:41]
	s_addc_u32 s17, s17, 0
	s_waitcnt lgkmcnt(1)
	v_fmac_f64_e32 v[8:9], v[26:27], v[42:43]
	v_fmac_f64_e32 v[6:7], v[28:29], v[42:43]
	;; [unrolled: 1-line block ×4, first 2 shown]
	v_cmp_lt_i64_e32 vcc, s[16:17], v[20:21]
	s_waitcnt lgkmcnt(0)
	v_fmac_f64_e32 v[8:9], v[30:31], v[44:45]
	v_fmac_f64_e32 v[6:7], v[32:33], v[44:45]
	v_fmac_f64_e32 v[4:5], v[30:31], v[48:49]
	v_fmac_f64_e32 v[0:1], v[32:33], v[48:49]
	v_lshl_add_u64 v[16:17], v[16:17], 0, 64
	v_lshl_add_u64 v[18:19], v[18:19], 0, 64
	s_barrier
	s_cbranch_vccz .LBB79_8
.LBB79_3:                               ; =>This Inner Loop Header: Depth=1
	v_lshl_add_u64 v[26:27], v[12:13], 0, s[16:17]
	v_cmp_gt_i64_e32 vcc, s[12:13], v[26:27]
	s_and_b64 s[20:21], s[2:3], vcc
	v_mov_b64_e32 v[26:27], 0
	s_and_saveexec_b64 s[18:19], s[20:21]
	s_cbranch_execz .LBB79_5
; %bb.4:                                ;   in Loop: Header=BB79_3 Depth=1
	global_load_dwordx2 v[26:27], v[18:19], off
.LBB79_5:                               ;   in Loop: Header=BB79_3 Depth=1
	s_or_b64 exec, exec, s[18:19]
	s_waitcnt vmcnt(0)
	ds_write_b64 v22, v[26:27]
	v_lshl_add_u64 v[26:27], v[14:15], 0, s[16:17]
	v_cmp_gt_i64_e32 vcc, s[12:13], v[26:27]
	s_and_b64 s[20:21], vcc, s[6:7]
	v_mov_b64_e32 v[26:27], 0
	s_and_saveexec_b64 s[18:19], s[20:21]
	s_cbranch_execz .LBB79_2
; %bb.6:                                ;   in Loop: Header=BB79_3 Depth=1
	global_load_dwordx2 v[26:27], v[16:17], off
	s_branch .LBB79_2
.LBB79_7:
	v_mov_b64_e32 v[8:9], 0
	v_mov_b64_e32 v[6:7], 0
	;; [unrolled: 1-line block ×4, first 2 shown]
.LBB79_8:
	s_load_dwordx2 s[0:1], s[0:1], 0x80
	v_lshl_add_u64 v[10:11], s[26:27], 0, v[10:11]
	v_cmp_neq_f64_e64 s[2:3], s[40:41], 0
	s_waitcnt lgkmcnt(0)
	s_mul_i32 s1, s1, s4
	s_mul_hi_u32 s5, s0, s4
	s_mul_i32 s0, s0, s4
	s_add_i32 s1, s5, s1
	s_lshl_b64 s[0:1], s[0:1], 3
	s_add_u32 s12, s48, s0
	s_addc_u32 s13, s49, s1
	v_cmp_gt_i64_e64 s[0:1], s[10:11], v[10:11]
	s_and_b64 vcc, exec, s[2:3]
	s_cbranch_vccnz .LBB79_21
; %bb.9:
	s_and_saveexec_b64 s[16:17], s[0:1]
	s_cbranch_execz .LBB79_19
; %bb.10:
	v_mul_lo_u32 v16, v11, s50
	v_mul_lo_u32 v17, v10, s51
	v_mad_u64_u32 v[14:15], s[2:3], v10, s50, 0
	v_add3_u32 v15, v15, v17, v16
	v_lshl_add_u64 v[12:13], s[24:25], 0, v[2:3]
	v_lshl_add_u64 v[14:15], v[14:15], 3, s[12:13]
	v_cmp_gt_i64_e32 vcc, s[8:9], v[12:13]
	v_lshl_add_u64 v[16:17], v[12:13], 3, v[14:15]
	s_and_saveexec_b64 s[2:3], vcc
	s_cbranch_execz .LBB79_12
; %bb.11:
	v_mul_f64 v[18:19], s[14:15], v[8:9]
	global_store_dwordx2 v[16:17], v[18:19], off
.LBB79_12:
	s_or_b64 exec, exec, s[2:3]
	v_lshl_add_u64 v[18:19], v[12:13], 0, 16
	v_cmp_gt_i64_e64 s[2:3], s[8:9], v[18:19]
	s_and_saveexec_b64 s[6:7], s[2:3]
	s_cbranch_execz .LBB79_14
; %bb.13:
	v_mul_f64 v[18:19], s[14:15], v[6:7]
	global_store_dwordx2 v[16:17], v[18:19], off offset:128
.LBB79_14:
	s_or_b64 exec, exec, s[6:7]
	v_lshl_add_u64 v[16:17], v[10:11], 0, 16
	v_cmp_gt_i64_e64 s[6:7], s[10:11], v[16:17]
	s_and_b64 exec, exec, s[6:7]
	s_cbranch_execz .LBB79_19
; %bb.15:
	s_lshl_b64 s[6:7], s[50:51], 7
	v_lshl_add_u64 v[14:15], v[14:15], 0, s[6:7]
	v_lshl_add_u64 v[12:13], v[12:13], 3, v[14:15]
	s_and_saveexec_b64 s[6:7], vcc
	s_cbranch_execz .LBB79_17
; %bb.16:
	v_mul_f64 v[14:15], s[14:15], v[4:5]
	global_store_dwordx2 v[12:13], v[14:15], off
.LBB79_17:
	s_or_b64 exec, exec, s[6:7]
	s_and_b64 exec, exec, s[2:3]
	s_cbranch_execz .LBB79_19
; %bb.18:
	v_mul_f64 v[14:15], s[14:15], v[0:1]
	global_store_dwordx2 v[12:13], v[14:15], off offset:128
.LBB79_19:
	s_or_b64 exec, exec, s[16:17]
	s_cbranch_execz .LBB79_22
.LBB79_20:
	s_endpgm
.LBB79_21:
.LBB79_22:
	s_and_saveexec_b64 s[2:3], s[0:1]
	s_cbranch_execz .LBB79_20
; %bb.23:
	s_mul_i32 s0, s47, s4
	s_mul_hi_u32 s1, s46, s4
	s_add_i32 s1, s1, s0
	s_mul_i32 s0, s46, s4
	s_lshl_b64 s[0:1], s[0:1], 3
	v_lshl_add_u64 v[16:17], s[24:25], 0, v[2:3]
	v_mul_lo_u32 v12, v11, s44
	v_mul_lo_u32 v13, v10, s45
	v_mad_u64_u32 v[2:3], s[2:3], v10, s44, 0
	s_add_u32 s0, s42, s0
	v_add3_u32 v3, v3, v13, v12
	v_mul_lo_u32 v14, v11, s50
	v_mul_lo_u32 v15, v10, s51
	v_mad_u64_u32 v[12:13], s[2:3], v10, s50, 0
	s_addc_u32 s1, s43, s1
	v_add3_u32 v13, v13, v15, v14
	v_cmp_gt_i64_e32 vcc, s[8:9], v[16:17]
	v_lshl_add_u64 v[14:15], v[2:3], 3, s[0:1]
	v_lshl_add_u64 v[12:13], v[12:13], 3, s[12:13]
	v_lshlrev_b64 v[2:3], 3, v[16:17]
	s_and_saveexec_b64 s[0:1], vcc
	s_cbranch_execz .LBB79_25
; %bb.24:
	v_lshl_add_u64 v[18:19], v[14:15], 0, v[2:3]
	global_load_dwordx2 v[18:19], v[18:19], off
	s_waitcnt vmcnt(0)
	v_mul_f64 v[18:19], s[40:41], v[18:19]
	v_fmac_f64_e32 v[18:19], s[14:15], v[8:9]
	v_lshl_add_u64 v[8:9], v[12:13], 0, v[2:3]
	global_store_dwordx2 v[8:9], v[18:19], off
.LBB79_25:
	s_or_b64 exec, exec, s[0:1]
	v_lshl_add_u64 v[8:9], v[16:17], 0, 16
	v_cmp_gt_i64_e64 s[0:1], s[8:9], v[8:9]
	s_and_saveexec_b64 s[2:3], s[0:1]
	s_cbranch_execz .LBB79_27
; %bb.26:
	v_lshl_add_u64 v[8:9], v[14:15], 0, v[2:3]
	global_load_dwordx2 v[8:9], v[8:9], off offset:128
	s_waitcnt vmcnt(0)
	v_mul_f64 v[8:9], s[40:41], v[8:9]
	v_fmac_f64_e32 v[8:9], s[14:15], v[6:7]
	v_lshl_add_u64 v[6:7], v[12:13], 0, v[2:3]
	global_store_dwordx2 v[6:7], v[8:9], off offset:128
.LBB79_27:
	s_or_b64 exec, exec, s[2:3]
	v_lshl_add_u64 v[6:7], v[10:11], 0, 16
	v_cmp_gt_i64_e64 s[2:3], s[10:11], v[6:7]
	s_and_b64 exec, exec, s[2:3]
	s_cbranch_execz .LBB79_20
; %bb.28:
	s_lshl_b64 s[2:3], s[44:45], 7
	v_lshl_add_u64 v[6:7], v[14:15], 0, s[2:3]
	s_lshl_b64 s[2:3], s[50:51], 7
	v_lshl_add_u64 v[8:9], v[12:13], 0, s[2:3]
	v_lshl_add_u64 v[6:7], v[6:7], 0, v[2:3]
	;; [unrolled: 1-line block ×3, first 2 shown]
	s_and_saveexec_b64 s[2:3], vcc
	s_cbranch_execz .LBB79_30
; %bb.29:
	global_load_dwordx2 v[8:9], v[6:7], off
	s_waitcnt vmcnt(0)
	v_mul_f64 v[8:9], s[40:41], v[8:9]
	v_fmac_f64_e32 v[8:9], s[14:15], v[4:5]
	global_store_dwordx2 v[2:3], v[8:9], off
.LBB79_30:
	s_or_b64 exec, exec, s[2:3]
	s_and_b64 exec, exec, s[0:1]
	s_cbranch_execz .LBB79_20
; %bb.31:
	global_load_dwordx2 v[4:5], v[6:7], off offset:128
	s_waitcnt vmcnt(0)
	v_mul_f64 v[4:5], s[40:41], v[4:5]
	v_fmac_f64_e32 v[4:5], s[14:15], v[0:1]
	global_store_dwordx2 v[2:3], v[4:5], off offset:128
	s_endpgm
	.section	.rodata,"a",@progbits
	.p2align	6, 0x0
	.amdhsa_kernel _ZN12_GLOBAL__N_135rocblas_gemm_batched_general_kernelIdLi16ELi16ELi32ELi32ELi8ELi32ELi8ELi8ELi32ELc84ELc78EKdS1_dEEvlllT_PT11_llS4_llS2_PT12_llPT13_lli
		.amdhsa_group_segment_fixed_size 4096
		.amdhsa_private_segment_fixed_size 0
		.amdhsa_kernarg_size 140
		.amdhsa_user_sgpr_count 2
		.amdhsa_user_sgpr_dispatch_ptr 0
		.amdhsa_user_sgpr_queue_ptr 0
		.amdhsa_user_sgpr_kernarg_segment_ptr 1
		.amdhsa_user_sgpr_dispatch_id 0
		.amdhsa_user_sgpr_kernarg_preload_length 0
		.amdhsa_user_sgpr_kernarg_preload_offset 0
		.amdhsa_user_sgpr_private_segment_size 0
		.amdhsa_uses_dynamic_stack 0
		.amdhsa_enable_private_segment 0
		.amdhsa_system_sgpr_workgroup_id_x 1
		.amdhsa_system_sgpr_workgroup_id_y 1
		.amdhsa_system_sgpr_workgroup_id_z 1
		.amdhsa_system_sgpr_workgroup_info 0
		.amdhsa_system_vgpr_workitem_id 1
		.amdhsa_next_free_vgpr 58
		.amdhsa_next_free_sgpr 52
		.amdhsa_accum_offset 60
		.amdhsa_reserve_vcc 1
		.amdhsa_float_round_mode_32 0
		.amdhsa_float_round_mode_16_64 0
		.amdhsa_float_denorm_mode_32 3
		.amdhsa_float_denorm_mode_16_64 3
		.amdhsa_dx10_clamp 1
		.amdhsa_ieee_mode 1
		.amdhsa_fp16_overflow 0
		.amdhsa_tg_split 0
		.amdhsa_exception_fp_ieee_invalid_op 0
		.amdhsa_exception_fp_denorm_src 0
		.amdhsa_exception_fp_ieee_div_zero 0
		.amdhsa_exception_fp_ieee_overflow 0
		.amdhsa_exception_fp_ieee_underflow 0
		.amdhsa_exception_fp_ieee_inexact 0
		.amdhsa_exception_int_div_zero 0
	.end_amdhsa_kernel
	.section	.text._ZN12_GLOBAL__N_135rocblas_gemm_batched_general_kernelIdLi16ELi16ELi32ELi32ELi8ELi32ELi8ELi8ELi32ELc84ELc78EKdS1_dEEvlllT_PT11_llS4_llS2_PT12_llPT13_lli,"axG",@progbits,_ZN12_GLOBAL__N_135rocblas_gemm_batched_general_kernelIdLi16ELi16ELi32ELi32ELi8ELi32ELi8ELi8ELi32ELc84ELc78EKdS1_dEEvlllT_PT11_llS4_llS2_PT12_llPT13_lli,comdat
.Lfunc_end79:
	.size	_ZN12_GLOBAL__N_135rocblas_gemm_batched_general_kernelIdLi16ELi16ELi32ELi32ELi8ELi32ELi8ELi8ELi32ELc84ELc78EKdS1_dEEvlllT_PT11_llS4_llS2_PT12_llPT13_lli, .Lfunc_end79-_ZN12_GLOBAL__N_135rocblas_gemm_batched_general_kernelIdLi16ELi16ELi32ELi32ELi8ELi32ELi8ELi8ELi32ELc84ELc78EKdS1_dEEvlllT_PT11_llS4_llS2_PT12_llPT13_lli
                                        ; -- End function
	.set _ZN12_GLOBAL__N_135rocblas_gemm_batched_general_kernelIdLi16ELi16ELi32ELi32ELi8ELi32ELi8ELi8ELi32ELc84ELc78EKdS1_dEEvlllT_PT11_llS4_llS2_PT12_llPT13_lli.num_vgpr, 58
	.set _ZN12_GLOBAL__N_135rocblas_gemm_batched_general_kernelIdLi16ELi16ELi32ELi32ELi8ELi32ELi8ELi8ELi32ELc84ELc78EKdS1_dEEvlllT_PT11_llS4_llS2_PT12_llPT13_lli.num_agpr, 0
	.set _ZN12_GLOBAL__N_135rocblas_gemm_batched_general_kernelIdLi16ELi16ELi32ELi32ELi8ELi32ELi8ELi8ELi32ELc84ELc78EKdS1_dEEvlllT_PT11_llS4_llS2_PT12_llPT13_lli.numbered_sgpr, 52
	.set _ZN12_GLOBAL__N_135rocblas_gemm_batched_general_kernelIdLi16ELi16ELi32ELi32ELi8ELi32ELi8ELi8ELi32ELc84ELc78EKdS1_dEEvlllT_PT11_llS4_llS2_PT12_llPT13_lli.num_named_barrier, 0
	.set _ZN12_GLOBAL__N_135rocblas_gemm_batched_general_kernelIdLi16ELi16ELi32ELi32ELi8ELi32ELi8ELi8ELi32ELc84ELc78EKdS1_dEEvlllT_PT11_llS4_llS2_PT12_llPT13_lli.private_seg_size, 0
	.set _ZN12_GLOBAL__N_135rocblas_gemm_batched_general_kernelIdLi16ELi16ELi32ELi32ELi8ELi32ELi8ELi8ELi32ELc84ELc78EKdS1_dEEvlllT_PT11_llS4_llS2_PT12_llPT13_lli.uses_vcc, 1
	.set _ZN12_GLOBAL__N_135rocblas_gemm_batched_general_kernelIdLi16ELi16ELi32ELi32ELi8ELi32ELi8ELi8ELi32ELc84ELc78EKdS1_dEEvlllT_PT11_llS4_llS2_PT12_llPT13_lli.uses_flat_scratch, 0
	.set _ZN12_GLOBAL__N_135rocblas_gemm_batched_general_kernelIdLi16ELi16ELi32ELi32ELi8ELi32ELi8ELi8ELi32ELc84ELc78EKdS1_dEEvlllT_PT11_llS4_llS2_PT12_llPT13_lli.has_dyn_sized_stack, 0
	.set _ZN12_GLOBAL__N_135rocblas_gemm_batched_general_kernelIdLi16ELi16ELi32ELi32ELi8ELi32ELi8ELi8ELi32ELc84ELc78EKdS1_dEEvlllT_PT11_llS4_llS2_PT12_llPT13_lli.has_recursion, 0
	.set _ZN12_GLOBAL__N_135rocblas_gemm_batched_general_kernelIdLi16ELi16ELi32ELi32ELi8ELi32ELi8ELi8ELi32ELc84ELc78EKdS1_dEEvlllT_PT11_llS4_llS2_PT12_llPT13_lli.has_indirect_call, 0
	.section	.AMDGPU.csdata,"",@progbits
; Kernel info:
; codeLenInByte = 1612
; TotalNumSgprs: 58
; NumVgprs: 58
; NumAgprs: 0
; TotalNumVgprs: 58
; ScratchSize: 0
; MemoryBound: 0
; FloatMode: 240
; IeeeMode: 1
; LDSByteSize: 4096 bytes/workgroup (compile time only)
; SGPRBlocks: 7
; VGPRBlocks: 7
; NumSGPRsForWavesPerEU: 58
; NumVGPRsForWavesPerEU: 58
; AccumOffset: 60
; Occupancy: 8
; WaveLimiterHint : 0
; COMPUTE_PGM_RSRC2:SCRATCH_EN: 0
; COMPUTE_PGM_RSRC2:USER_SGPR: 2
; COMPUTE_PGM_RSRC2:TRAP_HANDLER: 0
; COMPUTE_PGM_RSRC2:TGID_X_EN: 1
; COMPUTE_PGM_RSRC2:TGID_Y_EN: 1
; COMPUTE_PGM_RSRC2:TGID_Z_EN: 1
; COMPUTE_PGM_RSRC2:TIDIG_COMP_CNT: 1
; COMPUTE_PGM_RSRC3_GFX90A:ACCUM_OFFSET: 14
; COMPUTE_PGM_RSRC3_GFX90A:TG_SPLIT: 0
	.section	.text._ZN12_GLOBAL__N_135rocblas_gemm_batched_general_kernelIdLi16ELi16ELi32ELi32ELi8ELi32ELi8ELi8ELi32ELc78ELc84EKdS1_dEEvlllT_PT11_llS4_llS2_PT12_llPT13_lli,"axG",@progbits,_ZN12_GLOBAL__N_135rocblas_gemm_batched_general_kernelIdLi16ELi16ELi32ELi32ELi8ELi32ELi8ELi8ELi32ELc78ELc84EKdS1_dEEvlllT_PT11_llS4_llS2_PT12_llPT13_lli,comdat
	.globl	_ZN12_GLOBAL__N_135rocblas_gemm_batched_general_kernelIdLi16ELi16ELi32ELi32ELi8ELi32ELi8ELi8ELi32ELc78ELc84EKdS1_dEEvlllT_PT11_llS4_llS2_PT12_llPT13_lli ; -- Begin function _ZN12_GLOBAL__N_135rocblas_gemm_batched_general_kernelIdLi16ELi16ELi32ELi32ELi8ELi32ELi8ELi8ELi32ELc78ELc84EKdS1_dEEvlllT_PT11_llS4_llS2_PT12_llPT13_lli
	.p2align	8
	.type	_ZN12_GLOBAL__N_135rocblas_gemm_batched_general_kernelIdLi16ELi16ELi32ELi32ELi8ELi32ELi8ELi8ELi32ELc78ELc84EKdS1_dEEvlllT_PT11_llS4_llS2_PT12_llPT13_lli,@function
_ZN12_GLOBAL__N_135rocblas_gemm_batched_general_kernelIdLi16ELi16ELi32ELi32ELi8ELi32ELi8ELi8ELi32ELc78ELc84EKdS1_dEEvlllT_PT11_llS4_llS2_PT12_llPT13_lli: ; @_ZN12_GLOBAL__N_135rocblas_gemm_batched_general_kernelIdLi16ELi16ELi32ELi32ELi8ELi32ELi8ELi8ELi32ELc78ELc84EKdS1_dEEvlllT_PT11_llS4_llS2_PT12_llPT13_lli
; %bb.0:
	s_load_dwordx16 s[12:27], s[0:1], 0x0
	s_load_dwordx16 s[36:51], s[0:1], 0x40
	s_mov_b32 s30, s3
	v_mov_b32_e32 v11, 0
	s_ashr_i32 s3, s2, 31
	s_ashr_i32 s31, s30, 31
	s_waitcnt lgkmcnt(0)
	v_cmp_lt_i64_e64 s[6:7], s[16:17], 1
	v_and_b32_e32 v2, 0x3ff, v0
	v_bfe_u32 v10, v0, 10, 10
	v_mov_b32_e32 v3, v11
	s_lshl_b64 s[10:11], s[2:3], 5
	s_lshl_b64 s[28:29], s[30:31], 5
	s_and_b64 vcc, exec, s[6:7]
	s_cbranch_vccnz .LBB80_7
; %bb.1:
	v_lshl_add_u32 v8, v10, 4, v2
	v_lshrrev_b32_e32 v0, 3, v8
	v_mov_b32_e32 v1, v11
	v_lshl_add_u64 v[4:5], v[0:1], 0, s[28:29]
	v_and_b32_e32 v1, 31, v8
	v_and_b32_e32 v14, 7, v2
	v_or_b32_e32 v6, s10, v1
	v_mov_b32_e32 v7, s11
	v_cmp_gt_i64_e64 s[6:7], s[12:13], v[6:7]
	v_lshlrev_b32_e32 v6, 3, v1
	v_lshlrev_b32_e32 v1, 3, v14
	v_lshl_or_b32 v0, v0, 6, v1
	v_add_u32_e32 v23, 0x800, v0
	v_mov_b32_e32 v0, 0x800
	s_mul_i32 s5, s39, s4
	s_mul_hi_u32 s33, s38, s4
	v_lshl_add_u32 v25, v10, 6, v0
	s_add_i32 s35, s33, s5
	s_mul_i32 s34, s38, s4
	v_mad_u64_u32 v[0:1], s[38:39], s36, v14, 0
	v_cmp_gt_i64_e64 s[8:9], s[14:15], v[4:5]
	s_lshl_b64 s[34:35], s[34:35], 3
	v_mov_b32_e32 v4, v1
	s_lshl_b64 s[30:31], s[30:31], 8
	v_mad_u64_u32 v[4:5], s[38:39], s37, v14, v[4:5]
	s_add_u32 s30, s30, s34
	v_mov_b32_e32 v1, v4
	s_addc_u32 s31, s31, s35
	v_lshl_add_u64 v[0:1], v[0:1], 3, s[30:31]
	v_and_b32_e32 v4, 0x7ff8, v8
	v_mov_b32_e32 v5, v11
	v_lshrrev_b32_e32 v12, 5, v8
	v_lshl_add_u64 v[0:1], v[0:1], 0, v[4:5]
	s_mul_i32 s5, s25, s4
	s_mul_hi_u32 s25, s24, s4
	v_lshl_add_u64 v[16:17], s[26:27], 0, v[0:1]
	v_mad_u64_u32 v[0:1], s[30:31], s22, v12, 0
	s_add_i32 s25, s25, s5
	s_mul_i32 s24, s24, s4
	s_lshl_b64 s[26:27], s[36:37], 6
	v_mov_b32_e32 v4, v1
	s_lshl_b64 s[24:25], s[24:25], 3
	s_lshl_b64 s[2:3], s[2:3], 8
	v_mad_u64_u32 v[4:5], s[30:31], s23, v12, v[4:5]
	s_add_u32 s2, s2, s24
	v_mov_b32_e32 v1, v4
	s_addc_u32 s3, s3, s25
	v_lshl_add_u64 v[0:1], v[0:1], 3, s[2:3]
	v_mov_b32_e32 v7, v11
	v_lshl_add_u64 v[0:1], v[0:1], 0, v[6:7]
	v_mov_b32_e32 v13, v11
	v_mov_b32_e32 v15, v11
	v_lshl_or_b32 v22, v12, 8, v6
	v_lshlrev_b32_e32 v24, 3, v2
	v_lshl_add_u64 v[18:19], s[20:21], 0, v[0:1]
	s_lshl_b64 s[2:3], s[22:23], 6
	s_mov_b64 s[20:21], 0
	v_mov_b64_e32 v[0:1], 0
	v_mov_b64_e32 v[20:21], s[16:17]
	;; [unrolled: 1-line block ×5, first 2 shown]
	s_branch .LBB80_3
.LBB80_2:                               ;   in Loop: Header=BB80_3 Depth=1
	s_or_b64 exec, exec, s[22:23]
	s_waitcnt vmcnt(0)
	ds_write_b64 v23, v[26:27]
	s_waitcnt lgkmcnt(0)
	s_barrier
	ds_read2_b64 v[26:29], v24 offset1:16
	ds_read_b128 v[30:33], v25
	ds_read_b128 v[34:37], v25 offset:16
	ds_read_b128 v[38:41], v25 offset:32
	ds_read_b128 v[42:45], v25 offset:48
	ds_read_b128 v[46:49], v25 offset:1024
	ds_read2_b64 v[50:53], v24 offset0:32 offset1:48
	s_waitcnt lgkmcnt(5)
	v_fmac_f64_e32 v[8:9], v[26:27], v[30:31]
	v_fmac_f64_e32 v[6:7], v[28:29], v[30:31]
	ds_read_b128 v[54:57], v25 offset:1040
	s_waitcnt lgkmcnt(2)
	v_fmac_f64_e32 v[4:5], v[26:27], v[46:47]
	v_fmac_f64_e32 v[0:1], v[28:29], v[46:47]
	ds_read2_b64 v[26:29], v24 offset0:64 offset1:80
	s_waitcnt lgkmcnt(2)
	v_fmac_f64_e32 v[8:9], v[50:51], v[32:33]
	v_fmac_f64_e32 v[6:7], v[52:53], v[32:33]
	ds_read2_b64 v[30:33], v24 offset0:96 offset1:112
	v_fmac_f64_e32 v[4:5], v[50:51], v[48:49]
	v_fmac_f64_e32 v[0:1], v[52:53], v[48:49]
	s_waitcnt lgkmcnt(1)
	v_fmac_f64_e32 v[8:9], v[26:27], v[34:35]
	v_fmac_f64_e32 v[6:7], v[28:29], v[34:35]
	ds_read_b128 v[46:49], v25 offset:1072
	v_fmac_f64_e32 v[4:5], v[26:27], v[54:55]
	v_fmac_f64_e32 v[0:1], v[28:29], v[54:55]
	s_waitcnt lgkmcnt(1)
	v_fmac_f64_e32 v[8:9], v[30:31], v[36:37]
	ds_read2_b64 v[26:29], v24 offset0:128 offset1:144
	v_fmac_f64_e32 v[6:7], v[32:33], v[36:37]
	v_fmac_f64_e32 v[4:5], v[30:31], v[56:57]
	;; [unrolled: 1-line block ×3, first 2 shown]
	ds_read_b128 v[30:33], v25 offset:1056
	ds_read2_b64 v[34:37], v24 offset0:160 offset1:176
	s_waitcnt lgkmcnt(2)
	v_fmac_f64_e32 v[8:9], v[26:27], v[38:39]
	v_fmac_f64_e32 v[6:7], v[28:29], v[38:39]
	s_add_u32 s20, s20, 8
	s_waitcnt lgkmcnt(1)
	v_fmac_f64_e32 v[4:5], v[26:27], v[30:31]
	v_fmac_f64_e32 v[0:1], v[28:29], v[30:31]
	ds_read2_b64 v[26:29], v24 offset0:192 offset1:208
	s_waitcnt lgkmcnt(1)
	v_fmac_f64_e32 v[4:5], v[34:35], v[32:33]
	v_fmac_f64_e32 v[0:1], v[36:37], v[32:33]
	ds_read2_b64 v[30:33], v24 offset0:224 offset1:240
	v_fmac_f64_e32 v[8:9], v[34:35], v[40:41]
	v_fmac_f64_e32 v[6:7], v[36:37], v[40:41]
	s_addc_u32 s21, s21, 0
	s_waitcnt lgkmcnt(1)
	v_fmac_f64_e32 v[8:9], v[26:27], v[42:43]
	v_fmac_f64_e32 v[6:7], v[28:29], v[42:43]
	;; [unrolled: 1-line block ×4, first 2 shown]
	v_cmp_lt_i64_e32 vcc, s[20:21], v[20:21]
	s_waitcnt lgkmcnt(0)
	v_fmac_f64_e32 v[8:9], v[30:31], v[44:45]
	v_fmac_f64_e32 v[6:7], v[32:33], v[44:45]
	;; [unrolled: 1-line block ×4, first 2 shown]
	v_lshl_add_u64 v[16:17], v[16:17], 0, s[26:27]
	v_lshl_add_u64 v[18:19], v[18:19], 0, s[2:3]
	s_barrier
	s_cbranch_vccz .LBB80_8
.LBB80_3:                               ; =>This Inner Loop Header: Depth=1
	v_lshl_add_u64 v[26:27], v[12:13], 0, s[20:21]
	v_cmp_gt_i64_e32 vcc, s[16:17], v[26:27]
	s_and_b64 s[24:25], s[6:7], vcc
	v_mov_b64_e32 v[26:27], 0
	s_and_saveexec_b64 s[22:23], s[24:25]
	s_cbranch_execz .LBB80_5
; %bb.4:                                ;   in Loop: Header=BB80_3 Depth=1
	global_load_dwordx2 v[26:27], v[18:19], off
.LBB80_5:                               ;   in Loop: Header=BB80_3 Depth=1
	s_or_b64 exec, exec, s[22:23]
	s_waitcnt vmcnt(0)
	ds_write_b64 v22, v[26:27]
	v_lshl_add_u64 v[26:27], v[14:15], 0, s[20:21]
	v_cmp_gt_i64_e32 vcc, s[16:17], v[26:27]
	s_and_b64 s[24:25], vcc, s[8:9]
	v_mov_b64_e32 v[26:27], 0
	s_and_saveexec_b64 s[22:23], s[24:25]
	s_cbranch_execz .LBB80_2
; %bb.6:                                ;   in Loop: Header=BB80_3 Depth=1
	global_load_dwordx2 v[26:27], v[16:17], off
	s_branch .LBB80_2
.LBB80_7:
	v_mov_b64_e32 v[8:9], 0
	v_mov_b64_e32 v[6:7], 0
	;; [unrolled: 1-line block ×4, first 2 shown]
.LBB80_8:
	s_load_dwordx2 s[0:1], s[0:1], 0x80
	v_lshl_add_u64 v[10:11], s[28:29], 0, v[10:11]
	v_cmp_neq_f64_e64 s[2:3], s[40:41], 0
	s_waitcnt lgkmcnt(0)
	s_mul_i32 s1, s1, s4
	s_mul_hi_u32 s5, s0, s4
	s_mul_i32 s0, s0, s4
	s_add_i32 s1, s5, s1
	s_lshl_b64 s[0:1], s[0:1], 3
	s_add_u32 s8, s48, s0
	s_addc_u32 s9, s49, s1
	v_cmp_gt_i64_e64 s[0:1], s[14:15], v[10:11]
	s_and_b64 vcc, exec, s[2:3]
	s_cbranch_vccnz .LBB80_21
; %bb.9:
	s_and_saveexec_b64 s[16:17], s[0:1]
	s_cbranch_execz .LBB80_19
; %bb.10:
	v_mul_lo_u32 v16, v11, s50
	v_mul_lo_u32 v17, v10, s51
	v_mad_u64_u32 v[14:15], s[2:3], v10, s50, 0
	v_add3_u32 v15, v15, v17, v16
	v_lshl_add_u64 v[12:13], s[10:11], 0, v[2:3]
	v_lshl_add_u64 v[14:15], v[14:15], 3, s[8:9]
	v_cmp_gt_i64_e32 vcc, s[12:13], v[12:13]
	v_lshl_add_u64 v[16:17], v[12:13], 3, v[14:15]
	s_and_saveexec_b64 s[2:3], vcc
	s_cbranch_execz .LBB80_12
; %bb.11:
	v_mul_f64 v[18:19], s[18:19], v[8:9]
	global_store_dwordx2 v[16:17], v[18:19], off
.LBB80_12:
	s_or_b64 exec, exec, s[2:3]
	v_lshl_add_u64 v[18:19], v[12:13], 0, 16
	v_cmp_gt_i64_e64 s[2:3], s[12:13], v[18:19]
	s_and_saveexec_b64 s[6:7], s[2:3]
	s_cbranch_execz .LBB80_14
; %bb.13:
	v_mul_f64 v[18:19], s[18:19], v[6:7]
	global_store_dwordx2 v[16:17], v[18:19], off offset:128
.LBB80_14:
	s_or_b64 exec, exec, s[6:7]
	v_lshl_add_u64 v[16:17], v[10:11], 0, 16
	v_cmp_gt_i64_e64 s[6:7], s[14:15], v[16:17]
	s_and_b64 exec, exec, s[6:7]
	s_cbranch_execz .LBB80_19
; %bb.15:
	s_lshl_b64 s[6:7], s[50:51], 7
	v_lshl_add_u64 v[14:15], v[14:15], 0, s[6:7]
	v_lshl_add_u64 v[12:13], v[12:13], 3, v[14:15]
	s_and_saveexec_b64 s[6:7], vcc
	s_cbranch_execz .LBB80_17
; %bb.16:
	v_mul_f64 v[14:15], s[18:19], v[4:5]
	global_store_dwordx2 v[12:13], v[14:15], off
.LBB80_17:
	s_or_b64 exec, exec, s[6:7]
	s_and_b64 exec, exec, s[2:3]
	s_cbranch_execz .LBB80_19
; %bb.18:
	v_mul_f64 v[14:15], s[18:19], v[0:1]
	global_store_dwordx2 v[12:13], v[14:15], off offset:128
.LBB80_19:
	s_or_b64 exec, exec, s[16:17]
	s_cbranch_execz .LBB80_22
.LBB80_20:
	s_endpgm
.LBB80_21:
.LBB80_22:
	s_and_saveexec_b64 s[2:3], s[0:1]
	s_cbranch_execz .LBB80_20
; %bb.23:
	s_mul_i32 s0, s47, s4
	s_mul_hi_u32 s1, s46, s4
	s_add_i32 s1, s1, s0
	s_mul_i32 s0, s46, s4
	s_lshl_b64 s[0:1], s[0:1], 3
	v_lshl_add_u64 v[16:17], s[10:11], 0, v[2:3]
	v_mul_lo_u32 v12, v11, s44
	v_mul_lo_u32 v13, v10, s45
	v_mad_u64_u32 v[2:3], s[2:3], v10, s44, 0
	s_add_u32 s0, s42, s0
	v_add3_u32 v3, v3, v13, v12
	v_mul_lo_u32 v14, v11, s50
	v_mul_lo_u32 v15, v10, s51
	v_mad_u64_u32 v[12:13], s[2:3], v10, s50, 0
	s_addc_u32 s1, s43, s1
	v_add3_u32 v13, v13, v15, v14
	v_cmp_gt_i64_e32 vcc, s[12:13], v[16:17]
	v_lshl_add_u64 v[14:15], v[2:3], 3, s[0:1]
	v_lshl_add_u64 v[12:13], v[12:13], 3, s[8:9]
	v_lshlrev_b64 v[2:3], 3, v[16:17]
	s_and_saveexec_b64 s[0:1], vcc
	s_cbranch_execz .LBB80_25
; %bb.24:
	v_lshl_add_u64 v[18:19], v[14:15], 0, v[2:3]
	global_load_dwordx2 v[18:19], v[18:19], off
	s_waitcnt vmcnt(0)
	v_mul_f64 v[18:19], s[40:41], v[18:19]
	v_fmac_f64_e32 v[18:19], s[18:19], v[8:9]
	v_lshl_add_u64 v[8:9], v[12:13], 0, v[2:3]
	global_store_dwordx2 v[8:9], v[18:19], off
.LBB80_25:
	s_or_b64 exec, exec, s[0:1]
	v_lshl_add_u64 v[8:9], v[16:17], 0, 16
	v_cmp_gt_i64_e64 s[0:1], s[12:13], v[8:9]
	s_and_saveexec_b64 s[2:3], s[0:1]
	s_cbranch_execz .LBB80_27
; %bb.26:
	v_lshl_add_u64 v[8:9], v[14:15], 0, v[2:3]
	global_load_dwordx2 v[8:9], v[8:9], off offset:128
	s_waitcnt vmcnt(0)
	v_mul_f64 v[8:9], s[40:41], v[8:9]
	v_fmac_f64_e32 v[8:9], s[18:19], v[6:7]
	v_lshl_add_u64 v[6:7], v[12:13], 0, v[2:3]
	global_store_dwordx2 v[6:7], v[8:9], off offset:128
.LBB80_27:
	s_or_b64 exec, exec, s[2:3]
	v_lshl_add_u64 v[6:7], v[10:11], 0, 16
	v_cmp_gt_i64_e64 s[2:3], s[14:15], v[6:7]
	s_and_b64 exec, exec, s[2:3]
	s_cbranch_execz .LBB80_20
; %bb.28:
	s_lshl_b64 s[2:3], s[44:45], 7
	v_lshl_add_u64 v[6:7], v[14:15], 0, s[2:3]
	s_lshl_b64 s[2:3], s[50:51], 7
	v_lshl_add_u64 v[8:9], v[12:13], 0, s[2:3]
	v_lshl_add_u64 v[6:7], v[6:7], 0, v[2:3]
	;; [unrolled: 1-line block ×3, first 2 shown]
	s_and_saveexec_b64 s[2:3], vcc
	s_cbranch_execz .LBB80_30
; %bb.29:
	global_load_dwordx2 v[8:9], v[6:7], off
	s_waitcnt vmcnt(0)
	v_mul_f64 v[8:9], s[40:41], v[8:9]
	v_fmac_f64_e32 v[8:9], s[18:19], v[4:5]
	global_store_dwordx2 v[2:3], v[8:9], off
.LBB80_30:
	s_or_b64 exec, exec, s[2:3]
	s_and_b64 exec, exec, s[0:1]
	s_cbranch_execz .LBB80_20
; %bb.31:
	global_load_dwordx2 v[4:5], v[6:7], off offset:128
	s_waitcnt vmcnt(0)
	v_mul_f64 v[4:5], s[40:41], v[4:5]
	v_fmac_f64_e32 v[4:5], s[18:19], v[0:1]
	global_store_dwordx2 v[2:3], v[4:5], off offset:128
	s_endpgm
	.section	.rodata,"a",@progbits
	.p2align	6, 0x0
	.amdhsa_kernel _ZN12_GLOBAL__N_135rocblas_gemm_batched_general_kernelIdLi16ELi16ELi32ELi32ELi8ELi32ELi8ELi8ELi32ELc78ELc84EKdS1_dEEvlllT_PT11_llS4_llS2_PT12_llPT13_lli
		.amdhsa_group_segment_fixed_size 4096
		.amdhsa_private_segment_fixed_size 0
		.amdhsa_kernarg_size 140
		.amdhsa_user_sgpr_count 2
		.amdhsa_user_sgpr_dispatch_ptr 0
		.amdhsa_user_sgpr_queue_ptr 0
		.amdhsa_user_sgpr_kernarg_segment_ptr 1
		.amdhsa_user_sgpr_dispatch_id 0
		.amdhsa_user_sgpr_kernarg_preload_length 0
		.amdhsa_user_sgpr_kernarg_preload_offset 0
		.amdhsa_user_sgpr_private_segment_size 0
		.amdhsa_uses_dynamic_stack 0
		.amdhsa_enable_private_segment 0
		.amdhsa_system_sgpr_workgroup_id_x 1
		.amdhsa_system_sgpr_workgroup_id_y 1
		.amdhsa_system_sgpr_workgroup_id_z 1
		.amdhsa_system_sgpr_workgroup_info 0
		.amdhsa_system_vgpr_workitem_id 1
		.amdhsa_next_free_vgpr 58
		.amdhsa_next_free_sgpr 52
		.amdhsa_accum_offset 60
		.amdhsa_reserve_vcc 1
		.amdhsa_float_round_mode_32 0
		.amdhsa_float_round_mode_16_64 0
		.amdhsa_float_denorm_mode_32 3
		.amdhsa_float_denorm_mode_16_64 3
		.amdhsa_dx10_clamp 1
		.amdhsa_ieee_mode 1
		.amdhsa_fp16_overflow 0
		.amdhsa_tg_split 0
		.amdhsa_exception_fp_ieee_invalid_op 0
		.amdhsa_exception_fp_denorm_src 0
		.amdhsa_exception_fp_ieee_div_zero 0
		.amdhsa_exception_fp_ieee_overflow 0
		.amdhsa_exception_fp_ieee_underflow 0
		.amdhsa_exception_fp_ieee_inexact 0
		.amdhsa_exception_int_div_zero 0
	.end_amdhsa_kernel
	.section	.text._ZN12_GLOBAL__N_135rocblas_gemm_batched_general_kernelIdLi16ELi16ELi32ELi32ELi8ELi32ELi8ELi8ELi32ELc78ELc84EKdS1_dEEvlllT_PT11_llS4_llS2_PT12_llPT13_lli,"axG",@progbits,_ZN12_GLOBAL__N_135rocblas_gemm_batched_general_kernelIdLi16ELi16ELi32ELi32ELi8ELi32ELi8ELi8ELi32ELc78ELc84EKdS1_dEEvlllT_PT11_llS4_llS2_PT12_llPT13_lli,comdat
.Lfunc_end80:
	.size	_ZN12_GLOBAL__N_135rocblas_gemm_batched_general_kernelIdLi16ELi16ELi32ELi32ELi8ELi32ELi8ELi8ELi32ELc78ELc84EKdS1_dEEvlllT_PT11_llS4_llS2_PT12_llPT13_lli, .Lfunc_end80-_ZN12_GLOBAL__N_135rocblas_gemm_batched_general_kernelIdLi16ELi16ELi32ELi32ELi8ELi32ELi8ELi8ELi32ELc78ELc84EKdS1_dEEvlllT_PT11_llS4_llS2_PT12_llPT13_lli
                                        ; -- End function
	.set _ZN12_GLOBAL__N_135rocblas_gemm_batched_general_kernelIdLi16ELi16ELi32ELi32ELi8ELi32ELi8ELi8ELi32ELc78ELc84EKdS1_dEEvlllT_PT11_llS4_llS2_PT12_llPT13_lli.num_vgpr, 58
	.set _ZN12_GLOBAL__N_135rocblas_gemm_batched_general_kernelIdLi16ELi16ELi32ELi32ELi8ELi32ELi8ELi8ELi32ELc78ELc84EKdS1_dEEvlllT_PT11_llS4_llS2_PT12_llPT13_lli.num_agpr, 0
	.set _ZN12_GLOBAL__N_135rocblas_gemm_batched_general_kernelIdLi16ELi16ELi32ELi32ELi8ELi32ELi8ELi8ELi32ELc78ELc84EKdS1_dEEvlllT_PT11_llS4_llS2_PT12_llPT13_lli.numbered_sgpr, 52
	.set _ZN12_GLOBAL__N_135rocblas_gemm_batched_general_kernelIdLi16ELi16ELi32ELi32ELi8ELi32ELi8ELi8ELi32ELc78ELc84EKdS1_dEEvlllT_PT11_llS4_llS2_PT12_llPT13_lli.num_named_barrier, 0
	.set _ZN12_GLOBAL__N_135rocblas_gemm_batched_general_kernelIdLi16ELi16ELi32ELi32ELi8ELi32ELi8ELi8ELi32ELc78ELc84EKdS1_dEEvlllT_PT11_llS4_llS2_PT12_llPT13_lli.private_seg_size, 0
	.set _ZN12_GLOBAL__N_135rocblas_gemm_batched_general_kernelIdLi16ELi16ELi32ELi32ELi8ELi32ELi8ELi8ELi32ELc78ELc84EKdS1_dEEvlllT_PT11_llS4_llS2_PT12_llPT13_lli.uses_vcc, 1
	.set _ZN12_GLOBAL__N_135rocblas_gemm_batched_general_kernelIdLi16ELi16ELi32ELi32ELi8ELi32ELi8ELi8ELi32ELc78ELc84EKdS1_dEEvlllT_PT11_llS4_llS2_PT12_llPT13_lli.uses_flat_scratch, 0
	.set _ZN12_GLOBAL__N_135rocblas_gemm_batched_general_kernelIdLi16ELi16ELi32ELi32ELi8ELi32ELi8ELi8ELi32ELc78ELc84EKdS1_dEEvlllT_PT11_llS4_llS2_PT12_llPT13_lli.has_dyn_sized_stack, 0
	.set _ZN12_GLOBAL__N_135rocblas_gemm_batched_general_kernelIdLi16ELi16ELi32ELi32ELi8ELi32ELi8ELi8ELi32ELc78ELc84EKdS1_dEEvlllT_PT11_llS4_llS2_PT12_llPT13_lli.has_recursion, 0
	.set _ZN12_GLOBAL__N_135rocblas_gemm_batched_general_kernelIdLi16ELi16ELi32ELi32ELi8ELi32ELi8ELi8ELi32ELc78ELc84EKdS1_dEEvlllT_PT11_llS4_llS2_PT12_llPT13_lli.has_indirect_call, 0
	.section	.AMDGPU.csdata,"",@progbits
; Kernel info:
; codeLenInByte = 1620
; TotalNumSgprs: 58
; NumVgprs: 58
; NumAgprs: 0
; TotalNumVgprs: 58
; ScratchSize: 0
; MemoryBound: 0
; FloatMode: 240
; IeeeMode: 1
; LDSByteSize: 4096 bytes/workgroup (compile time only)
; SGPRBlocks: 7
; VGPRBlocks: 7
; NumSGPRsForWavesPerEU: 58
; NumVGPRsForWavesPerEU: 58
; AccumOffset: 60
; Occupancy: 8
; WaveLimiterHint : 0
; COMPUTE_PGM_RSRC2:SCRATCH_EN: 0
; COMPUTE_PGM_RSRC2:USER_SGPR: 2
; COMPUTE_PGM_RSRC2:TRAP_HANDLER: 0
; COMPUTE_PGM_RSRC2:TGID_X_EN: 1
; COMPUTE_PGM_RSRC2:TGID_Y_EN: 1
; COMPUTE_PGM_RSRC2:TGID_Z_EN: 1
; COMPUTE_PGM_RSRC2:TIDIG_COMP_CNT: 1
; COMPUTE_PGM_RSRC3_GFX90A:ACCUM_OFFSET: 14
; COMPUTE_PGM_RSRC3_GFX90A:TG_SPLIT: 0
	.section	.text._ZN12_GLOBAL__N_135rocblas_gemm_batched_general_kernelIdLi16ELi16ELi32ELi32ELi8ELi32ELi8ELi8ELi32ELc84ELc84EKdS1_dEEvlllT_PT11_llS4_llS2_PT12_llPT13_lli,"axG",@progbits,_ZN12_GLOBAL__N_135rocblas_gemm_batched_general_kernelIdLi16ELi16ELi32ELi32ELi8ELi32ELi8ELi8ELi32ELc84ELc84EKdS1_dEEvlllT_PT11_llS4_llS2_PT12_llPT13_lli,comdat
	.globl	_ZN12_GLOBAL__N_135rocblas_gemm_batched_general_kernelIdLi16ELi16ELi32ELi32ELi8ELi32ELi8ELi8ELi32ELc84ELc84EKdS1_dEEvlllT_PT11_llS4_llS2_PT12_llPT13_lli ; -- Begin function _ZN12_GLOBAL__N_135rocblas_gemm_batched_general_kernelIdLi16ELi16ELi32ELi32ELi8ELi32ELi8ELi8ELi32ELc84ELc84EKdS1_dEEvlllT_PT11_llS4_llS2_PT12_llPT13_lli
	.p2align	8
	.type	_ZN12_GLOBAL__N_135rocblas_gemm_batched_general_kernelIdLi16ELi16ELi32ELi32ELi8ELi32ELi8ELi8ELi32ELc84ELc84EKdS1_dEEvlllT_PT11_llS4_llS2_PT12_llPT13_lli,@function
_ZN12_GLOBAL__N_135rocblas_gemm_batched_general_kernelIdLi16ELi16ELi32ELi32ELi8ELi32ELi8ELi8ELi32ELc84ELc84EKdS1_dEEvlllT_PT11_llS4_llS2_PT12_llPT13_lli: ; @_ZN12_GLOBAL__N_135rocblas_gemm_batched_general_kernelIdLi16ELi16ELi32ELi32ELi8ELi32ELi8ELi8ELi32ELc84ELc84EKdS1_dEEvlllT_PT11_llS4_llS2_PT12_llPT13_lli
; %bb.0:
	s_load_dwordx16 s[8:23], s[0:1], 0x0
	s_load_dwordx16 s[36:51], s[0:1], 0x40
	s_mov_b32 s28, s3
	s_ashr_i32 s3, s2, 31
	v_mov_b32_e32 v11, 0
	s_lshl_b64 s[24:25], s[2:3], 5
	s_ashr_i32 s29, s28, 31
	s_waitcnt lgkmcnt(0)
	v_cmp_lt_i64_e64 s[2:3], s[12:13], 1
	v_and_b32_e32 v2, 0x3ff, v0
	v_bfe_u32 v10, v0, 10, 10
	v_mov_b32_e32 v3, v11
	s_lshl_b64 s[26:27], s[28:29], 5
	s_and_b64 vcc, exec, s[2:3]
	s_cbranch_vccnz .LBB81_7
; %bb.1:
	v_lshl_add_u32 v16, v10, 4, v2
	v_lshrrev_b32_e32 v0, 3, v16
	v_mov_b32_e32 v1, v11
	v_and_b32_e32 v6, 31, v16
	v_lshrrev_b32_e32 v12, 5, v16
	v_and_b32_e32 v14, 7, v2
	v_lshl_add_u64 v[4:5], v[0:1], 0, s[26:27]
	v_lshlrev_b32_e32 v1, 3, v6
	v_lshl_or_b32 v22, v12, 8, v1
	v_lshlrev_b32_e32 v1, 3, v14
	v_lshl_or_b32 v0, v0, 6, v1
	v_add_u32_e32 v23, 0x800, v0
	v_mov_b32_e32 v0, 0x800
	s_mul_i32 s5, s39, s4
	s_mul_hi_u32 s30, s38, s4
	v_lshl_add_u32 v25, v10, 6, v0
	s_add_i32 s31, s30, s5
	s_mul_i32 s30, s38, s4
	v_mad_u64_u32 v[0:1], s[34:35], s36, v14, 0
	v_cmp_gt_i64_e64 s[6:7], s[10:11], v[4:5]
	s_lshl_b64 s[30:31], s[30:31], 3
	v_mov_b32_e32 v4, v1
	s_lshl_b64 s[28:29], s[28:29], 8
	v_mad_u64_u32 v[4:5], s[34:35], s37, v14, v[4:5]
	s_add_u32 s28, s28, s30
	v_mov_b32_e32 v1, v4
	s_addc_u32 s29, s29, s31
	v_lshl_add_u64 v[0:1], v[0:1], 3, s[28:29]
	v_and_b32_e32 v4, 0x7ff8, v16
	v_mov_b32_e32 v5, v11
	v_mov_b32_e32 v7, v11
	v_lshl_add_u64 v[0:1], v[0:1], 0, v[4:5]
	v_lshl_add_u64 v[16:17], s[22:23], 0, v[0:1]
	;; [unrolled: 1-line block ×3, first 2 shown]
	v_mul_lo_u32 v4, s19, v0
	v_mul_lo_u32 v5, s18, v1
	v_mad_u64_u32 v[0:1], s[18:19], s18, v0, 0
	s_mul_i32 s5, s21, s4
	s_mul_hi_u32 s18, s20, s4
	s_add_i32 s19, s18, s5
	s_mul_i32 s18, s20, s4
	v_add3_u32 v1, v1, v5, v4
	s_lshl_b64 s[18:19], s[18:19], 3
	v_lshl_add_u64 v[0:1], v[0:1], 3, s[18:19]
	v_lshlrev_b32_e32 v4, 3, v12
	v_mov_b32_e32 v5, v11
	v_or_b32_e32 v8, s24, v6
	v_mov_b32_e32 v9, s25
	v_lshl_add_u64 v[0:1], v[0:1], 0, v[4:5]
	v_mov_b32_e32 v13, v11
	v_mov_b32_e32 v15, v11
	v_cmp_gt_i64_e64 s[2:3], s[8:9], v[8:9]
	v_lshlrev_b32_e32 v24, 3, v2
	s_lshl_b64 s[22:23], s[36:37], 6
	v_lshl_add_u64 v[18:19], s[16:17], 0, v[0:1]
	s_mov_b64 s[16:17], 0
	v_mov_b64_e32 v[0:1], 0
	v_mov_b64_e32 v[20:21], s[12:13]
	;; [unrolled: 1-line block ×5, first 2 shown]
	s_branch .LBB81_3
.LBB81_2:                               ;   in Loop: Header=BB81_3 Depth=1
	s_or_b64 exec, exec, s[18:19]
	s_waitcnt vmcnt(0)
	ds_write_b64 v23, v[26:27]
	s_waitcnt lgkmcnt(0)
	s_barrier
	ds_read2_b64 v[26:29], v24 offset1:16
	ds_read_b128 v[30:33], v25
	ds_read_b128 v[34:37], v25 offset:16
	ds_read_b128 v[38:41], v25 offset:32
	ds_read_b128 v[42:45], v25 offset:48
	ds_read_b128 v[46:49], v25 offset:1024
	ds_read2_b64 v[50:53], v24 offset0:32 offset1:48
	s_waitcnt lgkmcnt(5)
	v_fmac_f64_e32 v[8:9], v[26:27], v[30:31]
	v_fmac_f64_e32 v[6:7], v[28:29], v[30:31]
	ds_read_b128 v[54:57], v25 offset:1040
	s_waitcnt lgkmcnt(2)
	v_fmac_f64_e32 v[4:5], v[26:27], v[46:47]
	v_fmac_f64_e32 v[0:1], v[28:29], v[46:47]
	ds_read2_b64 v[26:29], v24 offset0:64 offset1:80
	s_waitcnt lgkmcnt(2)
	v_fmac_f64_e32 v[8:9], v[50:51], v[32:33]
	v_fmac_f64_e32 v[6:7], v[52:53], v[32:33]
	ds_read2_b64 v[30:33], v24 offset0:96 offset1:112
	v_fmac_f64_e32 v[4:5], v[50:51], v[48:49]
	v_fmac_f64_e32 v[0:1], v[52:53], v[48:49]
	s_waitcnt lgkmcnt(1)
	v_fmac_f64_e32 v[8:9], v[26:27], v[34:35]
	v_fmac_f64_e32 v[6:7], v[28:29], v[34:35]
	ds_read_b128 v[46:49], v25 offset:1072
	v_fmac_f64_e32 v[4:5], v[26:27], v[54:55]
	v_fmac_f64_e32 v[0:1], v[28:29], v[54:55]
	s_waitcnt lgkmcnt(1)
	v_fmac_f64_e32 v[8:9], v[30:31], v[36:37]
	ds_read2_b64 v[26:29], v24 offset0:128 offset1:144
	v_fmac_f64_e32 v[6:7], v[32:33], v[36:37]
	v_fmac_f64_e32 v[4:5], v[30:31], v[56:57]
	;; [unrolled: 1-line block ×3, first 2 shown]
	ds_read_b128 v[30:33], v25 offset:1056
	ds_read2_b64 v[34:37], v24 offset0:160 offset1:176
	s_waitcnt lgkmcnt(2)
	v_fmac_f64_e32 v[8:9], v[26:27], v[38:39]
	v_fmac_f64_e32 v[6:7], v[28:29], v[38:39]
	s_add_u32 s16, s16, 8
	s_waitcnt lgkmcnt(1)
	v_fmac_f64_e32 v[4:5], v[26:27], v[30:31]
	v_fmac_f64_e32 v[0:1], v[28:29], v[30:31]
	ds_read2_b64 v[26:29], v24 offset0:192 offset1:208
	s_waitcnt lgkmcnt(1)
	v_fmac_f64_e32 v[4:5], v[34:35], v[32:33]
	v_fmac_f64_e32 v[0:1], v[36:37], v[32:33]
	ds_read2_b64 v[30:33], v24 offset0:224 offset1:240
	v_fmac_f64_e32 v[8:9], v[34:35], v[40:41]
	v_fmac_f64_e32 v[6:7], v[36:37], v[40:41]
	s_addc_u32 s17, s17, 0
	s_waitcnt lgkmcnt(1)
	v_fmac_f64_e32 v[8:9], v[26:27], v[42:43]
	v_fmac_f64_e32 v[6:7], v[28:29], v[42:43]
	;; [unrolled: 1-line block ×4, first 2 shown]
	v_cmp_lt_i64_e32 vcc, s[16:17], v[20:21]
	s_waitcnt lgkmcnt(0)
	v_fmac_f64_e32 v[8:9], v[30:31], v[44:45]
	v_fmac_f64_e32 v[6:7], v[32:33], v[44:45]
	;; [unrolled: 1-line block ×4, first 2 shown]
	v_lshl_add_u64 v[16:17], v[16:17], 0, s[22:23]
	v_lshl_add_u64 v[18:19], v[18:19], 0, 64
	s_barrier
	s_cbranch_vccz .LBB81_8
.LBB81_3:                               ; =>This Inner Loop Header: Depth=1
	v_lshl_add_u64 v[26:27], v[12:13], 0, s[16:17]
	v_cmp_gt_i64_e32 vcc, s[12:13], v[26:27]
	s_and_b64 s[20:21], s[2:3], vcc
	v_mov_b64_e32 v[26:27], 0
	s_and_saveexec_b64 s[18:19], s[20:21]
	s_cbranch_execz .LBB81_5
; %bb.4:                                ;   in Loop: Header=BB81_3 Depth=1
	global_load_dwordx2 v[26:27], v[18:19], off
.LBB81_5:                               ;   in Loop: Header=BB81_3 Depth=1
	s_or_b64 exec, exec, s[18:19]
	s_waitcnt vmcnt(0)
	ds_write_b64 v22, v[26:27]
	v_lshl_add_u64 v[26:27], v[14:15], 0, s[16:17]
	v_cmp_gt_i64_e32 vcc, s[12:13], v[26:27]
	s_and_b64 s[20:21], vcc, s[6:7]
	v_mov_b64_e32 v[26:27], 0
	s_and_saveexec_b64 s[18:19], s[20:21]
	s_cbranch_execz .LBB81_2
; %bb.6:                                ;   in Loop: Header=BB81_3 Depth=1
	global_load_dwordx2 v[26:27], v[16:17], off
	s_branch .LBB81_2
.LBB81_7:
	v_mov_b64_e32 v[8:9], 0
	v_mov_b64_e32 v[6:7], 0
	;; [unrolled: 1-line block ×4, first 2 shown]
.LBB81_8:
	s_load_dwordx2 s[0:1], s[0:1], 0x80
	v_lshl_add_u64 v[10:11], s[26:27], 0, v[10:11]
	v_cmp_neq_f64_e64 s[2:3], s[40:41], 0
	s_waitcnt lgkmcnt(0)
	s_mul_i32 s1, s1, s4
	s_mul_hi_u32 s5, s0, s4
	s_mul_i32 s0, s0, s4
	s_add_i32 s1, s5, s1
	s_lshl_b64 s[0:1], s[0:1], 3
	s_add_u32 s12, s48, s0
	s_addc_u32 s13, s49, s1
	v_cmp_gt_i64_e64 s[0:1], s[10:11], v[10:11]
	s_and_b64 vcc, exec, s[2:3]
	s_cbranch_vccnz .LBB81_21
; %bb.9:
	s_and_saveexec_b64 s[16:17], s[0:1]
	s_cbranch_execz .LBB81_19
; %bb.10:
	v_mul_lo_u32 v16, v11, s50
	v_mul_lo_u32 v17, v10, s51
	v_mad_u64_u32 v[14:15], s[2:3], v10, s50, 0
	v_add3_u32 v15, v15, v17, v16
	v_lshl_add_u64 v[12:13], s[24:25], 0, v[2:3]
	v_lshl_add_u64 v[14:15], v[14:15], 3, s[12:13]
	v_cmp_gt_i64_e32 vcc, s[8:9], v[12:13]
	v_lshl_add_u64 v[16:17], v[12:13], 3, v[14:15]
	s_and_saveexec_b64 s[2:3], vcc
	s_cbranch_execz .LBB81_12
; %bb.11:
	v_mul_f64 v[18:19], s[14:15], v[8:9]
	global_store_dwordx2 v[16:17], v[18:19], off
.LBB81_12:
	s_or_b64 exec, exec, s[2:3]
	v_lshl_add_u64 v[18:19], v[12:13], 0, 16
	v_cmp_gt_i64_e64 s[2:3], s[8:9], v[18:19]
	s_and_saveexec_b64 s[6:7], s[2:3]
	s_cbranch_execz .LBB81_14
; %bb.13:
	v_mul_f64 v[18:19], s[14:15], v[6:7]
	global_store_dwordx2 v[16:17], v[18:19], off offset:128
.LBB81_14:
	s_or_b64 exec, exec, s[6:7]
	v_lshl_add_u64 v[16:17], v[10:11], 0, 16
	v_cmp_gt_i64_e64 s[6:7], s[10:11], v[16:17]
	s_and_b64 exec, exec, s[6:7]
	s_cbranch_execz .LBB81_19
; %bb.15:
	s_lshl_b64 s[6:7], s[50:51], 7
	v_lshl_add_u64 v[14:15], v[14:15], 0, s[6:7]
	v_lshl_add_u64 v[12:13], v[12:13], 3, v[14:15]
	s_and_saveexec_b64 s[6:7], vcc
	s_cbranch_execz .LBB81_17
; %bb.16:
	v_mul_f64 v[14:15], s[14:15], v[4:5]
	global_store_dwordx2 v[12:13], v[14:15], off
.LBB81_17:
	s_or_b64 exec, exec, s[6:7]
	s_and_b64 exec, exec, s[2:3]
	s_cbranch_execz .LBB81_19
; %bb.18:
	v_mul_f64 v[14:15], s[14:15], v[0:1]
	global_store_dwordx2 v[12:13], v[14:15], off offset:128
.LBB81_19:
	s_or_b64 exec, exec, s[16:17]
	s_cbranch_execz .LBB81_22
.LBB81_20:
	s_endpgm
.LBB81_21:
.LBB81_22:
	s_and_saveexec_b64 s[2:3], s[0:1]
	s_cbranch_execz .LBB81_20
; %bb.23:
	s_mul_i32 s0, s47, s4
	s_mul_hi_u32 s1, s46, s4
	s_add_i32 s1, s1, s0
	s_mul_i32 s0, s46, s4
	s_lshl_b64 s[0:1], s[0:1], 3
	v_lshl_add_u64 v[16:17], s[24:25], 0, v[2:3]
	v_mul_lo_u32 v12, v11, s44
	v_mul_lo_u32 v13, v10, s45
	v_mad_u64_u32 v[2:3], s[2:3], v10, s44, 0
	s_add_u32 s0, s42, s0
	v_add3_u32 v3, v3, v13, v12
	v_mul_lo_u32 v14, v11, s50
	v_mul_lo_u32 v15, v10, s51
	v_mad_u64_u32 v[12:13], s[2:3], v10, s50, 0
	s_addc_u32 s1, s43, s1
	v_add3_u32 v13, v13, v15, v14
	v_cmp_gt_i64_e32 vcc, s[8:9], v[16:17]
	v_lshl_add_u64 v[14:15], v[2:3], 3, s[0:1]
	v_lshl_add_u64 v[12:13], v[12:13], 3, s[12:13]
	v_lshlrev_b64 v[2:3], 3, v[16:17]
	s_and_saveexec_b64 s[0:1], vcc
	s_cbranch_execz .LBB81_25
; %bb.24:
	v_lshl_add_u64 v[18:19], v[14:15], 0, v[2:3]
	global_load_dwordx2 v[18:19], v[18:19], off
	s_waitcnt vmcnt(0)
	v_mul_f64 v[18:19], s[40:41], v[18:19]
	v_fmac_f64_e32 v[18:19], s[14:15], v[8:9]
	v_lshl_add_u64 v[8:9], v[12:13], 0, v[2:3]
	global_store_dwordx2 v[8:9], v[18:19], off
.LBB81_25:
	s_or_b64 exec, exec, s[0:1]
	v_lshl_add_u64 v[8:9], v[16:17], 0, 16
	v_cmp_gt_i64_e64 s[0:1], s[8:9], v[8:9]
	s_and_saveexec_b64 s[2:3], s[0:1]
	s_cbranch_execz .LBB81_27
; %bb.26:
	v_lshl_add_u64 v[8:9], v[14:15], 0, v[2:3]
	global_load_dwordx2 v[8:9], v[8:9], off offset:128
	s_waitcnt vmcnt(0)
	v_mul_f64 v[8:9], s[40:41], v[8:9]
	v_fmac_f64_e32 v[8:9], s[14:15], v[6:7]
	v_lshl_add_u64 v[6:7], v[12:13], 0, v[2:3]
	global_store_dwordx2 v[6:7], v[8:9], off offset:128
.LBB81_27:
	s_or_b64 exec, exec, s[2:3]
	v_lshl_add_u64 v[6:7], v[10:11], 0, 16
	v_cmp_gt_i64_e64 s[2:3], s[10:11], v[6:7]
	s_and_b64 exec, exec, s[2:3]
	s_cbranch_execz .LBB81_20
; %bb.28:
	s_lshl_b64 s[2:3], s[44:45], 7
	v_lshl_add_u64 v[6:7], v[14:15], 0, s[2:3]
	s_lshl_b64 s[2:3], s[50:51], 7
	v_lshl_add_u64 v[8:9], v[12:13], 0, s[2:3]
	v_lshl_add_u64 v[6:7], v[6:7], 0, v[2:3]
	;; [unrolled: 1-line block ×3, first 2 shown]
	s_and_saveexec_b64 s[2:3], vcc
	s_cbranch_execz .LBB81_30
; %bb.29:
	global_load_dwordx2 v[8:9], v[6:7], off
	s_waitcnt vmcnt(0)
	v_mul_f64 v[8:9], s[40:41], v[8:9]
	v_fmac_f64_e32 v[8:9], s[14:15], v[4:5]
	global_store_dwordx2 v[2:3], v[8:9], off
.LBB81_30:
	s_or_b64 exec, exec, s[2:3]
	s_and_b64 exec, exec, s[0:1]
	s_cbranch_execz .LBB81_20
; %bb.31:
	global_load_dwordx2 v[4:5], v[6:7], off offset:128
	s_waitcnt vmcnt(0)
	v_mul_f64 v[4:5], s[40:41], v[4:5]
	v_fmac_f64_e32 v[4:5], s[14:15], v[0:1]
	global_store_dwordx2 v[2:3], v[4:5], off offset:128
	s_endpgm
	.section	.rodata,"a",@progbits
	.p2align	6, 0x0
	.amdhsa_kernel _ZN12_GLOBAL__N_135rocblas_gemm_batched_general_kernelIdLi16ELi16ELi32ELi32ELi8ELi32ELi8ELi8ELi32ELc84ELc84EKdS1_dEEvlllT_PT11_llS4_llS2_PT12_llPT13_lli
		.amdhsa_group_segment_fixed_size 4096
		.amdhsa_private_segment_fixed_size 0
		.amdhsa_kernarg_size 140
		.amdhsa_user_sgpr_count 2
		.amdhsa_user_sgpr_dispatch_ptr 0
		.amdhsa_user_sgpr_queue_ptr 0
		.amdhsa_user_sgpr_kernarg_segment_ptr 1
		.amdhsa_user_sgpr_dispatch_id 0
		.amdhsa_user_sgpr_kernarg_preload_length 0
		.amdhsa_user_sgpr_kernarg_preload_offset 0
		.amdhsa_user_sgpr_private_segment_size 0
		.amdhsa_uses_dynamic_stack 0
		.amdhsa_enable_private_segment 0
		.amdhsa_system_sgpr_workgroup_id_x 1
		.amdhsa_system_sgpr_workgroup_id_y 1
		.amdhsa_system_sgpr_workgroup_id_z 1
		.amdhsa_system_sgpr_workgroup_info 0
		.amdhsa_system_vgpr_workitem_id 1
		.amdhsa_next_free_vgpr 58
		.amdhsa_next_free_sgpr 52
		.amdhsa_accum_offset 60
		.amdhsa_reserve_vcc 1
		.amdhsa_float_round_mode_32 0
		.amdhsa_float_round_mode_16_64 0
		.amdhsa_float_denorm_mode_32 3
		.amdhsa_float_denorm_mode_16_64 3
		.amdhsa_dx10_clamp 1
		.amdhsa_ieee_mode 1
		.amdhsa_fp16_overflow 0
		.amdhsa_tg_split 0
		.amdhsa_exception_fp_ieee_invalid_op 0
		.amdhsa_exception_fp_denorm_src 0
		.amdhsa_exception_fp_ieee_div_zero 0
		.amdhsa_exception_fp_ieee_overflow 0
		.amdhsa_exception_fp_ieee_underflow 0
		.amdhsa_exception_fp_ieee_inexact 0
		.amdhsa_exception_int_div_zero 0
	.end_amdhsa_kernel
	.section	.text._ZN12_GLOBAL__N_135rocblas_gemm_batched_general_kernelIdLi16ELi16ELi32ELi32ELi8ELi32ELi8ELi8ELi32ELc84ELc84EKdS1_dEEvlllT_PT11_llS4_llS2_PT12_llPT13_lli,"axG",@progbits,_ZN12_GLOBAL__N_135rocblas_gemm_batched_general_kernelIdLi16ELi16ELi32ELi32ELi8ELi32ELi8ELi8ELi32ELc84ELc84EKdS1_dEEvlllT_PT11_llS4_llS2_PT12_llPT13_lli,comdat
.Lfunc_end81:
	.size	_ZN12_GLOBAL__N_135rocblas_gemm_batched_general_kernelIdLi16ELi16ELi32ELi32ELi8ELi32ELi8ELi8ELi32ELc84ELc84EKdS1_dEEvlllT_PT11_llS4_llS2_PT12_llPT13_lli, .Lfunc_end81-_ZN12_GLOBAL__N_135rocblas_gemm_batched_general_kernelIdLi16ELi16ELi32ELi32ELi8ELi32ELi8ELi8ELi32ELc84ELc84EKdS1_dEEvlllT_PT11_llS4_llS2_PT12_llPT13_lli
                                        ; -- End function
	.set _ZN12_GLOBAL__N_135rocblas_gemm_batched_general_kernelIdLi16ELi16ELi32ELi32ELi8ELi32ELi8ELi8ELi32ELc84ELc84EKdS1_dEEvlllT_PT11_llS4_llS2_PT12_llPT13_lli.num_vgpr, 58
	.set _ZN12_GLOBAL__N_135rocblas_gemm_batched_general_kernelIdLi16ELi16ELi32ELi32ELi8ELi32ELi8ELi8ELi32ELc84ELc84EKdS1_dEEvlllT_PT11_llS4_llS2_PT12_llPT13_lli.num_agpr, 0
	.set _ZN12_GLOBAL__N_135rocblas_gemm_batched_general_kernelIdLi16ELi16ELi32ELi32ELi8ELi32ELi8ELi8ELi32ELc84ELc84EKdS1_dEEvlllT_PT11_llS4_llS2_PT12_llPT13_lli.numbered_sgpr, 52
	.set _ZN12_GLOBAL__N_135rocblas_gemm_batched_general_kernelIdLi16ELi16ELi32ELi32ELi8ELi32ELi8ELi8ELi32ELc84ELc84EKdS1_dEEvlllT_PT11_llS4_llS2_PT12_llPT13_lli.num_named_barrier, 0
	.set _ZN12_GLOBAL__N_135rocblas_gemm_batched_general_kernelIdLi16ELi16ELi32ELi32ELi8ELi32ELi8ELi8ELi32ELc84ELc84EKdS1_dEEvlllT_PT11_llS4_llS2_PT12_llPT13_lli.private_seg_size, 0
	.set _ZN12_GLOBAL__N_135rocblas_gemm_batched_general_kernelIdLi16ELi16ELi32ELi32ELi8ELi32ELi8ELi8ELi32ELc84ELc84EKdS1_dEEvlllT_PT11_llS4_llS2_PT12_llPT13_lli.uses_vcc, 1
	.set _ZN12_GLOBAL__N_135rocblas_gemm_batched_general_kernelIdLi16ELi16ELi32ELi32ELi8ELi32ELi8ELi8ELi32ELc84ELc84EKdS1_dEEvlllT_PT11_llS4_llS2_PT12_llPT13_lli.uses_flat_scratch, 0
	.set _ZN12_GLOBAL__N_135rocblas_gemm_batched_general_kernelIdLi16ELi16ELi32ELi32ELi8ELi32ELi8ELi8ELi32ELc84ELc84EKdS1_dEEvlllT_PT11_llS4_llS2_PT12_llPT13_lli.has_dyn_sized_stack, 0
	.set _ZN12_GLOBAL__N_135rocblas_gemm_batched_general_kernelIdLi16ELi16ELi32ELi32ELi8ELi32ELi8ELi8ELi32ELc84ELc84EKdS1_dEEvlllT_PT11_llS4_llS2_PT12_llPT13_lli.has_recursion, 0
	.set _ZN12_GLOBAL__N_135rocblas_gemm_batched_general_kernelIdLi16ELi16ELi32ELi32ELi8ELi32ELi8ELi8ELi32ELc84ELc84EKdS1_dEEvlllT_PT11_llS4_llS2_PT12_llPT13_lli.has_indirect_call, 0
	.section	.AMDGPU.csdata,"",@progbits
; Kernel info:
; codeLenInByte = 1628
; TotalNumSgprs: 58
; NumVgprs: 58
; NumAgprs: 0
; TotalNumVgprs: 58
; ScratchSize: 0
; MemoryBound: 0
; FloatMode: 240
; IeeeMode: 1
; LDSByteSize: 4096 bytes/workgroup (compile time only)
; SGPRBlocks: 7
; VGPRBlocks: 7
; NumSGPRsForWavesPerEU: 58
; NumVGPRsForWavesPerEU: 58
; AccumOffset: 60
; Occupancy: 8
; WaveLimiterHint : 0
; COMPUTE_PGM_RSRC2:SCRATCH_EN: 0
; COMPUTE_PGM_RSRC2:USER_SGPR: 2
; COMPUTE_PGM_RSRC2:TRAP_HANDLER: 0
; COMPUTE_PGM_RSRC2:TGID_X_EN: 1
; COMPUTE_PGM_RSRC2:TGID_Y_EN: 1
; COMPUTE_PGM_RSRC2:TGID_Z_EN: 1
; COMPUTE_PGM_RSRC2:TIDIG_COMP_CNT: 1
; COMPUTE_PGM_RSRC3_GFX90A:ACCUM_OFFSET: 14
; COMPUTE_PGM_RSRC3_GFX90A:TG_SPLIT: 0
	.section	.text._ZN12_GLOBAL__N_135rocblas_gemm_batched_general_kernelIdLi16ELi16ELi32ELi32ELi8ELi32ELi8ELi8ELi32ELc67ELc67EKdS1_dEEvlllT_PT11_llS4_llS2_PT12_llPT13_lli,"axG",@progbits,_ZN12_GLOBAL__N_135rocblas_gemm_batched_general_kernelIdLi16ELi16ELi32ELi32ELi8ELi32ELi8ELi8ELi32ELc67ELc67EKdS1_dEEvlllT_PT11_llS4_llS2_PT12_llPT13_lli,comdat
	.globl	_ZN12_GLOBAL__N_135rocblas_gemm_batched_general_kernelIdLi16ELi16ELi32ELi32ELi8ELi32ELi8ELi8ELi32ELc67ELc67EKdS1_dEEvlllT_PT11_llS4_llS2_PT12_llPT13_lli ; -- Begin function _ZN12_GLOBAL__N_135rocblas_gemm_batched_general_kernelIdLi16ELi16ELi32ELi32ELi8ELi32ELi8ELi8ELi32ELc67ELc67EKdS1_dEEvlllT_PT11_llS4_llS2_PT12_llPT13_lli
	.p2align	8
	.type	_ZN12_GLOBAL__N_135rocblas_gemm_batched_general_kernelIdLi16ELi16ELi32ELi32ELi8ELi32ELi8ELi8ELi32ELc67ELc67EKdS1_dEEvlllT_PT11_llS4_llS2_PT12_llPT13_lli,@function
_ZN12_GLOBAL__N_135rocblas_gemm_batched_general_kernelIdLi16ELi16ELi32ELi32ELi8ELi32ELi8ELi8ELi32ELc67ELc67EKdS1_dEEvlllT_PT11_llS4_llS2_PT12_llPT13_lli: ; @_ZN12_GLOBAL__N_135rocblas_gemm_batched_general_kernelIdLi16ELi16ELi32ELi32ELi8ELi32ELi8ELi8ELi32ELc67ELc67EKdS1_dEEvlllT_PT11_llS4_llS2_PT12_llPT13_lli
; %bb.0:
	s_load_dwordx16 s[8:23], s[0:1], 0x0
	s_load_dwordx16 s[36:51], s[0:1], 0x40
	s_mov_b32 s28, s3
	s_ashr_i32 s3, s2, 31
	v_mov_b32_e32 v11, 0
	s_lshl_b64 s[24:25], s[2:3], 5
	s_ashr_i32 s29, s28, 31
	s_waitcnt lgkmcnt(0)
	v_cmp_lt_i64_e64 s[2:3], s[12:13], 1
	v_and_b32_e32 v2, 0x3ff, v0
	v_bfe_u32 v10, v0, 10, 10
	v_mov_b32_e32 v3, v11
	s_lshl_b64 s[26:27], s[28:29], 5
	s_and_b64 vcc, exec, s[2:3]
	s_cbranch_vccnz .LBB82_7
; %bb.1:
	v_lshl_add_u32 v16, v10, 4, v2
	v_lshrrev_b32_e32 v0, 3, v16
	v_mov_b32_e32 v1, v11
	v_and_b32_e32 v6, 31, v16
	v_lshrrev_b32_e32 v12, 5, v16
	v_and_b32_e32 v14, 7, v2
	v_lshl_add_u64 v[4:5], v[0:1], 0, s[26:27]
	v_lshlrev_b32_e32 v1, 3, v6
	v_lshl_or_b32 v22, v12, 8, v1
	v_lshlrev_b32_e32 v1, 3, v14
	v_lshl_or_b32 v0, v0, 6, v1
	v_add_u32_e32 v23, 0x800, v0
	v_mov_b32_e32 v0, 0x800
	s_mul_i32 s5, s39, s4
	s_mul_hi_u32 s30, s38, s4
	v_lshl_add_u32 v25, v10, 6, v0
	s_add_i32 s31, s30, s5
	s_mul_i32 s30, s38, s4
	v_mad_u64_u32 v[0:1], s[34:35], s36, v14, 0
	v_cmp_gt_i64_e64 s[6:7], s[10:11], v[4:5]
	s_lshl_b64 s[30:31], s[30:31], 3
	v_mov_b32_e32 v4, v1
	s_lshl_b64 s[28:29], s[28:29], 8
	v_mad_u64_u32 v[4:5], s[34:35], s37, v14, v[4:5]
	s_add_u32 s28, s28, s30
	v_mov_b32_e32 v1, v4
	s_addc_u32 s29, s29, s31
	v_lshl_add_u64 v[0:1], v[0:1], 3, s[28:29]
	v_and_b32_e32 v4, 0x7ff8, v16
	v_mov_b32_e32 v5, v11
	v_mov_b32_e32 v7, v11
	v_lshl_add_u64 v[0:1], v[0:1], 0, v[4:5]
	v_lshl_add_u64 v[16:17], s[22:23], 0, v[0:1]
	;; [unrolled: 1-line block ×3, first 2 shown]
	v_mul_lo_u32 v4, s19, v0
	v_mul_lo_u32 v5, s18, v1
	v_mad_u64_u32 v[0:1], s[18:19], s18, v0, 0
	s_mul_i32 s5, s21, s4
	s_mul_hi_u32 s18, s20, s4
	s_add_i32 s19, s18, s5
	s_mul_i32 s18, s20, s4
	v_add3_u32 v1, v1, v5, v4
	s_lshl_b64 s[18:19], s[18:19], 3
	v_lshl_add_u64 v[0:1], v[0:1], 3, s[18:19]
	v_lshlrev_b32_e32 v4, 3, v12
	v_mov_b32_e32 v5, v11
	v_or_b32_e32 v8, s24, v6
	v_mov_b32_e32 v9, s25
	v_lshl_add_u64 v[0:1], v[0:1], 0, v[4:5]
	v_mov_b32_e32 v13, v11
	v_mov_b32_e32 v15, v11
	v_cmp_gt_i64_e64 s[2:3], s[8:9], v[8:9]
	v_lshlrev_b32_e32 v24, 3, v2
	s_lshl_b64 s[22:23], s[36:37], 6
	v_lshl_add_u64 v[18:19], s[16:17], 0, v[0:1]
	s_mov_b64 s[16:17], 0
	v_mov_b64_e32 v[0:1], 0
	v_mov_b64_e32 v[20:21], s[12:13]
	;; [unrolled: 1-line block ×5, first 2 shown]
	s_branch .LBB82_3
.LBB82_2:                               ;   in Loop: Header=BB82_3 Depth=1
	s_or_b64 exec, exec, s[18:19]
	s_waitcnt vmcnt(0)
	ds_write_b64 v23, v[26:27]
	s_waitcnt lgkmcnt(0)
	s_barrier
	ds_read2_b64 v[26:29], v24 offset1:16
	ds_read_b128 v[30:33], v25
	ds_read_b128 v[34:37], v25 offset:16
	ds_read_b128 v[38:41], v25 offset:32
	;; [unrolled: 1-line block ×4, first 2 shown]
	ds_read2_b64 v[50:53], v24 offset0:32 offset1:48
	s_waitcnt lgkmcnt(5)
	v_fmac_f64_e32 v[8:9], v[26:27], v[30:31]
	v_fmac_f64_e32 v[6:7], v[28:29], v[30:31]
	ds_read_b128 v[54:57], v25 offset:1040
	s_waitcnt lgkmcnt(2)
	v_fmac_f64_e32 v[4:5], v[26:27], v[46:47]
	v_fmac_f64_e32 v[0:1], v[28:29], v[46:47]
	ds_read2_b64 v[26:29], v24 offset0:64 offset1:80
	s_waitcnt lgkmcnt(2)
	v_fmac_f64_e32 v[8:9], v[50:51], v[32:33]
	v_fmac_f64_e32 v[6:7], v[52:53], v[32:33]
	ds_read2_b64 v[30:33], v24 offset0:96 offset1:112
	v_fmac_f64_e32 v[4:5], v[50:51], v[48:49]
	v_fmac_f64_e32 v[0:1], v[52:53], v[48:49]
	s_waitcnt lgkmcnt(1)
	v_fmac_f64_e32 v[8:9], v[26:27], v[34:35]
	v_fmac_f64_e32 v[6:7], v[28:29], v[34:35]
	ds_read_b128 v[46:49], v25 offset:1072
	v_fmac_f64_e32 v[4:5], v[26:27], v[54:55]
	v_fmac_f64_e32 v[0:1], v[28:29], v[54:55]
	s_waitcnt lgkmcnt(1)
	v_fmac_f64_e32 v[8:9], v[30:31], v[36:37]
	ds_read2_b64 v[26:29], v24 offset0:128 offset1:144
	v_fmac_f64_e32 v[6:7], v[32:33], v[36:37]
	v_fmac_f64_e32 v[4:5], v[30:31], v[56:57]
	;; [unrolled: 1-line block ×3, first 2 shown]
	ds_read_b128 v[30:33], v25 offset:1056
	ds_read2_b64 v[34:37], v24 offset0:160 offset1:176
	s_waitcnt lgkmcnt(2)
	v_fmac_f64_e32 v[8:9], v[26:27], v[38:39]
	v_fmac_f64_e32 v[6:7], v[28:29], v[38:39]
	s_add_u32 s16, s16, 8
	s_waitcnt lgkmcnt(1)
	v_fmac_f64_e32 v[4:5], v[26:27], v[30:31]
	v_fmac_f64_e32 v[0:1], v[28:29], v[30:31]
	ds_read2_b64 v[26:29], v24 offset0:192 offset1:208
	s_waitcnt lgkmcnt(1)
	v_fmac_f64_e32 v[4:5], v[34:35], v[32:33]
	v_fmac_f64_e32 v[0:1], v[36:37], v[32:33]
	ds_read2_b64 v[30:33], v24 offset0:224 offset1:240
	v_fmac_f64_e32 v[8:9], v[34:35], v[40:41]
	v_fmac_f64_e32 v[6:7], v[36:37], v[40:41]
	s_addc_u32 s17, s17, 0
	s_waitcnt lgkmcnt(1)
	v_fmac_f64_e32 v[8:9], v[26:27], v[42:43]
	v_fmac_f64_e32 v[6:7], v[28:29], v[42:43]
	;; [unrolled: 1-line block ×4, first 2 shown]
	v_cmp_lt_i64_e32 vcc, s[16:17], v[20:21]
	s_waitcnt lgkmcnt(0)
	v_fmac_f64_e32 v[8:9], v[30:31], v[44:45]
	v_fmac_f64_e32 v[6:7], v[32:33], v[44:45]
	;; [unrolled: 1-line block ×4, first 2 shown]
	v_lshl_add_u64 v[16:17], v[16:17], 0, s[22:23]
	v_lshl_add_u64 v[18:19], v[18:19], 0, 64
	s_barrier
	s_cbranch_vccz .LBB82_8
.LBB82_3:                               ; =>This Inner Loop Header: Depth=1
	v_lshl_add_u64 v[26:27], v[12:13], 0, s[16:17]
	v_cmp_gt_i64_e32 vcc, s[12:13], v[26:27]
	s_and_b64 s[20:21], s[2:3], vcc
	v_mov_b64_e32 v[26:27], 0
	s_and_saveexec_b64 s[18:19], s[20:21]
	s_cbranch_execz .LBB82_5
; %bb.4:                                ;   in Loop: Header=BB82_3 Depth=1
	global_load_dwordx2 v[26:27], v[18:19], off
.LBB82_5:                               ;   in Loop: Header=BB82_3 Depth=1
	s_or_b64 exec, exec, s[18:19]
	s_waitcnt vmcnt(0)
	ds_write_b64 v22, v[26:27]
	v_lshl_add_u64 v[26:27], v[14:15], 0, s[16:17]
	v_cmp_gt_i64_e32 vcc, s[12:13], v[26:27]
	s_and_b64 s[20:21], vcc, s[6:7]
	v_mov_b64_e32 v[26:27], 0
	s_and_saveexec_b64 s[18:19], s[20:21]
	s_cbranch_execz .LBB82_2
; %bb.6:                                ;   in Loop: Header=BB82_3 Depth=1
	global_load_dwordx2 v[26:27], v[16:17], off
	s_branch .LBB82_2
.LBB82_7:
	v_mov_b64_e32 v[8:9], 0
	v_mov_b64_e32 v[6:7], 0
	;; [unrolled: 1-line block ×4, first 2 shown]
.LBB82_8:
	s_load_dwordx2 s[0:1], s[0:1], 0x80
	v_lshl_add_u64 v[10:11], s[26:27], 0, v[10:11]
	v_cmp_neq_f64_e64 s[2:3], s[40:41], 0
	s_waitcnt lgkmcnt(0)
	s_mul_i32 s1, s1, s4
	s_mul_hi_u32 s5, s0, s4
	s_mul_i32 s0, s0, s4
	s_add_i32 s1, s5, s1
	s_lshl_b64 s[0:1], s[0:1], 3
	s_add_u32 s12, s48, s0
	s_addc_u32 s13, s49, s1
	v_cmp_gt_i64_e64 s[0:1], s[10:11], v[10:11]
	s_and_b64 vcc, exec, s[2:3]
	s_cbranch_vccnz .LBB82_21
; %bb.9:
	s_and_saveexec_b64 s[16:17], s[0:1]
	s_cbranch_execz .LBB82_19
; %bb.10:
	v_mul_lo_u32 v16, v11, s50
	v_mul_lo_u32 v17, v10, s51
	v_mad_u64_u32 v[14:15], s[2:3], v10, s50, 0
	v_add3_u32 v15, v15, v17, v16
	v_lshl_add_u64 v[12:13], s[24:25], 0, v[2:3]
	v_lshl_add_u64 v[14:15], v[14:15], 3, s[12:13]
	v_cmp_gt_i64_e32 vcc, s[8:9], v[12:13]
	v_lshl_add_u64 v[16:17], v[12:13], 3, v[14:15]
	s_and_saveexec_b64 s[2:3], vcc
	s_cbranch_execz .LBB82_12
; %bb.11:
	v_mul_f64 v[18:19], s[14:15], v[8:9]
	global_store_dwordx2 v[16:17], v[18:19], off
.LBB82_12:
	s_or_b64 exec, exec, s[2:3]
	v_lshl_add_u64 v[18:19], v[12:13], 0, 16
	v_cmp_gt_i64_e64 s[2:3], s[8:9], v[18:19]
	s_and_saveexec_b64 s[6:7], s[2:3]
	s_cbranch_execz .LBB82_14
; %bb.13:
	v_mul_f64 v[18:19], s[14:15], v[6:7]
	global_store_dwordx2 v[16:17], v[18:19], off offset:128
.LBB82_14:
	s_or_b64 exec, exec, s[6:7]
	v_lshl_add_u64 v[16:17], v[10:11], 0, 16
	v_cmp_gt_i64_e64 s[6:7], s[10:11], v[16:17]
	s_and_b64 exec, exec, s[6:7]
	s_cbranch_execz .LBB82_19
; %bb.15:
	s_lshl_b64 s[6:7], s[50:51], 7
	v_lshl_add_u64 v[14:15], v[14:15], 0, s[6:7]
	v_lshl_add_u64 v[12:13], v[12:13], 3, v[14:15]
	s_and_saveexec_b64 s[6:7], vcc
	s_cbranch_execz .LBB82_17
; %bb.16:
	v_mul_f64 v[14:15], s[14:15], v[4:5]
	global_store_dwordx2 v[12:13], v[14:15], off
.LBB82_17:
	s_or_b64 exec, exec, s[6:7]
	s_and_b64 exec, exec, s[2:3]
	s_cbranch_execz .LBB82_19
; %bb.18:
	v_mul_f64 v[14:15], s[14:15], v[0:1]
	global_store_dwordx2 v[12:13], v[14:15], off offset:128
.LBB82_19:
	s_or_b64 exec, exec, s[16:17]
	s_cbranch_execz .LBB82_22
.LBB82_20:
	s_endpgm
.LBB82_21:
.LBB82_22:
	s_and_saveexec_b64 s[2:3], s[0:1]
	s_cbranch_execz .LBB82_20
; %bb.23:
	s_mul_i32 s0, s47, s4
	s_mul_hi_u32 s1, s46, s4
	s_add_i32 s1, s1, s0
	s_mul_i32 s0, s46, s4
	s_lshl_b64 s[0:1], s[0:1], 3
	v_lshl_add_u64 v[16:17], s[24:25], 0, v[2:3]
	v_mul_lo_u32 v12, v11, s44
	v_mul_lo_u32 v13, v10, s45
	v_mad_u64_u32 v[2:3], s[2:3], v10, s44, 0
	s_add_u32 s0, s42, s0
	v_add3_u32 v3, v3, v13, v12
	v_mul_lo_u32 v14, v11, s50
	v_mul_lo_u32 v15, v10, s51
	v_mad_u64_u32 v[12:13], s[2:3], v10, s50, 0
	s_addc_u32 s1, s43, s1
	v_add3_u32 v13, v13, v15, v14
	v_cmp_gt_i64_e32 vcc, s[8:9], v[16:17]
	v_lshl_add_u64 v[14:15], v[2:3], 3, s[0:1]
	v_lshl_add_u64 v[12:13], v[12:13], 3, s[12:13]
	v_lshlrev_b64 v[2:3], 3, v[16:17]
	s_and_saveexec_b64 s[0:1], vcc
	s_cbranch_execz .LBB82_25
; %bb.24:
	v_lshl_add_u64 v[18:19], v[14:15], 0, v[2:3]
	global_load_dwordx2 v[18:19], v[18:19], off
	s_waitcnt vmcnt(0)
	v_mul_f64 v[18:19], s[40:41], v[18:19]
	v_fmac_f64_e32 v[18:19], s[14:15], v[8:9]
	v_lshl_add_u64 v[8:9], v[12:13], 0, v[2:3]
	global_store_dwordx2 v[8:9], v[18:19], off
.LBB82_25:
	s_or_b64 exec, exec, s[0:1]
	v_lshl_add_u64 v[8:9], v[16:17], 0, 16
	v_cmp_gt_i64_e64 s[0:1], s[8:9], v[8:9]
	s_and_saveexec_b64 s[2:3], s[0:1]
	s_cbranch_execz .LBB82_27
; %bb.26:
	v_lshl_add_u64 v[8:9], v[14:15], 0, v[2:3]
	global_load_dwordx2 v[8:9], v[8:9], off offset:128
	s_waitcnt vmcnt(0)
	v_mul_f64 v[8:9], s[40:41], v[8:9]
	v_fmac_f64_e32 v[8:9], s[14:15], v[6:7]
	v_lshl_add_u64 v[6:7], v[12:13], 0, v[2:3]
	global_store_dwordx2 v[6:7], v[8:9], off offset:128
.LBB82_27:
	s_or_b64 exec, exec, s[2:3]
	v_lshl_add_u64 v[6:7], v[10:11], 0, 16
	v_cmp_gt_i64_e64 s[2:3], s[10:11], v[6:7]
	s_and_b64 exec, exec, s[2:3]
	s_cbranch_execz .LBB82_20
; %bb.28:
	s_lshl_b64 s[2:3], s[44:45], 7
	v_lshl_add_u64 v[6:7], v[14:15], 0, s[2:3]
	s_lshl_b64 s[2:3], s[50:51], 7
	v_lshl_add_u64 v[8:9], v[12:13], 0, s[2:3]
	v_lshl_add_u64 v[6:7], v[6:7], 0, v[2:3]
	;; [unrolled: 1-line block ×3, first 2 shown]
	s_and_saveexec_b64 s[2:3], vcc
	s_cbranch_execz .LBB82_30
; %bb.29:
	global_load_dwordx2 v[8:9], v[6:7], off
	s_waitcnt vmcnt(0)
	v_mul_f64 v[8:9], s[40:41], v[8:9]
	v_fmac_f64_e32 v[8:9], s[14:15], v[4:5]
	global_store_dwordx2 v[2:3], v[8:9], off
.LBB82_30:
	s_or_b64 exec, exec, s[2:3]
	s_and_b64 exec, exec, s[0:1]
	s_cbranch_execz .LBB82_20
; %bb.31:
	global_load_dwordx2 v[4:5], v[6:7], off offset:128
	s_waitcnt vmcnt(0)
	v_mul_f64 v[4:5], s[40:41], v[4:5]
	v_fmac_f64_e32 v[4:5], s[14:15], v[0:1]
	global_store_dwordx2 v[2:3], v[4:5], off offset:128
	s_endpgm
	.section	.rodata,"a",@progbits
	.p2align	6, 0x0
	.amdhsa_kernel _ZN12_GLOBAL__N_135rocblas_gemm_batched_general_kernelIdLi16ELi16ELi32ELi32ELi8ELi32ELi8ELi8ELi32ELc67ELc67EKdS1_dEEvlllT_PT11_llS4_llS2_PT12_llPT13_lli
		.amdhsa_group_segment_fixed_size 4096
		.amdhsa_private_segment_fixed_size 0
		.amdhsa_kernarg_size 140
		.amdhsa_user_sgpr_count 2
		.amdhsa_user_sgpr_dispatch_ptr 0
		.amdhsa_user_sgpr_queue_ptr 0
		.amdhsa_user_sgpr_kernarg_segment_ptr 1
		.amdhsa_user_sgpr_dispatch_id 0
		.amdhsa_user_sgpr_kernarg_preload_length 0
		.amdhsa_user_sgpr_kernarg_preload_offset 0
		.amdhsa_user_sgpr_private_segment_size 0
		.amdhsa_uses_dynamic_stack 0
		.amdhsa_enable_private_segment 0
		.amdhsa_system_sgpr_workgroup_id_x 1
		.amdhsa_system_sgpr_workgroup_id_y 1
		.amdhsa_system_sgpr_workgroup_id_z 1
		.amdhsa_system_sgpr_workgroup_info 0
		.amdhsa_system_vgpr_workitem_id 1
		.amdhsa_next_free_vgpr 58
		.amdhsa_next_free_sgpr 52
		.amdhsa_accum_offset 60
		.amdhsa_reserve_vcc 1
		.amdhsa_float_round_mode_32 0
		.amdhsa_float_round_mode_16_64 0
		.amdhsa_float_denorm_mode_32 3
		.amdhsa_float_denorm_mode_16_64 3
		.amdhsa_dx10_clamp 1
		.amdhsa_ieee_mode 1
		.amdhsa_fp16_overflow 0
		.amdhsa_tg_split 0
		.amdhsa_exception_fp_ieee_invalid_op 0
		.amdhsa_exception_fp_denorm_src 0
		.amdhsa_exception_fp_ieee_div_zero 0
		.amdhsa_exception_fp_ieee_overflow 0
		.amdhsa_exception_fp_ieee_underflow 0
		.amdhsa_exception_fp_ieee_inexact 0
		.amdhsa_exception_int_div_zero 0
	.end_amdhsa_kernel
	.section	.text._ZN12_GLOBAL__N_135rocblas_gemm_batched_general_kernelIdLi16ELi16ELi32ELi32ELi8ELi32ELi8ELi8ELi32ELc67ELc67EKdS1_dEEvlllT_PT11_llS4_llS2_PT12_llPT13_lli,"axG",@progbits,_ZN12_GLOBAL__N_135rocblas_gemm_batched_general_kernelIdLi16ELi16ELi32ELi32ELi8ELi32ELi8ELi8ELi32ELc67ELc67EKdS1_dEEvlllT_PT11_llS4_llS2_PT12_llPT13_lli,comdat
.Lfunc_end82:
	.size	_ZN12_GLOBAL__N_135rocblas_gemm_batched_general_kernelIdLi16ELi16ELi32ELi32ELi8ELi32ELi8ELi8ELi32ELc67ELc67EKdS1_dEEvlllT_PT11_llS4_llS2_PT12_llPT13_lli, .Lfunc_end82-_ZN12_GLOBAL__N_135rocblas_gemm_batched_general_kernelIdLi16ELi16ELi32ELi32ELi8ELi32ELi8ELi8ELi32ELc67ELc67EKdS1_dEEvlllT_PT11_llS4_llS2_PT12_llPT13_lli
                                        ; -- End function
	.set _ZN12_GLOBAL__N_135rocblas_gemm_batched_general_kernelIdLi16ELi16ELi32ELi32ELi8ELi32ELi8ELi8ELi32ELc67ELc67EKdS1_dEEvlllT_PT11_llS4_llS2_PT12_llPT13_lli.num_vgpr, 58
	.set _ZN12_GLOBAL__N_135rocblas_gemm_batched_general_kernelIdLi16ELi16ELi32ELi32ELi8ELi32ELi8ELi8ELi32ELc67ELc67EKdS1_dEEvlllT_PT11_llS4_llS2_PT12_llPT13_lli.num_agpr, 0
	.set _ZN12_GLOBAL__N_135rocblas_gemm_batched_general_kernelIdLi16ELi16ELi32ELi32ELi8ELi32ELi8ELi8ELi32ELc67ELc67EKdS1_dEEvlllT_PT11_llS4_llS2_PT12_llPT13_lli.numbered_sgpr, 52
	.set _ZN12_GLOBAL__N_135rocblas_gemm_batched_general_kernelIdLi16ELi16ELi32ELi32ELi8ELi32ELi8ELi8ELi32ELc67ELc67EKdS1_dEEvlllT_PT11_llS4_llS2_PT12_llPT13_lli.num_named_barrier, 0
	.set _ZN12_GLOBAL__N_135rocblas_gemm_batched_general_kernelIdLi16ELi16ELi32ELi32ELi8ELi32ELi8ELi8ELi32ELc67ELc67EKdS1_dEEvlllT_PT11_llS4_llS2_PT12_llPT13_lli.private_seg_size, 0
	.set _ZN12_GLOBAL__N_135rocblas_gemm_batched_general_kernelIdLi16ELi16ELi32ELi32ELi8ELi32ELi8ELi8ELi32ELc67ELc67EKdS1_dEEvlllT_PT11_llS4_llS2_PT12_llPT13_lli.uses_vcc, 1
	.set _ZN12_GLOBAL__N_135rocblas_gemm_batched_general_kernelIdLi16ELi16ELi32ELi32ELi8ELi32ELi8ELi8ELi32ELc67ELc67EKdS1_dEEvlllT_PT11_llS4_llS2_PT12_llPT13_lli.uses_flat_scratch, 0
	.set _ZN12_GLOBAL__N_135rocblas_gemm_batched_general_kernelIdLi16ELi16ELi32ELi32ELi8ELi32ELi8ELi8ELi32ELc67ELc67EKdS1_dEEvlllT_PT11_llS4_llS2_PT12_llPT13_lli.has_dyn_sized_stack, 0
	.set _ZN12_GLOBAL__N_135rocblas_gemm_batched_general_kernelIdLi16ELi16ELi32ELi32ELi8ELi32ELi8ELi8ELi32ELc67ELc67EKdS1_dEEvlllT_PT11_llS4_llS2_PT12_llPT13_lli.has_recursion, 0
	.set _ZN12_GLOBAL__N_135rocblas_gemm_batched_general_kernelIdLi16ELi16ELi32ELi32ELi8ELi32ELi8ELi8ELi32ELc67ELc67EKdS1_dEEvlllT_PT11_llS4_llS2_PT12_llPT13_lli.has_indirect_call, 0
	.section	.AMDGPU.csdata,"",@progbits
; Kernel info:
; codeLenInByte = 1628
; TotalNumSgprs: 58
; NumVgprs: 58
; NumAgprs: 0
; TotalNumVgprs: 58
; ScratchSize: 0
; MemoryBound: 0
; FloatMode: 240
; IeeeMode: 1
; LDSByteSize: 4096 bytes/workgroup (compile time only)
; SGPRBlocks: 7
; VGPRBlocks: 7
; NumSGPRsForWavesPerEU: 58
; NumVGPRsForWavesPerEU: 58
; AccumOffset: 60
; Occupancy: 8
; WaveLimiterHint : 0
; COMPUTE_PGM_RSRC2:SCRATCH_EN: 0
; COMPUTE_PGM_RSRC2:USER_SGPR: 2
; COMPUTE_PGM_RSRC2:TRAP_HANDLER: 0
; COMPUTE_PGM_RSRC2:TGID_X_EN: 1
; COMPUTE_PGM_RSRC2:TGID_Y_EN: 1
; COMPUTE_PGM_RSRC2:TGID_Z_EN: 1
; COMPUTE_PGM_RSRC2:TIDIG_COMP_CNT: 1
; COMPUTE_PGM_RSRC3_GFX90A:ACCUM_OFFSET: 14
; COMPUTE_PGM_RSRC3_GFX90A:TG_SPLIT: 0
	.section	.text._ZN12_GLOBAL__N_135rocblas_gemm_batched_general_kernelIdLi16ELi16ELi32ELi32ELi8ELi32ELi8ELi8ELi32ELc67ELc78EKdS1_dEEvlllT_PT11_llS4_llS2_PT12_llPT13_lli,"axG",@progbits,_ZN12_GLOBAL__N_135rocblas_gemm_batched_general_kernelIdLi16ELi16ELi32ELi32ELi8ELi32ELi8ELi8ELi32ELc67ELc78EKdS1_dEEvlllT_PT11_llS4_llS2_PT12_llPT13_lli,comdat
	.globl	_ZN12_GLOBAL__N_135rocblas_gemm_batched_general_kernelIdLi16ELi16ELi32ELi32ELi8ELi32ELi8ELi8ELi32ELc67ELc78EKdS1_dEEvlllT_PT11_llS4_llS2_PT12_llPT13_lli ; -- Begin function _ZN12_GLOBAL__N_135rocblas_gemm_batched_general_kernelIdLi16ELi16ELi32ELi32ELi8ELi32ELi8ELi8ELi32ELc67ELc78EKdS1_dEEvlllT_PT11_llS4_llS2_PT12_llPT13_lli
	.p2align	8
	.type	_ZN12_GLOBAL__N_135rocblas_gemm_batched_general_kernelIdLi16ELi16ELi32ELi32ELi8ELi32ELi8ELi8ELi32ELc67ELc78EKdS1_dEEvlllT_PT11_llS4_llS2_PT12_llPT13_lli,@function
_ZN12_GLOBAL__N_135rocblas_gemm_batched_general_kernelIdLi16ELi16ELi32ELi32ELi8ELi32ELi8ELi8ELi32ELc67ELc78EKdS1_dEEvlllT_PT11_llS4_llS2_PT12_llPT13_lli: ; @_ZN12_GLOBAL__N_135rocblas_gemm_batched_general_kernelIdLi16ELi16ELi32ELi32ELi8ELi32ELi8ELi8ELi32ELc67ELc78EKdS1_dEEvlllT_PT11_llS4_llS2_PT12_llPT13_lli
; %bb.0:
	s_load_dwordx16 s[8:23], s[0:1], 0x0
	s_load_dwordx16 s[36:51], s[0:1], 0x40
	s_mov_b32 s6, s3
	s_ashr_i32 s3, s2, 31
	v_mov_b32_e32 v11, 0
	s_lshl_b64 s[24:25], s[2:3], 5
	s_ashr_i32 s7, s6, 31
	s_waitcnt lgkmcnt(0)
	v_cmp_lt_i64_e64 s[2:3], s[12:13], 1
	v_and_b32_e32 v2, 0x3ff, v0
	v_bfe_u32 v10, v0, 10, 10
	v_mov_b32_e32 v3, v11
	s_lshl_b64 s[26:27], s[6:7], 5
	s_and_b64 vcc, exec, s[2:3]
	s_cbranch_vccnz .LBB83_7
; %bb.1:
	v_lshl_add_u32 v6, v10, 4, v2
	v_lshrrev_b32_e32 v12, 5, v6
	v_lshrrev_b32_e32 v0, 3, v6
	v_and_b32_e32 v6, 31, v6
	v_and_b32_e32 v14, 7, v2
	v_or_b32_e32 v8, s24, v6
	v_mov_b32_e32 v9, s25
	v_mov_b32_e32 v1, v11
	v_cmp_gt_i64_e64 s[2:3], s[8:9], v[8:9]
	v_lshlrev_b32_e32 v8, 3, v14
	v_lshl_add_u64 v[4:5], v[0:1], 0, s[26:27]
	v_lshl_or_b32 v0, v0, 6, v8
	v_lshlrev_b32_e32 v1, 3, v6
	v_add_u32_e32 v23, 0x800, v0
	v_mov_b32_e32 v0, 0x800
	v_lshl_or_b32 v22, v12, 8, v1
	v_lshl_add_u32 v25, v10, 6, v0
	v_mad_u64_u32 v[0:1], s[28:29], s36, v4, 0
	s_mul_i32 s5, s39, s4
	s_mul_hi_u32 s28, s38, s4
	v_cmp_gt_i64_e64 s[6:7], s[10:11], v[4:5]
	v_mul_lo_u32 v9, s37, v4
	v_mul_lo_u32 v5, s36, v5
	s_add_i32 s29, s28, s5
	s_mul_i32 s28, s38, s4
	v_add3_u32 v1, v1, v5, v9
	s_lshl_b64 s[28:29], s[28:29], 3
	v_lshl_add_u64 v[0:1], v[0:1], 3, s[28:29]
	v_mov_b32_e32 v9, v11
	v_mov_b32_e32 v7, v11
	v_lshl_add_u64 v[0:1], v[0:1], 0, v[8:9]
	v_lshl_add_u64 v[16:17], s[22:23], 0, v[0:1]
	;; [unrolled: 1-line block ×3, first 2 shown]
	v_mul_lo_u32 v4, s19, v0
	v_mul_lo_u32 v5, s18, v1
	v_mad_u64_u32 v[0:1], s[18:19], s18, v0, 0
	s_mul_i32 s5, s21, s4
	s_mul_hi_u32 s18, s20, s4
	s_add_i32 s19, s18, s5
	s_mul_i32 s18, s20, s4
	v_add3_u32 v1, v1, v5, v4
	s_lshl_b64 s[18:19], s[18:19], 3
	v_lshl_add_u64 v[0:1], v[0:1], 3, s[18:19]
	v_lshlrev_b32_e32 v4, 3, v12
	v_mov_b32_e32 v5, v11
	v_lshl_add_u64 v[0:1], v[0:1], 0, v[4:5]
	v_mov_b32_e32 v13, v11
	v_mov_b32_e32 v15, v11
	v_lshlrev_b32_e32 v24, 3, v2
	v_lshl_add_u64 v[18:19], s[16:17], 0, v[0:1]
	s_mov_b64 s[16:17], 0
	v_mov_b64_e32 v[0:1], 0
	v_mov_b64_e32 v[20:21], s[12:13]
	;; [unrolled: 1-line block ×5, first 2 shown]
	s_branch .LBB83_3
.LBB83_2:                               ;   in Loop: Header=BB83_3 Depth=1
	s_or_b64 exec, exec, s[18:19]
	s_waitcnt vmcnt(0)
	ds_write_b64 v23, v[26:27]
	s_waitcnt lgkmcnt(0)
	s_barrier
	ds_read2_b64 v[26:29], v24 offset1:16
	ds_read_b128 v[30:33], v25
	ds_read_b128 v[34:37], v25 offset:16
	ds_read_b128 v[38:41], v25 offset:32
	;; [unrolled: 1-line block ×4, first 2 shown]
	ds_read2_b64 v[50:53], v24 offset0:32 offset1:48
	s_waitcnt lgkmcnt(5)
	v_fmac_f64_e32 v[8:9], v[26:27], v[30:31]
	v_fmac_f64_e32 v[6:7], v[28:29], v[30:31]
	ds_read_b128 v[54:57], v25 offset:1040
	s_waitcnt lgkmcnt(2)
	v_fmac_f64_e32 v[4:5], v[26:27], v[46:47]
	v_fmac_f64_e32 v[0:1], v[28:29], v[46:47]
	ds_read2_b64 v[26:29], v24 offset0:64 offset1:80
	s_waitcnt lgkmcnt(2)
	v_fmac_f64_e32 v[8:9], v[50:51], v[32:33]
	v_fmac_f64_e32 v[6:7], v[52:53], v[32:33]
	ds_read2_b64 v[30:33], v24 offset0:96 offset1:112
	v_fmac_f64_e32 v[4:5], v[50:51], v[48:49]
	v_fmac_f64_e32 v[0:1], v[52:53], v[48:49]
	s_waitcnt lgkmcnt(1)
	v_fmac_f64_e32 v[8:9], v[26:27], v[34:35]
	v_fmac_f64_e32 v[6:7], v[28:29], v[34:35]
	ds_read_b128 v[46:49], v25 offset:1072
	v_fmac_f64_e32 v[4:5], v[26:27], v[54:55]
	v_fmac_f64_e32 v[0:1], v[28:29], v[54:55]
	s_waitcnt lgkmcnt(1)
	v_fmac_f64_e32 v[8:9], v[30:31], v[36:37]
	ds_read2_b64 v[26:29], v24 offset0:128 offset1:144
	v_fmac_f64_e32 v[6:7], v[32:33], v[36:37]
	v_fmac_f64_e32 v[4:5], v[30:31], v[56:57]
	;; [unrolled: 1-line block ×3, first 2 shown]
	ds_read_b128 v[30:33], v25 offset:1056
	ds_read2_b64 v[34:37], v24 offset0:160 offset1:176
	s_waitcnt lgkmcnt(2)
	v_fmac_f64_e32 v[8:9], v[26:27], v[38:39]
	v_fmac_f64_e32 v[6:7], v[28:29], v[38:39]
	s_add_u32 s16, s16, 8
	s_waitcnt lgkmcnt(1)
	v_fmac_f64_e32 v[4:5], v[26:27], v[30:31]
	v_fmac_f64_e32 v[0:1], v[28:29], v[30:31]
	ds_read2_b64 v[26:29], v24 offset0:192 offset1:208
	s_waitcnt lgkmcnt(1)
	v_fmac_f64_e32 v[4:5], v[34:35], v[32:33]
	v_fmac_f64_e32 v[0:1], v[36:37], v[32:33]
	ds_read2_b64 v[30:33], v24 offset0:224 offset1:240
	v_fmac_f64_e32 v[8:9], v[34:35], v[40:41]
	v_fmac_f64_e32 v[6:7], v[36:37], v[40:41]
	s_addc_u32 s17, s17, 0
	s_waitcnt lgkmcnt(1)
	v_fmac_f64_e32 v[8:9], v[26:27], v[42:43]
	v_fmac_f64_e32 v[6:7], v[28:29], v[42:43]
	;; [unrolled: 1-line block ×4, first 2 shown]
	v_cmp_lt_i64_e32 vcc, s[16:17], v[20:21]
	s_waitcnt lgkmcnt(0)
	v_fmac_f64_e32 v[8:9], v[30:31], v[44:45]
	v_fmac_f64_e32 v[6:7], v[32:33], v[44:45]
	;; [unrolled: 1-line block ×4, first 2 shown]
	v_lshl_add_u64 v[16:17], v[16:17], 0, 64
	v_lshl_add_u64 v[18:19], v[18:19], 0, 64
	s_barrier
	s_cbranch_vccz .LBB83_8
.LBB83_3:                               ; =>This Inner Loop Header: Depth=1
	v_lshl_add_u64 v[26:27], v[12:13], 0, s[16:17]
	v_cmp_gt_i64_e32 vcc, s[12:13], v[26:27]
	s_and_b64 s[20:21], s[2:3], vcc
	v_mov_b64_e32 v[26:27], 0
	s_and_saveexec_b64 s[18:19], s[20:21]
	s_cbranch_execz .LBB83_5
; %bb.4:                                ;   in Loop: Header=BB83_3 Depth=1
	global_load_dwordx2 v[26:27], v[18:19], off
.LBB83_5:                               ;   in Loop: Header=BB83_3 Depth=1
	s_or_b64 exec, exec, s[18:19]
	s_waitcnt vmcnt(0)
	ds_write_b64 v22, v[26:27]
	v_lshl_add_u64 v[26:27], v[14:15], 0, s[16:17]
	v_cmp_gt_i64_e32 vcc, s[12:13], v[26:27]
	s_and_b64 s[20:21], vcc, s[6:7]
	v_mov_b64_e32 v[26:27], 0
	s_and_saveexec_b64 s[18:19], s[20:21]
	s_cbranch_execz .LBB83_2
; %bb.6:                                ;   in Loop: Header=BB83_3 Depth=1
	global_load_dwordx2 v[26:27], v[16:17], off
	s_branch .LBB83_2
.LBB83_7:
	v_mov_b64_e32 v[8:9], 0
	v_mov_b64_e32 v[6:7], 0
	v_mov_b64_e32 v[4:5], 0
	v_mov_b64_e32 v[0:1], 0
.LBB83_8:
	s_load_dwordx2 s[0:1], s[0:1], 0x80
	v_lshl_add_u64 v[10:11], s[26:27], 0, v[10:11]
	v_cmp_neq_f64_e64 s[2:3], s[40:41], 0
	s_waitcnt lgkmcnt(0)
	s_mul_i32 s1, s1, s4
	s_mul_hi_u32 s5, s0, s4
	s_mul_i32 s0, s0, s4
	s_add_i32 s1, s5, s1
	s_lshl_b64 s[0:1], s[0:1], 3
	s_add_u32 s12, s48, s0
	s_addc_u32 s13, s49, s1
	v_cmp_gt_i64_e64 s[0:1], s[10:11], v[10:11]
	s_and_b64 vcc, exec, s[2:3]
	s_cbranch_vccnz .LBB83_21
; %bb.9:
	s_and_saveexec_b64 s[16:17], s[0:1]
	s_cbranch_execz .LBB83_19
; %bb.10:
	v_mul_lo_u32 v16, v11, s50
	v_mul_lo_u32 v17, v10, s51
	v_mad_u64_u32 v[14:15], s[2:3], v10, s50, 0
	v_add3_u32 v15, v15, v17, v16
	v_lshl_add_u64 v[12:13], s[24:25], 0, v[2:3]
	v_lshl_add_u64 v[14:15], v[14:15], 3, s[12:13]
	v_cmp_gt_i64_e32 vcc, s[8:9], v[12:13]
	v_lshl_add_u64 v[16:17], v[12:13], 3, v[14:15]
	s_and_saveexec_b64 s[2:3], vcc
	s_cbranch_execz .LBB83_12
; %bb.11:
	v_mul_f64 v[18:19], s[14:15], v[8:9]
	global_store_dwordx2 v[16:17], v[18:19], off
.LBB83_12:
	s_or_b64 exec, exec, s[2:3]
	v_lshl_add_u64 v[18:19], v[12:13], 0, 16
	v_cmp_gt_i64_e64 s[2:3], s[8:9], v[18:19]
	s_and_saveexec_b64 s[6:7], s[2:3]
	s_cbranch_execz .LBB83_14
; %bb.13:
	v_mul_f64 v[18:19], s[14:15], v[6:7]
	global_store_dwordx2 v[16:17], v[18:19], off offset:128
.LBB83_14:
	s_or_b64 exec, exec, s[6:7]
	v_lshl_add_u64 v[16:17], v[10:11], 0, 16
	v_cmp_gt_i64_e64 s[6:7], s[10:11], v[16:17]
	s_and_b64 exec, exec, s[6:7]
	s_cbranch_execz .LBB83_19
; %bb.15:
	s_lshl_b64 s[6:7], s[50:51], 7
	v_lshl_add_u64 v[14:15], v[14:15], 0, s[6:7]
	v_lshl_add_u64 v[12:13], v[12:13], 3, v[14:15]
	s_and_saveexec_b64 s[6:7], vcc
	s_cbranch_execz .LBB83_17
; %bb.16:
	v_mul_f64 v[14:15], s[14:15], v[4:5]
	global_store_dwordx2 v[12:13], v[14:15], off
.LBB83_17:
	s_or_b64 exec, exec, s[6:7]
	s_and_b64 exec, exec, s[2:3]
	s_cbranch_execz .LBB83_19
; %bb.18:
	v_mul_f64 v[14:15], s[14:15], v[0:1]
	global_store_dwordx2 v[12:13], v[14:15], off offset:128
.LBB83_19:
	s_or_b64 exec, exec, s[16:17]
	s_cbranch_execz .LBB83_22
.LBB83_20:
	s_endpgm
.LBB83_21:
.LBB83_22:
	s_and_saveexec_b64 s[2:3], s[0:1]
	s_cbranch_execz .LBB83_20
; %bb.23:
	s_mul_i32 s0, s47, s4
	s_mul_hi_u32 s1, s46, s4
	s_add_i32 s1, s1, s0
	s_mul_i32 s0, s46, s4
	s_lshl_b64 s[0:1], s[0:1], 3
	v_lshl_add_u64 v[16:17], s[24:25], 0, v[2:3]
	v_mul_lo_u32 v12, v11, s44
	v_mul_lo_u32 v13, v10, s45
	v_mad_u64_u32 v[2:3], s[2:3], v10, s44, 0
	s_add_u32 s0, s42, s0
	v_add3_u32 v3, v3, v13, v12
	v_mul_lo_u32 v14, v11, s50
	v_mul_lo_u32 v15, v10, s51
	v_mad_u64_u32 v[12:13], s[2:3], v10, s50, 0
	s_addc_u32 s1, s43, s1
	v_add3_u32 v13, v13, v15, v14
	v_cmp_gt_i64_e32 vcc, s[8:9], v[16:17]
	v_lshl_add_u64 v[14:15], v[2:3], 3, s[0:1]
	v_lshl_add_u64 v[12:13], v[12:13], 3, s[12:13]
	v_lshlrev_b64 v[2:3], 3, v[16:17]
	s_and_saveexec_b64 s[0:1], vcc
	s_cbranch_execz .LBB83_25
; %bb.24:
	v_lshl_add_u64 v[18:19], v[14:15], 0, v[2:3]
	global_load_dwordx2 v[18:19], v[18:19], off
	s_waitcnt vmcnt(0)
	v_mul_f64 v[18:19], s[40:41], v[18:19]
	v_fmac_f64_e32 v[18:19], s[14:15], v[8:9]
	v_lshl_add_u64 v[8:9], v[12:13], 0, v[2:3]
	global_store_dwordx2 v[8:9], v[18:19], off
.LBB83_25:
	s_or_b64 exec, exec, s[0:1]
	v_lshl_add_u64 v[8:9], v[16:17], 0, 16
	v_cmp_gt_i64_e64 s[0:1], s[8:9], v[8:9]
	s_and_saveexec_b64 s[2:3], s[0:1]
	s_cbranch_execz .LBB83_27
; %bb.26:
	v_lshl_add_u64 v[8:9], v[14:15], 0, v[2:3]
	global_load_dwordx2 v[8:9], v[8:9], off offset:128
	s_waitcnt vmcnt(0)
	v_mul_f64 v[8:9], s[40:41], v[8:9]
	v_fmac_f64_e32 v[8:9], s[14:15], v[6:7]
	v_lshl_add_u64 v[6:7], v[12:13], 0, v[2:3]
	global_store_dwordx2 v[6:7], v[8:9], off offset:128
.LBB83_27:
	s_or_b64 exec, exec, s[2:3]
	v_lshl_add_u64 v[6:7], v[10:11], 0, 16
	v_cmp_gt_i64_e64 s[2:3], s[10:11], v[6:7]
	s_and_b64 exec, exec, s[2:3]
	s_cbranch_execz .LBB83_20
; %bb.28:
	s_lshl_b64 s[2:3], s[44:45], 7
	v_lshl_add_u64 v[6:7], v[14:15], 0, s[2:3]
	s_lshl_b64 s[2:3], s[50:51], 7
	v_lshl_add_u64 v[8:9], v[12:13], 0, s[2:3]
	v_lshl_add_u64 v[6:7], v[6:7], 0, v[2:3]
	;; [unrolled: 1-line block ×3, first 2 shown]
	s_and_saveexec_b64 s[2:3], vcc
	s_cbranch_execz .LBB83_30
; %bb.29:
	global_load_dwordx2 v[8:9], v[6:7], off
	s_waitcnt vmcnt(0)
	v_mul_f64 v[8:9], s[40:41], v[8:9]
	v_fmac_f64_e32 v[8:9], s[14:15], v[4:5]
	global_store_dwordx2 v[2:3], v[8:9], off
.LBB83_30:
	s_or_b64 exec, exec, s[2:3]
	s_and_b64 exec, exec, s[0:1]
	s_cbranch_execz .LBB83_20
; %bb.31:
	global_load_dwordx2 v[4:5], v[6:7], off offset:128
	s_waitcnt vmcnt(0)
	v_mul_f64 v[4:5], s[40:41], v[4:5]
	v_fmac_f64_e32 v[4:5], s[14:15], v[0:1]
	global_store_dwordx2 v[2:3], v[4:5], off offset:128
	s_endpgm
	.section	.rodata,"a",@progbits
	.p2align	6, 0x0
	.amdhsa_kernel _ZN12_GLOBAL__N_135rocblas_gemm_batched_general_kernelIdLi16ELi16ELi32ELi32ELi8ELi32ELi8ELi8ELi32ELc67ELc78EKdS1_dEEvlllT_PT11_llS4_llS2_PT12_llPT13_lli
		.amdhsa_group_segment_fixed_size 4096
		.amdhsa_private_segment_fixed_size 0
		.amdhsa_kernarg_size 140
		.amdhsa_user_sgpr_count 2
		.amdhsa_user_sgpr_dispatch_ptr 0
		.amdhsa_user_sgpr_queue_ptr 0
		.amdhsa_user_sgpr_kernarg_segment_ptr 1
		.amdhsa_user_sgpr_dispatch_id 0
		.amdhsa_user_sgpr_kernarg_preload_length 0
		.amdhsa_user_sgpr_kernarg_preload_offset 0
		.amdhsa_user_sgpr_private_segment_size 0
		.amdhsa_uses_dynamic_stack 0
		.amdhsa_enable_private_segment 0
		.amdhsa_system_sgpr_workgroup_id_x 1
		.amdhsa_system_sgpr_workgroup_id_y 1
		.amdhsa_system_sgpr_workgroup_id_z 1
		.amdhsa_system_sgpr_workgroup_info 0
		.amdhsa_system_vgpr_workitem_id 1
		.amdhsa_next_free_vgpr 58
		.amdhsa_next_free_sgpr 52
		.amdhsa_accum_offset 60
		.amdhsa_reserve_vcc 1
		.amdhsa_float_round_mode_32 0
		.amdhsa_float_round_mode_16_64 0
		.amdhsa_float_denorm_mode_32 3
		.amdhsa_float_denorm_mode_16_64 3
		.amdhsa_dx10_clamp 1
		.amdhsa_ieee_mode 1
		.amdhsa_fp16_overflow 0
		.amdhsa_tg_split 0
		.amdhsa_exception_fp_ieee_invalid_op 0
		.amdhsa_exception_fp_denorm_src 0
		.amdhsa_exception_fp_ieee_div_zero 0
		.amdhsa_exception_fp_ieee_overflow 0
		.amdhsa_exception_fp_ieee_underflow 0
		.amdhsa_exception_fp_ieee_inexact 0
		.amdhsa_exception_int_div_zero 0
	.end_amdhsa_kernel
	.section	.text._ZN12_GLOBAL__N_135rocblas_gemm_batched_general_kernelIdLi16ELi16ELi32ELi32ELi8ELi32ELi8ELi8ELi32ELc67ELc78EKdS1_dEEvlllT_PT11_llS4_llS2_PT12_llPT13_lli,"axG",@progbits,_ZN12_GLOBAL__N_135rocblas_gemm_batched_general_kernelIdLi16ELi16ELi32ELi32ELi8ELi32ELi8ELi8ELi32ELc67ELc78EKdS1_dEEvlllT_PT11_llS4_llS2_PT12_llPT13_lli,comdat
.Lfunc_end83:
	.size	_ZN12_GLOBAL__N_135rocblas_gemm_batched_general_kernelIdLi16ELi16ELi32ELi32ELi8ELi32ELi8ELi8ELi32ELc67ELc78EKdS1_dEEvlllT_PT11_llS4_llS2_PT12_llPT13_lli, .Lfunc_end83-_ZN12_GLOBAL__N_135rocblas_gemm_batched_general_kernelIdLi16ELi16ELi32ELi32ELi8ELi32ELi8ELi8ELi32ELc67ELc78EKdS1_dEEvlllT_PT11_llS4_llS2_PT12_llPT13_lli
                                        ; -- End function
	.set _ZN12_GLOBAL__N_135rocblas_gemm_batched_general_kernelIdLi16ELi16ELi32ELi32ELi8ELi32ELi8ELi8ELi32ELc67ELc78EKdS1_dEEvlllT_PT11_llS4_llS2_PT12_llPT13_lli.num_vgpr, 58
	.set _ZN12_GLOBAL__N_135rocblas_gemm_batched_general_kernelIdLi16ELi16ELi32ELi32ELi8ELi32ELi8ELi8ELi32ELc67ELc78EKdS1_dEEvlllT_PT11_llS4_llS2_PT12_llPT13_lli.num_agpr, 0
	.set _ZN12_GLOBAL__N_135rocblas_gemm_batched_general_kernelIdLi16ELi16ELi32ELi32ELi8ELi32ELi8ELi8ELi32ELc67ELc78EKdS1_dEEvlllT_PT11_llS4_llS2_PT12_llPT13_lli.numbered_sgpr, 52
	.set _ZN12_GLOBAL__N_135rocblas_gemm_batched_general_kernelIdLi16ELi16ELi32ELi32ELi8ELi32ELi8ELi8ELi32ELc67ELc78EKdS1_dEEvlllT_PT11_llS4_llS2_PT12_llPT13_lli.num_named_barrier, 0
	.set _ZN12_GLOBAL__N_135rocblas_gemm_batched_general_kernelIdLi16ELi16ELi32ELi32ELi8ELi32ELi8ELi8ELi32ELc67ELc78EKdS1_dEEvlllT_PT11_llS4_llS2_PT12_llPT13_lli.private_seg_size, 0
	.set _ZN12_GLOBAL__N_135rocblas_gemm_batched_general_kernelIdLi16ELi16ELi32ELi32ELi8ELi32ELi8ELi8ELi32ELc67ELc78EKdS1_dEEvlllT_PT11_llS4_llS2_PT12_llPT13_lli.uses_vcc, 1
	.set _ZN12_GLOBAL__N_135rocblas_gemm_batched_general_kernelIdLi16ELi16ELi32ELi32ELi8ELi32ELi8ELi8ELi32ELc67ELc78EKdS1_dEEvlllT_PT11_llS4_llS2_PT12_llPT13_lli.uses_flat_scratch, 0
	.set _ZN12_GLOBAL__N_135rocblas_gemm_batched_general_kernelIdLi16ELi16ELi32ELi32ELi8ELi32ELi8ELi8ELi32ELc67ELc78EKdS1_dEEvlllT_PT11_llS4_llS2_PT12_llPT13_lli.has_dyn_sized_stack, 0
	.set _ZN12_GLOBAL__N_135rocblas_gemm_batched_general_kernelIdLi16ELi16ELi32ELi32ELi8ELi32ELi8ELi8ELi32ELc67ELc78EKdS1_dEEvlllT_PT11_llS4_llS2_PT12_llPT13_lli.has_recursion, 0
	.set _ZN12_GLOBAL__N_135rocblas_gemm_batched_general_kernelIdLi16ELi16ELi32ELi32ELi8ELi32ELi8ELi8ELi32ELc67ELc78EKdS1_dEEvlllT_PT11_llS4_llS2_PT12_llPT13_lli.has_indirect_call, 0
	.section	.AMDGPU.csdata,"",@progbits
; Kernel info:
; codeLenInByte = 1612
; TotalNumSgprs: 58
; NumVgprs: 58
; NumAgprs: 0
; TotalNumVgprs: 58
; ScratchSize: 0
; MemoryBound: 0
; FloatMode: 240
; IeeeMode: 1
; LDSByteSize: 4096 bytes/workgroup (compile time only)
; SGPRBlocks: 7
; VGPRBlocks: 7
; NumSGPRsForWavesPerEU: 58
; NumVGPRsForWavesPerEU: 58
; AccumOffset: 60
; Occupancy: 8
; WaveLimiterHint : 0
; COMPUTE_PGM_RSRC2:SCRATCH_EN: 0
; COMPUTE_PGM_RSRC2:USER_SGPR: 2
; COMPUTE_PGM_RSRC2:TRAP_HANDLER: 0
; COMPUTE_PGM_RSRC2:TGID_X_EN: 1
; COMPUTE_PGM_RSRC2:TGID_Y_EN: 1
; COMPUTE_PGM_RSRC2:TGID_Z_EN: 1
; COMPUTE_PGM_RSRC2:TIDIG_COMP_CNT: 1
; COMPUTE_PGM_RSRC3_GFX90A:ACCUM_OFFSET: 14
; COMPUTE_PGM_RSRC3_GFX90A:TG_SPLIT: 0
	.section	.text._ZN12_GLOBAL__N_135rocblas_gemm_batched_general_kernelIdLi16ELi16ELi32ELi32ELi8ELi32ELi8ELi8ELi32ELc67ELc84EKdS1_dEEvlllT_PT11_llS4_llS2_PT12_llPT13_lli,"axG",@progbits,_ZN12_GLOBAL__N_135rocblas_gemm_batched_general_kernelIdLi16ELi16ELi32ELi32ELi8ELi32ELi8ELi8ELi32ELc67ELc84EKdS1_dEEvlllT_PT11_llS4_llS2_PT12_llPT13_lli,comdat
	.globl	_ZN12_GLOBAL__N_135rocblas_gemm_batched_general_kernelIdLi16ELi16ELi32ELi32ELi8ELi32ELi8ELi8ELi32ELc67ELc84EKdS1_dEEvlllT_PT11_llS4_llS2_PT12_llPT13_lli ; -- Begin function _ZN12_GLOBAL__N_135rocblas_gemm_batched_general_kernelIdLi16ELi16ELi32ELi32ELi8ELi32ELi8ELi8ELi32ELc67ELc84EKdS1_dEEvlllT_PT11_llS4_llS2_PT12_llPT13_lli
	.p2align	8
	.type	_ZN12_GLOBAL__N_135rocblas_gemm_batched_general_kernelIdLi16ELi16ELi32ELi32ELi8ELi32ELi8ELi8ELi32ELc67ELc84EKdS1_dEEvlllT_PT11_llS4_llS2_PT12_llPT13_lli,@function
_ZN12_GLOBAL__N_135rocblas_gemm_batched_general_kernelIdLi16ELi16ELi32ELi32ELi8ELi32ELi8ELi8ELi32ELc67ELc84EKdS1_dEEvlllT_PT11_llS4_llS2_PT12_llPT13_lli: ; @_ZN12_GLOBAL__N_135rocblas_gemm_batched_general_kernelIdLi16ELi16ELi32ELi32ELi8ELi32ELi8ELi8ELi32ELc67ELc84EKdS1_dEEvlllT_PT11_llS4_llS2_PT12_llPT13_lli
; %bb.0:
	s_load_dwordx16 s[8:23], s[0:1], 0x0
	s_load_dwordx16 s[36:51], s[0:1], 0x40
	s_mov_b32 s28, s3
	s_ashr_i32 s3, s2, 31
	v_mov_b32_e32 v11, 0
	s_lshl_b64 s[24:25], s[2:3], 5
	s_ashr_i32 s29, s28, 31
	s_waitcnt lgkmcnt(0)
	v_cmp_lt_i64_e64 s[2:3], s[12:13], 1
	v_and_b32_e32 v2, 0x3ff, v0
	v_bfe_u32 v10, v0, 10, 10
	v_mov_b32_e32 v3, v11
	s_lshl_b64 s[26:27], s[28:29], 5
	s_and_b64 vcc, exec, s[2:3]
	s_cbranch_vccnz .LBB84_7
; %bb.1:
	v_lshl_add_u32 v16, v10, 4, v2
	v_lshrrev_b32_e32 v0, 3, v16
	v_mov_b32_e32 v1, v11
	v_and_b32_e32 v6, 31, v16
	v_lshrrev_b32_e32 v12, 5, v16
	v_and_b32_e32 v14, 7, v2
	v_lshl_add_u64 v[4:5], v[0:1], 0, s[26:27]
	v_lshlrev_b32_e32 v1, 3, v6
	v_lshl_or_b32 v22, v12, 8, v1
	v_lshlrev_b32_e32 v1, 3, v14
	v_lshl_or_b32 v0, v0, 6, v1
	v_add_u32_e32 v23, 0x800, v0
	v_mov_b32_e32 v0, 0x800
	s_mul_i32 s5, s39, s4
	s_mul_hi_u32 s30, s38, s4
	v_lshl_add_u32 v25, v10, 6, v0
	s_add_i32 s31, s30, s5
	s_mul_i32 s30, s38, s4
	v_mad_u64_u32 v[0:1], s[34:35], s36, v14, 0
	v_cmp_gt_i64_e64 s[6:7], s[10:11], v[4:5]
	s_lshl_b64 s[30:31], s[30:31], 3
	v_mov_b32_e32 v4, v1
	s_lshl_b64 s[28:29], s[28:29], 8
	v_mad_u64_u32 v[4:5], s[34:35], s37, v14, v[4:5]
	s_add_u32 s28, s28, s30
	v_mov_b32_e32 v1, v4
	s_addc_u32 s29, s29, s31
	v_lshl_add_u64 v[0:1], v[0:1], 3, s[28:29]
	v_and_b32_e32 v4, 0x7ff8, v16
	v_mov_b32_e32 v5, v11
	v_mov_b32_e32 v7, v11
	v_lshl_add_u64 v[0:1], v[0:1], 0, v[4:5]
	v_lshl_add_u64 v[16:17], s[22:23], 0, v[0:1]
	v_lshl_add_u64 v[0:1], s[24:25], 0, v[6:7]
	v_mul_lo_u32 v4, s19, v0
	v_mul_lo_u32 v5, s18, v1
	v_mad_u64_u32 v[0:1], s[18:19], s18, v0, 0
	s_mul_i32 s5, s21, s4
	s_mul_hi_u32 s18, s20, s4
	s_add_i32 s19, s18, s5
	s_mul_i32 s18, s20, s4
	v_add3_u32 v1, v1, v5, v4
	s_lshl_b64 s[18:19], s[18:19], 3
	v_lshl_add_u64 v[0:1], v[0:1], 3, s[18:19]
	v_lshlrev_b32_e32 v4, 3, v12
	v_mov_b32_e32 v5, v11
	v_or_b32_e32 v8, s24, v6
	v_mov_b32_e32 v9, s25
	v_lshl_add_u64 v[0:1], v[0:1], 0, v[4:5]
	v_mov_b32_e32 v13, v11
	v_mov_b32_e32 v15, v11
	v_cmp_gt_i64_e64 s[2:3], s[8:9], v[8:9]
	v_lshlrev_b32_e32 v24, 3, v2
	s_lshl_b64 s[22:23], s[36:37], 6
	v_lshl_add_u64 v[18:19], s[16:17], 0, v[0:1]
	s_mov_b64 s[16:17], 0
	v_mov_b64_e32 v[0:1], 0
	v_mov_b64_e32 v[20:21], s[12:13]
	;; [unrolled: 1-line block ×5, first 2 shown]
	s_branch .LBB84_3
.LBB84_2:                               ;   in Loop: Header=BB84_3 Depth=1
	s_or_b64 exec, exec, s[18:19]
	s_waitcnt vmcnt(0)
	ds_write_b64 v23, v[26:27]
	s_waitcnt lgkmcnt(0)
	s_barrier
	ds_read2_b64 v[26:29], v24 offset1:16
	ds_read_b128 v[30:33], v25
	ds_read_b128 v[34:37], v25 offset:16
	ds_read_b128 v[38:41], v25 offset:32
	;; [unrolled: 1-line block ×4, first 2 shown]
	ds_read2_b64 v[50:53], v24 offset0:32 offset1:48
	s_waitcnt lgkmcnt(5)
	v_fmac_f64_e32 v[8:9], v[26:27], v[30:31]
	v_fmac_f64_e32 v[6:7], v[28:29], v[30:31]
	ds_read_b128 v[54:57], v25 offset:1040
	s_waitcnt lgkmcnt(2)
	v_fmac_f64_e32 v[4:5], v[26:27], v[46:47]
	v_fmac_f64_e32 v[0:1], v[28:29], v[46:47]
	ds_read2_b64 v[26:29], v24 offset0:64 offset1:80
	s_waitcnt lgkmcnt(2)
	v_fmac_f64_e32 v[8:9], v[50:51], v[32:33]
	v_fmac_f64_e32 v[6:7], v[52:53], v[32:33]
	ds_read2_b64 v[30:33], v24 offset0:96 offset1:112
	v_fmac_f64_e32 v[4:5], v[50:51], v[48:49]
	v_fmac_f64_e32 v[0:1], v[52:53], v[48:49]
	s_waitcnt lgkmcnt(1)
	v_fmac_f64_e32 v[8:9], v[26:27], v[34:35]
	v_fmac_f64_e32 v[6:7], v[28:29], v[34:35]
	ds_read_b128 v[46:49], v25 offset:1072
	v_fmac_f64_e32 v[4:5], v[26:27], v[54:55]
	v_fmac_f64_e32 v[0:1], v[28:29], v[54:55]
	s_waitcnt lgkmcnt(1)
	v_fmac_f64_e32 v[8:9], v[30:31], v[36:37]
	ds_read2_b64 v[26:29], v24 offset0:128 offset1:144
	v_fmac_f64_e32 v[6:7], v[32:33], v[36:37]
	v_fmac_f64_e32 v[4:5], v[30:31], v[56:57]
	v_fmac_f64_e32 v[0:1], v[32:33], v[56:57]
	ds_read_b128 v[30:33], v25 offset:1056
	ds_read2_b64 v[34:37], v24 offset0:160 offset1:176
	s_waitcnt lgkmcnt(2)
	v_fmac_f64_e32 v[8:9], v[26:27], v[38:39]
	v_fmac_f64_e32 v[6:7], v[28:29], v[38:39]
	s_add_u32 s16, s16, 8
	s_waitcnt lgkmcnt(1)
	v_fmac_f64_e32 v[4:5], v[26:27], v[30:31]
	v_fmac_f64_e32 v[0:1], v[28:29], v[30:31]
	ds_read2_b64 v[26:29], v24 offset0:192 offset1:208
	s_waitcnt lgkmcnt(1)
	v_fmac_f64_e32 v[4:5], v[34:35], v[32:33]
	v_fmac_f64_e32 v[0:1], v[36:37], v[32:33]
	ds_read2_b64 v[30:33], v24 offset0:224 offset1:240
	v_fmac_f64_e32 v[8:9], v[34:35], v[40:41]
	v_fmac_f64_e32 v[6:7], v[36:37], v[40:41]
	s_addc_u32 s17, s17, 0
	s_waitcnt lgkmcnt(1)
	v_fmac_f64_e32 v[8:9], v[26:27], v[42:43]
	v_fmac_f64_e32 v[6:7], v[28:29], v[42:43]
	;; [unrolled: 1-line block ×4, first 2 shown]
	v_cmp_lt_i64_e32 vcc, s[16:17], v[20:21]
	s_waitcnt lgkmcnt(0)
	v_fmac_f64_e32 v[8:9], v[30:31], v[44:45]
	v_fmac_f64_e32 v[6:7], v[32:33], v[44:45]
	;; [unrolled: 1-line block ×4, first 2 shown]
	v_lshl_add_u64 v[16:17], v[16:17], 0, s[22:23]
	v_lshl_add_u64 v[18:19], v[18:19], 0, 64
	s_barrier
	s_cbranch_vccz .LBB84_8
.LBB84_3:                               ; =>This Inner Loop Header: Depth=1
	v_lshl_add_u64 v[26:27], v[12:13], 0, s[16:17]
	v_cmp_gt_i64_e32 vcc, s[12:13], v[26:27]
	s_and_b64 s[20:21], s[2:3], vcc
	v_mov_b64_e32 v[26:27], 0
	s_and_saveexec_b64 s[18:19], s[20:21]
	s_cbranch_execz .LBB84_5
; %bb.4:                                ;   in Loop: Header=BB84_3 Depth=1
	global_load_dwordx2 v[26:27], v[18:19], off
.LBB84_5:                               ;   in Loop: Header=BB84_3 Depth=1
	s_or_b64 exec, exec, s[18:19]
	s_waitcnt vmcnt(0)
	ds_write_b64 v22, v[26:27]
	v_lshl_add_u64 v[26:27], v[14:15], 0, s[16:17]
	v_cmp_gt_i64_e32 vcc, s[12:13], v[26:27]
	s_and_b64 s[20:21], vcc, s[6:7]
	v_mov_b64_e32 v[26:27], 0
	s_and_saveexec_b64 s[18:19], s[20:21]
	s_cbranch_execz .LBB84_2
; %bb.6:                                ;   in Loop: Header=BB84_3 Depth=1
	global_load_dwordx2 v[26:27], v[16:17], off
	s_branch .LBB84_2
.LBB84_7:
	v_mov_b64_e32 v[8:9], 0
	v_mov_b64_e32 v[6:7], 0
	;; [unrolled: 1-line block ×4, first 2 shown]
.LBB84_8:
	s_load_dwordx2 s[0:1], s[0:1], 0x80
	v_lshl_add_u64 v[10:11], s[26:27], 0, v[10:11]
	v_cmp_neq_f64_e64 s[2:3], s[40:41], 0
	s_waitcnt lgkmcnt(0)
	s_mul_i32 s1, s1, s4
	s_mul_hi_u32 s5, s0, s4
	s_mul_i32 s0, s0, s4
	s_add_i32 s1, s5, s1
	s_lshl_b64 s[0:1], s[0:1], 3
	s_add_u32 s12, s48, s0
	s_addc_u32 s13, s49, s1
	v_cmp_gt_i64_e64 s[0:1], s[10:11], v[10:11]
	s_and_b64 vcc, exec, s[2:3]
	s_cbranch_vccnz .LBB84_21
; %bb.9:
	s_and_saveexec_b64 s[16:17], s[0:1]
	s_cbranch_execz .LBB84_19
; %bb.10:
	v_mul_lo_u32 v16, v11, s50
	v_mul_lo_u32 v17, v10, s51
	v_mad_u64_u32 v[14:15], s[2:3], v10, s50, 0
	v_add3_u32 v15, v15, v17, v16
	v_lshl_add_u64 v[12:13], s[24:25], 0, v[2:3]
	v_lshl_add_u64 v[14:15], v[14:15], 3, s[12:13]
	v_cmp_gt_i64_e32 vcc, s[8:9], v[12:13]
	v_lshl_add_u64 v[16:17], v[12:13], 3, v[14:15]
	s_and_saveexec_b64 s[2:3], vcc
	s_cbranch_execz .LBB84_12
; %bb.11:
	v_mul_f64 v[18:19], s[14:15], v[8:9]
	global_store_dwordx2 v[16:17], v[18:19], off
.LBB84_12:
	s_or_b64 exec, exec, s[2:3]
	v_lshl_add_u64 v[18:19], v[12:13], 0, 16
	v_cmp_gt_i64_e64 s[2:3], s[8:9], v[18:19]
	s_and_saveexec_b64 s[6:7], s[2:3]
	s_cbranch_execz .LBB84_14
; %bb.13:
	v_mul_f64 v[18:19], s[14:15], v[6:7]
	global_store_dwordx2 v[16:17], v[18:19], off offset:128
.LBB84_14:
	s_or_b64 exec, exec, s[6:7]
	v_lshl_add_u64 v[16:17], v[10:11], 0, 16
	v_cmp_gt_i64_e64 s[6:7], s[10:11], v[16:17]
	s_and_b64 exec, exec, s[6:7]
	s_cbranch_execz .LBB84_19
; %bb.15:
	s_lshl_b64 s[6:7], s[50:51], 7
	v_lshl_add_u64 v[14:15], v[14:15], 0, s[6:7]
	v_lshl_add_u64 v[12:13], v[12:13], 3, v[14:15]
	s_and_saveexec_b64 s[6:7], vcc
	s_cbranch_execz .LBB84_17
; %bb.16:
	v_mul_f64 v[14:15], s[14:15], v[4:5]
	global_store_dwordx2 v[12:13], v[14:15], off
.LBB84_17:
	s_or_b64 exec, exec, s[6:7]
	s_and_b64 exec, exec, s[2:3]
	s_cbranch_execz .LBB84_19
; %bb.18:
	v_mul_f64 v[14:15], s[14:15], v[0:1]
	global_store_dwordx2 v[12:13], v[14:15], off offset:128
.LBB84_19:
	s_or_b64 exec, exec, s[16:17]
	s_cbranch_execz .LBB84_22
.LBB84_20:
	s_endpgm
.LBB84_21:
.LBB84_22:
	s_and_saveexec_b64 s[2:3], s[0:1]
	s_cbranch_execz .LBB84_20
; %bb.23:
	s_mul_i32 s0, s47, s4
	s_mul_hi_u32 s1, s46, s4
	s_add_i32 s1, s1, s0
	s_mul_i32 s0, s46, s4
	s_lshl_b64 s[0:1], s[0:1], 3
	v_lshl_add_u64 v[16:17], s[24:25], 0, v[2:3]
	v_mul_lo_u32 v12, v11, s44
	v_mul_lo_u32 v13, v10, s45
	v_mad_u64_u32 v[2:3], s[2:3], v10, s44, 0
	s_add_u32 s0, s42, s0
	v_add3_u32 v3, v3, v13, v12
	v_mul_lo_u32 v14, v11, s50
	v_mul_lo_u32 v15, v10, s51
	v_mad_u64_u32 v[12:13], s[2:3], v10, s50, 0
	s_addc_u32 s1, s43, s1
	v_add3_u32 v13, v13, v15, v14
	v_cmp_gt_i64_e32 vcc, s[8:9], v[16:17]
	v_lshl_add_u64 v[14:15], v[2:3], 3, s[0:1]
	v_lshl_add_u64 v[12:13], v[12:13], 3, s[12:13]
	v_lshlrev_b64 v[2:3], 3, v[16:17]
	s_and_saveexec_b64 s[0:1], vcc
	s_cbranch_execz .LBB84_25
; %bb.24:
	v_lshl_add_u64 v[18:19], v[14:15], 0, v[2:3]
	global_load_dwordx2 v[18:19], v[18:19], off
	s_waitcnt vmcnt(0)
	v_mul_f64 v[18:19], s[40:41], v[18:19]
	v_fmac_f64_e32 v[18:19], s[14:15], v[8:9]
	v_lshl_add_u64 v[8:9], v[12:13], 0, v[2:3]
	global_store_dwordx2 v[8:9], v[18:19], off
.LBB84_25:
	s_or_b64 exec, exec, s[0:1]
	v_lshl_add_u64 v[8:9], v[16:17], 0, 16
	v_cmp_gt_i64_e64 s[0:1], s[8:9], v[8:9]
	s_and_saveexec_b64 s[2:3], s[0:1]
	s_cbranch_execz .LBB84_27
; %bb.26:
	v_lshl_add_u64 v[8:9], v[14:15], 0, v[2:3]
	global_load_dwordx2 v[8:9], v[8:9], off offset:128
	s_waitcnt vmcnt(0)
	v_mul_f64 v[8:9], s[40:41], v[8:9]
	v_fmac_f64_e32 v[8:9], s[14:15], v[6:7]
	v_lshl_add_u64 v[6:7], v[12:13], 0, v[2:3]
	global_store_dwordx2 v[6:7], v[8:9], off offset:128
.LBB84_27:
	s_or_b64 exec, exec, s[2:3]
	v_lshl_add_u64 v[6:7], v[10:11], 0, 16
	v_cmp_gt_i64_e64 s[2:3], s[10:11], v[6:7]
	s_and_b64 exec, exec, s[2:3]
	s_cbranch_execz .LBB84_20
; %bb.28:
	s_lshl_b64 s[2:3], s[44:45], 7
	v_lshl_add_u64 v[6:7], v[14:15], 0, s[2:3]
	s_lshl_b64 s[2:3], s[50:51], 7
	v_lshl_add_u64 v[8:9], v[12:13], 0, s[2:3]
	v_lshl_add_u64 v[6:7], v[6:7], 0, v[2:3]
	;; [unrolled: 1-line block ×3, first 2 shown]
	s_and_saveexec_b64 s[2:3], vcc
	s_cbranch_execz .LBB84_30
; %bb.29:
	global_load_dwordx2 v[8:9], v[6:7], off
	s_waitcnt vmcnt(0)
	v_mul_f64 v[8:9], s[40:41], v[8:9]
	v_fmac_f64_e32 v[8:9], s[14:15], v[4:5]
	global_store_dwordx2 v[2:3], v[8:9], off
.LBB84_30:
	s_or_b64 exec, exec, s[2:3]
	s_and_b64 exec, exec, s[0:1]
	s_cbranch_execz .LBB84_20
; %bb.31:
	global_load_dwordx2 v[4:5], v[6:7], off offset:128
	s_waitcnt vmcnt(0)
	v_mul_f64 v[4:5], s[40:41], v[4:5]
	v_fmac_f64_e32 v[4:5], s[14:15], v[0:1]
	global_store_dwordx2 v[2:3], v[4:5], off offset:128
	s_endpgm
	.section	.rodata,"a",@progbits
	.p2align	6, 0x0
	.amdhsa_kernel _ZN12_GLOBAL__N_135rocblas_gemm_batched_general_kernelIdLi16ELi16ELi32ELi32ELi8ELi32ELi8ELi8ELi32ELc67ELc84EKdS1_dEEvlllT_PT11_llS4_llS2_PT12_llPT13_lli
		.amdhsa_group_segment_fixed_size 4096
		.amdhsa_private_segment_fixed_size 0
		.amdhsa_kernarg_size 140
		.amdhsa_user_sgpr_count 2
		.amdhsa_user_sgpr_dispatch_ptr 0
		.amdhsa_user_sgpr_queue_ptr 0
		.amdhsa_user_sgpr_kernarg_segment_ptr 1
		.amdhsa_user_sgpr_dispatch_id 0
		.amdhsa_user_sgpr_kernarg_preload_length 0
		.amdhsa_user_sgpr_kernarg_preload_offset 0
		.amdhsa_user_sgpr_private_segment_size 0
		.amdhsa_uses_dynamic_stack 0
		.amdhsa_enable_private_segment 0
		.amdhsa_system_sgpr_workgroup_id_x 1
		.amdhsa_system_sgpr_workgroup_id_y 1
		.amdhsa_system_sgpr_workgroup_id_z 1
		.amdhsa_system_sgpr_workgroup_info 0
		.amdhsa_system_vgpr_workitem_id 1
		.amdhsa_next_free_vgpr 58
		.amdhsa_next_free_sgpr 52
		.amdhsa_accum_offset 60
		.amdhsa_reserve_vcc 1
		.amdhsa_float_round_mode_32 0
		.amdhsa_float_round_mode_16_64 0
		.amdhsa_float_denorm_mode_32 3
		.amdhsa_float_denorm_mode_16_64 3
		.amdhsa_dx10_clamp 1
		.amdhsa_ieee_mode 1
		.amdhsa_fp16_overflow 0
		.amdhsa_tg_split 0
		.amdhsa_exception_fp_ieee_invalid_op 0
		.amdhsa_exception_fp_denorm_src 0
		.amdhsa_exception_fp_ieee_div_zero 0
		.amdhsa_exception_fp_ieee_overflow 0
		.amdhsa_exception_fp_ieee_underflow 0
		.amdhsa_exception_fp_ieee_inexact 0
		.amdhsa_exception_int_div_zero 0
	.end_amdhsa_kernel
	.section	.text._ZN12_GLOBAL__N_135rocblas_gemm_batched_general_kernelIdLi16ELi16ELi32ELi32ELi8ELi32ELi8ELi8ELi32ELc67ELc84EKdS1_dEEvlllT_PT11_llS4_llS2_PT12_llPT13_lli,"axG",@progbits,_ZN12_GLOBAL__N_135rocblas_gemm_batched_general_kernelIdLi16ELi16ELi32ELi32ELi8ELi32ELi8ELi8ELi32ELc67ELc84EKdS1_dEEvlllT_PT11_llS4_llS2_PT12_llPT13_lli,comdat
.Lfunc_end84:
	.size	_ZN12_GLOBAL__N_135rocblas_gemm_batched_general_kernelIdLi16ELi16ELi32ELi32ELi8ELi32ELi8ELi8ELi32ELc67ELc84EKdS1_dEEvlllT_PT11_llS4_llS2_PT12_llPT13_lli, .Lfunc_end84-_ZN12_GLOBAL__N_135rocblas_gemm_batched_general_kernelIdLi16ELi16ELi32ELi32ELi8ELi32ELi8ELi8ELi32ELc67ELc84EKdS1_dEEvlllT_PT11_llS4_llS2_PT12_llPT13_lli
                                        ; -- End function
	.set _ZN12_GLOBAL__N_135rocblas_gemm_batched_general_kernelIdLi16ELi16ELi32ELi32ELi8ELi32ELi8ELi8ELi32ELc67ELc84EKdS1_dEEvlllT_PT11_llS4_llS2_PT12_llPT13_lli.num_vgpr, 58
	.set _ZN12_GLOBAL__N_135rocblas_gemm_batched_general_kernelIdLi16ELi16ELi32ELi32ELi8ELi32ELi8ELi8ELi32ELc67ELc84EKdS1_dEEvlllT_PT11_llS4_llS2_PT12_llPT13_lli.num_agpr, 0
	.set _ZN12_GLOBAL__N_135rocblas_gemm_batched_general_kernelIdLi16ELi16ELi32ELi32ELi8ELi32ELi8ELi8ELi32ELc67ELc84EKdS1_dEEvlllT_PT11_llS4_llS2_PT12_llPT13_lli.numbered_sgpr, 52
	.set _ZN12_GLOBAL__N_135rocblas_gemm_batched_general_kernelIdLi16ELi16ELi32ELi32ELi8ELi32ELi8ELi8ELi32ELc67ELc84EKdS1_dEEvlllT_PT11_llS4_llS2_PT12_llPT13_lli.num_named_barrier, 0
	.set _ZN12_GLOBAL__N_135rocblas_gemm_batched_general_kernelIdLi16ELi16ELi32ELi32ELi8ELi32ELi8ELi8ELi32ELc67ELc84EKdS1_dEEvlllT_PT11_llS4_llS2_PT12_llPT13_lli.private_seg_size, 0
	.set _ZN12_GLOBAL__N_135rocblas_gemm_batched_general_kernelIdLi16ELi16ELi32ELi32ELi8ELi32ELi8ELi8ELi32ELc67ELc84EKdS1_dEEvlllT_PT11_llS4_llS2_PT12_llPT13_lli.uses_vcc, 1
	.set _ZN12_GLOBAL__N_135rocblas_gemm_batched_general_kernelIdLi16ELi16ELi32ELi32ELi8ELi32ELi8ELi8ELi32ELc67ELc84EKdS1_dEEvlllT_PT11_llS4_llS2_PT12_llPT13_lli.uses_flat_scratch, 0
	.set _ZN12_GLOBAL__N_135rocblas_gemm_batched_general_kernelIdLi16ELi16ELi32ELi32ELi8ELi32ELi8ELi8ELi32ELc67ELc84EKdS1_dEEvlllT_PT11_llS4_llS2_PT12_llPT13_lli.has_dyn_sized_stack, 0
	.set _ZN12_GLOBAL__N_135rocblas_gemm_batched_general_kernelIdLi16ELi16ELi32ELi32ELi8ELi32ELi8ELi8ELi32ELc67ELc84EKdS1_dEEvlllT_PT11_llS4_llS2_PT12_llPT13_lli.has_recursion, 0
	.set _ZN12_GLOBAL__N_135rocblas_gemm_batched_general_kernelIdLi16ELi16ELi32ELi32ELi8ELi32ELi8ELi8ELi32ELc67ELc84EKdS1_dEEvlllT_PT11_llS4_llS2_PT12_llPT13_lli.has_indirect_call, 0
	.section	.AMDGPU.csdata,"",@progbits
; Kernel info:
; codeLenInByte = 1628
; TotalNumSgprs: 58
; NumVgprs: 58
; NumAgprs: 0
; TotalNumVgprs: 58
; ScratchSize: 0
; MemoryBound: 0
; FloatMode: 240
; IeeeMode: 1
; LDSByteSize: 4096 bytes/workgroup (compile time only)
; SGPRBlocks: 7
; VGPRBlocks: 7
; NumSGPRsForWavesPerEU: 58
; NumVGPRsForWavesPerEU: 58
; AccumOffset: 60
; Occupancy: 8
; WaveLimiterHint : 0
; COMPUTE_PGM_RSRC2:SCRATCH_EN: 0
; COMPUTE_PGM_RSRC2:USER_SGPR: 2
; COMPUTE_PGM_RSRC2:TRAP_HANDLER: 0
; COMPUTE_PGM_RSRC2:TGID_X_EN: 1
; COMPUTE_PGM_RSRC2:TGID_Y_EN: 1
; COMPUTE_PGM_RSRC2:TGID_Z_EN: 1
; COMPUTE_PGM_RSRC2:TIDIG_COMP_CNT: 1
; COMPUTE_PGM_RSRC3_GFX90A:ACCUM_OFFSET: 14
; COMPUTE_PGM_RSRC3_GFX90A:TG_SPLIT: 0
	.section	.text._ZN12_GLOBAL__N_135rocblas_gemm_batched_general_kernelIdLi16ELi16ELi32ELi32ELi8ELi32ELi8ELi8ELi32ELc78ELc67EKdS1_dEEvlllT_PT11_llS4_llS2_PT12_llPT13_lli,"axG",@progbits,_ZN12_GLOBAL__N_135rocblas_gemm_batched_general_kernelIdLi16ELi16ELi32ELi32ELi8ELi32ELi8ELi8ELi32ELc78ELc67EKdS1_dEEvlllT_PT11_llS4_llS2_PT12_llPT13_lli,comdat
	.globl	_ZN12_GLOBAL__N_135rocblas_gemm_batched_general_kernelIdLi16ELi16ELi32ELi32ELi8ELi32ELi8ELi8ELi32ELc78ELc67EKdS1_dEEvlllT_PT11_llS4_llS2_PT12_llPT13_lli ; -- Begin function _ZN12_GLOBAL__N_135rocblas_gemm_batched_general_kernelIdLi16ELi16ELi32ELi32ELi8ELi32ELi8ELi8ELi32ELc78ELc67EKdS1_dEEvlllT_PT11_llS4_llS2_PT12_llPT13_lli
	.p2align	8
	.type	_ZN12_GLOBAL__N_135rocblas_gemm_batched_general_kernelIdLi16ELi16ELi32ELi32ELi8ELi32ELi8ELi8ELi32ELc78ELc67EKdS1_dEEvlllT_PT11_llS4_llS2_PT12_llPT13_lli,@function
_ZN12_GLOBAL__N_135rocblas_gemm_batched_general_kernelIdLi16ELi16ELi32ELi32ELi8ELi32ELi8ELi8ELi32ELc78ELc67EKdS1_dEEvlllT_PT11_llS4_llS2_PT12_llPT13_lli: ; @_ZN12_GLOBAL__N_135rocblas_gemm_batched_general_kernelIdLi16ELi16ELi32ELi32ELi8ELi32ELi8ELi8ELi32ELc78ELc67EKdS1_dEEvlllT_PT11_llS4_llS2_PT12_llPT13_lli
; %bb.0:
	s_load_dwordx16 s[12:27], s[0:1], 0x0
	s_load_dwordx16 s[36:51], s[0:1], 0x40
	s_mov_b32 s30, s3
	v_mov_b32_e32 v11, 0
	s_ashr_i32 s3, s2, 31
	s_ashr_i32 s31, s30, 31
	s_waitcnt lgkmcnt(0)
	v_cmp_lt_i64_e64 s[6:7], s[16:17], 1
	v_and_b32_e32 v2, 0x3ff, v0
	v_bfe_u32 v10, v0, 10, 10
	v_mov_b32_e32 v3, v11
	s_lshl_b64 s[10:11], s[2:3], 5
	s_lshl_b64 s[28:29], s[30:31], 5
	s_and_b64 vcc, exec, s[6:7]
	s_cbranch_vccnz .LBB85_7
; %bb.1:
	v_lshl_add_u32 v8, v10, 4, v2
	v_lshrrev_b32_e32 v0, 3, v8
	v_mov_b32_e32 v1, v11
	v_lshl_add_u64 v[4:5], v[0:1], 0, s[28:29]
	v_and_b32_e32 v1, 31, v8
	v_and_b32_e32 v14, 7, v2
	v_or_b32_e32 v6, s10, v1
	v_mov_b32_e32 v7, s11
	v_cmp_gt_i64_e64 s[6:7], s[12:13], v[6:7]
	v_lshlrev_b32_e32 v6, 3, v1
	v_lshlrev_b32_e32 v1, 3, v14
	v_lshl_or_b32 v0, v0, 6, v1
	v_add_u32_e32 v23, 0x800, v0
	v_mov_b32_e32 v0, 0x800
	s_mul_i32 s5, s39, s4
	s_mul_hi_u32 s33, s38, s4
	v_lshl_add_u32 v25, v10, 6, v0
	s_add_i32 s35, s33, s5
	s_mul_i32 s34, s38, s4
	v_mad_u64_u32 v[0:1], s[38:39], s36, v14, 0
	v_cmp_gt_i64_e64 s[8:9], s[14:15], v[4:5]
	s_lshl_b64 s[34:35], s[34:35], 3
	v_mov_b32_e32 v4, v1
	s_lshl_b64 s[30:31], s[30:31], 8
	v_mad_u64_u32 v[4:5], s[38:39], s37, v14, v[4:5]
	s_add_u32 s30, s30, s34
	v_mov_b32_e32 v1, v4
	s_addc_u32 s31, s31, s35
	v_lshl_add_u64 v[0:1], v[0:1], 3, s[30:31]
	v_and_b32_e32 v4, 0x7ff8, v8
	v_mov_b32_e32 v5, v11
	v_lshrrev_b32_e32 v12, 5, v8
	v_lshl_add_u64 v[0:1], v[0:1], 0, v[4:5]
	s_mul_i32 s5, s25, s4
	s_mul_hi_u32 s25, s24, s4
	v_lshl_add_u64 v[16:17], s[26:27], 0, v[0:1]
	v_mad_u64_u32 v[0:1], s[30:31], s22, v12, 0
	s_add_i32 s25, s25, s5
	s_mul_i32 s24, s24, s4
	s_lshl_b64 s[26:27], s[36:37], 6
	v_mov_b32_e32 v4, v1
	s_lshl_b64 s[24:25], s[24:25], 3
	s_lshl_b64 s[2:3], s[2:3], 8
	v_mad_u64_u32 v[4:5], s[30:31], s23, v12, v[4:5]
	s_add_u32 s2, s2, s24
	v_mov_b32_e32 v1, v4
	s_addc_u32 s3, s3, s25
	v_lshl_add_u64 v[0:1], v[0:1], 3, s[2:3]
	v_mov_b32_e32 v7, v11
	v_lshl_add_u64 v[0:1], v[0:1], 0, v[6:7]
	v_mov_b32_e32 v13, v11
	v_mov_b32_e32 v15, v11
	v_lshl_or_b32 v22, v12, 8, v6
	v_lshlrev_b32_e32 v24, 3, v2
	v_lshl_add_u64 v[18:19], s[20:21], 0, v[0:1]
	s_lshl_b64 s[2:3], s[22:23], 6
	s_mov_b64 s[20:21], 0
	v_mov_b64_e32 v[0:1], 0
	v_mov_b64_e32 v[20:21], s[16:17]
	;; [unrolled: 1-line block ×5, first 2 shown]
	s_branch .LBB85_3
.LBB85_2:                               ;   in Loop: Header=BB85_3 Depth=1
	s_or_b64 exec, exec, s[22:23]
	s_waitcnt vmcnt(0)
	ds_write_b64 v23, v[26:27]
	s_waitcnt lgkmcnt(0)
	s_barrier
	ds_read2_b64 v[26:29], v24 offset1:16
	ds_read_b128 v[30:33], v25
	ds_read_b128 v[34:37], v25 offset:16
	ds_read_b128 v[38:41], v25 offset:32
	;; [unrolled: 1-line block ×4, first 2 shown]
	ds_read2_b64 v[50:53], v24 offset0:32 offset1:48
	s_waitcnt lgkmcnt(5)
	v_fmac_f64_e32 v[8:9], v[26:27], v[30:31]
	v_fmac_f64_e32 v[6:7], v[28:29], v[30:31]
	ds_read_b128 v[54:57], v25 offset:1040
	s_waitcnt lgkmcnt(2)
	v_fmac_f64_e32 v[4:5], v[26:27], v[46:47]
	v_fmac_f64_e32 v[0:1], v[28:29], v[46:47]
	ds_read2_b64 v[26:29], v24 offset0:64 offset1:80
	s_waitcnt lgkmcnt(2)
	v_fmac_f64_e32 v[8:9], v[50:51], v[32:33]
	v_fmac_f64_e32 v[6:7], v[52:53], v[32:33]
	ds_read2_b64 v[30:33], v24 offset0:96 offset1:112
	v_fmac_f64_e32 v[4:5], v[50:51], v[48:49]
	v_fmac_f64_e32 v[0:1], v[52:53], v[48:49]
	s_waitcnt lgkmcnt(1)
	v_fmac_f64_e32 v[8:9], v[26:27], v[34:35]
	v_fmac_f64_e32 v[6:7], v[28:29], v[34:35]
	ds_read_b128 v[46:49], v25 offset:1072
	v_fmac_f64_e32 v[4:5], v[26:27], v[54:55]
	v_fmac_f64_e32 v[0:1], v[28:29], v[54:55]
	s_waitcnt lgkmcnt(1)
	v_fmac_f64_e32 v[8:9], v[30:31], v[36:37]
	ds_read2_b64 v[26:29], v24 offset0:128 offset1:144
	v_fmac_f64_e32 v[6:7], v[32:33], v[36:37]
	v_fmac_f64_e32 v[4:5], v[30:31], v[56:57]
	;; [unrolled: 1-line block ×3, first 2 shown]
	ds_read_b128 v[30:33], v25 offset:1056
	ds_read2_b64 v[34:37], v24 offset0:160 offset1:176
	s_waitcnt lgkmcnt(2)
	v_fmac_f64_e32 v[8:9], v[26:27], v[38:39]
	v_fmac_f64_e32 v[6:7], v[28:29], v[38:39]
	s_add_u32 s20, s20, 8
	s_waitcnt lgkmcnt(1)
	v_fmac_f64_e32 v[4:5], v[26:27], v[30:31]
	v_fmac_f64_e32 v[0:1], v[28:29], v[30:31]
	ds_read2_b64 v[26:29], v24 offset0:192 offset1:208
	s_waitcnt lgkmcnt(1)
	v_fmac_f64_e32 v[4:5], v[34:35], v[32:33]
	v_fmac_f64_e32 v[0:1], v[36:37], v[32:33]
	ds_read2_b64 v[30:33], v24 offset0:224 offset1:240
	v_fmac_f64_e32 v[8:9], v[34:35], v[40:41]
	v_fmac_f64_e32 v[6:7], v[36:37], v[40:41]
	s_addc_u32 s21, s21, 0
	s_waitcnt lgkmcnt(1)
	v_fmac_f64_e32 v[8:9], v[26:27], v[42:43]
	v_fmac_f64_e32 v[6:7], v[28:29], v[42:43]
	;; [unrolled: 1-line block ×4, first 2 shown]
	v_cmp_lt_i64_e32 vcc, s[20:21], v[20:21]
	s_waitcnt lgkmcnt(0)
	v_fmac_f64_e32 v[8:9], v[30:31], v[44:45]
	v_fmac_f64_e32 v[6:7], v[32:33], v[44:45]
	v_fmac_f64_e32 v[4:5], v[30:31], v[48:49]
	v_fmac_f64_e32 v[0:1], v[32:33], v[48:49]
	v_lshl_add_u64 v[16:17], v[16:17], 0, s[26:27]
	v_lshl_add_u64 v[18:19], v[18:19], 0, s[2:3]
	s_barrier
	s_cbranch_vccz .LBB85_8
.LBB85_3:                               ; =>This Inner Loop Header: Depth=1
	v_lshl_add_u64 v[26:27], v[12:13], 0, s[20:21]
	v_cmp_gt_i64_e32 vcc, s[16:17], v[26:27]
	s_and_b64 s[24:25], s[6:7], vcc
	v_mov_b64_e32 v[26:27], 0
	s_and_saveexec_b64 s[22:23], s[24:25]
	s_cbranch_execz .LBB85_5
; %bb.4:                                ;   in Loop: Header=BB85_3 Depth=1
	global_load_dwordx2 v[26:27], v[18:19], off
.LBB85_5:                               ;   in Loop: Header=BB85_3 Depth=1
	s_or_b64 exec, exec, s[22:23]
	s_waitcnt vmcnt(0)
	ds_write_b64 v22, v[26:27]
	v_lshl_add_u64 v[26:27], v[14:15], 0, s[20:21]
	v_cmp_gt_i64_e32 vcc, s[16:17], v[26:27]
	s_and_b64 s[24:25], vcc, s[8:9]
	v_mov_b64_e32 v[26:27], 0
	s_and_saveexec_b64 s[22:23], s[24:25]
	s_cbranch_execz .LBB85_2
; %bb.6:                                ;   in Loop: Header=BB85_3 Depth=1
	global_load_dwordx2 v[26:27], v[16:17], off
	s_branch .LBB85_2
.LBB85_7:
	v_mov_b64_e32 v[8:9], 0
	v_mov_b64_e32 v[6:7], 0
	;; [unrolled: 1-line block ×4, first 2 shown]
.LBB85_8:
	s_load_dwordx2 s[0:1], s[0:1], 0x80
	v_lshl_add_u64 v[10:11], s[28:29], 0, v[10:11]
	v_cmp_neq_f64_e64 s[2:3], s[40:41], 0
	s_waitcnt lgkmcnt(0)
	s_mul_i32 s1, s1, s4
	s_mul_hi_u32 s5, s0, s4
	s_mul_i32 s0, s0, s4
	s_add_i32 s1, s5, s1
	s_lshl_b64 s[0:1], s[0:1], 3
	s_add_u32 s8, s48, s0
	s_addc_u32 s9, s49, s1
	v_cmp_gt_i64_e64 s[0:1], s[14:15], v[10:11]
	s_and_b64 vcc, exec, s[2:3]
	s_cbranch_vccnz .LBB85_21
; %bb.9:
	s_and_saveexec_b64 s[16:17], s[0:1]
	s_cbranch_execz .LBB85_19
; %bb.10:
	v_mul_lo_u32 v16, v11, s50
	v_mul_lo_u32 v17, v10, s51
	v_mad_u64_u32 v[14:15], s[2:3], v10, s50, 0
	v_add3_u32 v15, v15, v17, v16
	v_lshl_add_u64 v[12:13], s[10:11], 0, v[2:3]
	v_lshl_add_u64 v[14:15], v[14:15], 3, s[8:9]
	v_cmp_gt_i64_e32 vcc, s[12:13], v[12:13]
	v_lshl_add_u64 v[16:17], v[12:13], 3, v[14:15]
	s_and_saveexec_b64 s[2:3], vcc
	s_cbranch_execz .LBB85_12
; %bb.11:
	v_mul_f64 v[18:19], s[18:19], v[8:9]
	global_store_dwordx2 v[16:17], v[18:19], off
.LBB85_12:
	s_or_b64 exec, exec, s[2:3]
	v_lshl_add_u64 v[18:19], v[12:13], 0, 16
	v_cmp_gt_i64_e64 s[2:3], s[12:13], v[18:19]
	s_and_saveexec_b64 s[6:7], s[2:3]
	s_cbranch_execz .LBB85_14
; %bb.13:
	v_mul_f64 v[18:19], s[18:19], v[6:7]
	global_store_dwordx2 v[16:17], v[18:19], off offset:128
.LBB85_14:
	s_or_b64 exec, exec, s[6:7]
	v_lshl_add_u64 v[16:17], v[10:11], 0, 16
	v_cmp_gt_i64_e64 s[6:7], s[14:15], v[16:17]
	s_and_b64 exec, exec, s[6:7]
	s_cbranch_execz .LBB85_19
; %bb.15:
	s_lshl_b64 s[6:7], s[50:51], 7
	v_lshl_add_u64 v[14:15], v[14:15], 0, s[6:7]
	v_lshl_add_u64 v[12:13], v[12:13], 3, v[14:15]
	s_and_saveexec_b64 s[6:7], vcc
	s_cbranch_execz .LBB85_17
; %bb.16:
	v_mul_f64 v[14:15], s[18:19], v[4:5]
	global_store_dwordx2 v[12:13], v[14:15], off
.LBB85_17:
	s_or_b64 exec, exec, s[6:7]
	s_and_b64 exec, exec, s[2:3]
	s_cbranch_execz .LBB85_19
; %bb.18:
	v_mul_f64 v[14:15], s[18:19], v[0:1]
	global_store_dwordx2 v[12:13], v[14:15], off offset:128
.LBB85_19:
	s_or_b64 exec, exec, s[16:17]
	s_cbranch_execz .LBB85_22
.LBB85_20:
	s_endpgm
.LBB85_21:
.LBB85_22:
	s_and_saveexec_b64 s[2:3], s[0:1]
	s_cbranch_execz .LBB85_20
; %bb.23:
	s_mul_i32 s0, s47, s4
	s_mul_hi_u32 s1, s46, s4
	s_add_i32 s1, s1, s0
	s_mul_i32 s0, s46, s4
	s_lshl_b64 s[0:1], s[0:1], 3
	v_lshl_add_u64 v[16:17], s[10:11], 0, v[2:3]
	v_mul_lo_u32 v12, v11, s44
	v_mul_lo_u32 v13, v10, s45
	v_mad_u64_u32 v[2:3], s[2:3], v10, s44, 0
	s_add_u32 s0, s42, s0
	v_add3_u32 v3, v3, v13, v12
	v_mul_lo_u32 v14, v11, s50
	v_mul_lo_u32 v15, v10, s51
	v_mad_u64_u32 v[12:13], s[2:3], v10, s50, 0
	s_addc_u32 s1, s43, s1
	v_add3_u32 v13, v13, v15, v14
	v_cmp_gt_i64_e32 vcc, s[12:13], v[16:17]
	v_lshl_add_u64 v[14:15], v[2:3], 3, s[0:1]
	v_lshl_add_u64 v[12:13], v[12:13], 3, s[8:9]
	v_lshlrev_b64 v[2:3], 3, v[16:17]
	s_and_saveexec_b64 s[0:1], vcc
	s_cbranch_execz .LBB85_25
; %bb.24:
	v_lshl_add_u64 v[18:19], v[14:15], 0, v[2:3]
	global_load_dwordx2 v[18:19], v[18:19], off
	s_waitcnt vmcnt(0)
	v_mul_f64 v[18:19], s[40:41], v[18:19]
	v_fmac_f64_e32 v[18:19], s[18:19], v[8:9]
	v_lshl_add_u64 v[8:9], v[12:13], 0, v[2:3]
	global_store_dwordx2 v[8:9], v[18:19], off
.LBB85_25:
	s_or_b64 exec, exec, s[0:1]
	v_lshl_add_u64 v[8:9], v[16:17], 0, 16
	v_cmp_gt_i64_e64 s[0:1], s[12:13], v[8:9]
	s_and_saveexec_b64 s[2:3], s[0:1]
	s_cbranch_execz .LBB85_27
; %bb.26:
	v_lshl_add_u64 v[8:9], v[14:15], 0, v[2:3]
	global_load_dwordx2 v[8:9], v[8:9], off offset:128
	s_waitcnt vmcnt(0)
	v_mul_f64 v[8:9], s[40:41], v[8:9]
	v_fmac_f64_e32 v[8:9], s[18:19], v[6:7]
	v_lshl_add_u64 v[6:7], v[12:13], 0, v[2:3]
	global_store_dwordx2 v[6:7], v[8:9], off offset:128
.LBB85_27:
	s_or_b64 exec, exec, s[2:3]
	v_lshl_add_u64 v[6:7], v[10:11], 0, 16
	v_cmp_gt_i64_e64 s[2:3], s[14:15], v[6:7]
	s_and_b64 exec, exec, s[2:3]
	s_cbranch_execz .LBB85_20
; %bb.28:
	s_lshl_b64 s[2:3], s[44:45], 7
	v_lshl_add_u64 v[6:7], v[14:15], 0, s[2:3]
	s_lshl_b64 s[2:3], s[50:51], 7
	v_lshl_add_u64 v[8:9], v[12:13], 0, s[2:3]
	v_lshl_add_u64 v[6:7], v[6:7], 0, v[2:3]
	;; [unrolled: 1-line block ×3, first 2 shown]
	s_and_saveexec_b64 s[2:3], vcc
	s_cbranch_execz .LBB85_30
; %bb.29:
	global_load_dwordx2 v[8:9], v[6:7], off
	s_waitcnt vmcnt(0)
	v_mul_f64 v[8:9], s[40:41], v[8:9]
	v_fmac_f64_e32 v[8:9], s[18:19], v[4:5]
	global_store_dwordx2 v[2:3], v[8:9], off
.LBB85_30:
	s_or_b64 exec, exec, s[2:3]
	s_and_b64 exec, exec, s[0:1]
	s_cbranch_execz .LBB85_20
; %bb.31:
	global_load_dwordx2 v[4:5], v[6:7], off offset:128
	s_waitcnt vmcnt(0)
	v_mul_f64 v[4:5], s[40:41], v[4:5]
	v_fmac_f64_e32 v[4:5], s[18:19], v[0:1]
	global_store_dwordx2 v[2:3], v[4:5], off offset:128
	s_endpgm
	.section	.rodata,"a",@progbits
	.p2align	6, 0x0
	.amdhsa_kernel _ZN12_GLOBAL__N_135rocblas_gemm_batched_general_kernelIdLi16ELi16ELi32ELi32ELi8ELi32ELi8ELi8ELi32ELc78ELc67EKdS1_dEEvlllT_PT11_llS4_llS2_PT12_llPT13_lli
		.amdhsa_group_segment_fixed_size 4096
		.amdhsa_private_segment_fixed_size 0
		.amdhsa_kernarg_size 140
		.amdhsa_user_sgpr_count 2
		.amdhsa_user_sgpr_dispatch_ptr 0
		.amdhsa_user_sgpr_queue_ptr 0
		.amdhsa_user_sgpr_kernarg_segment_ptr 1
		.amdhsa_user_sgpr_dispatch_id 0
		.amdhsa_user_sgpr_kernarg_preload_length 0
		.amdhsa_user_sgpr_kernarg_preload_offset 0
		.amdhsa_user_sgpr_private_segment_size 0
		.amdhsa_uses_dynamic_stack 0
		.amdhsa_enable_private_segment 0
		.amdhsa_system_sgpr_workgroup_id_x 1
		.amdhsa_system_sgpr_workgroup_id_y 1
		.amdhsa_system_sgpr_workgroup_id_z 1
		.amdhsa_system_sgpr_workgroup_info 0
		.amdhsa_system_vgpr_workitem_id 1
		.amdhsa_next_free_vgpr 58
		.amdhsa_next_free_sgpr 52
		.amdhsa_accum_offset 60
		.amdhsa_reserve_vcc 1
		.amdhsa_float_round_mode_32 0
		.amdhsa_float_round_mode_16_64 0
		.amdhsa_float_denorm_mode_32 3
		.amdhsa_float_denorm_mode_16_64 3
		.amdhsa_dx10_clamp 1
		.amdhsa_ieee_mode 1
		.amdhsa_fp16_overflow 0
		.amdhsa_tg_split 0
		.amdhsa_exception_fp_ieee_invalid_op 0
		.amdhsa_exception_fp_denorm_src 0
		.amdhsa_exception_fp_ieee_div_zero 0
		.amdhsa_exception_fp_ieee_overflow 0
		.amdhsa_exception_fp_ieee_underflow 0
		.amdhsa_exception_fp_ieee_inexact 0
		.amdhsa_exception_int_div_zero 0
	.end_amdhsa_kernel
	.section	.text._ZN12_GLOBAL__N_135rocblas_gemm_batched_general_kernelIdLi16ELi16ELi32ELi32ELi8ELi32ELi8ELi8ELi32ELc78ELc67EKdS1_dEEvlllT_PT11_llS4_llS2_PT12_llPT13_lli,"axG",@progbits,_ZN12_GLOBAL__N_135rocblas_gemm_batched_general_kernelIdLi16ELi16ELi32ELi32ELi8ELi32ELi8ELi8ELi32ELc78ELc67EKdS1_dEEvlllT_PT11_llS4_llS2_PT12_llPT13_lli,comdat
.Lfunc_end85:
	.size	_ZN12_GLOBAL__N_135rocblas_gemm_batched_general_kernelIdLi16ELi16ELi32ELi32ELi8ELi32ELi8ELi8ELi32ELc78ELc67EKdS1_dEEvlllT_PT11_llS4_llS2_PT12_llPT13_lli, .Lfunc_end85-_ZN12_GLOBAL__N_135rocblas_gemm_batched_general_kernelIdLi16ELi16ELi32ELi32ELi8ELi32ELi8ELi8ELi32ELc78ELc67EKdS1_dEEvlllT_PT11_llS4_llS2_PT12_llPT13_lli
                                        ; -- End function
	.set _ZN12_GLOBAL__N_135rocblas_gemm_batched_general_kernelIdLi16ELi16ELi32ELi32ELi8ELi32ELi8ELi8ELi32ELc78ELc67EKdS1_dEEvlllT_PT11_llS4_llS2_PT12_llPT13_lli.num_vgpr, 58
	.set _ZN12_GLOBAL__N_135rocblas_gemm_batched_general_kernelIdLi16ELi16ELi32ELi32ELi8ELi32ELi8ELi8ELi32ELc78ELc67EKdS1_dEEvlllT_PT11_llS4_llS2_PT12_llPT13_lli.num_agpr, 0
	.set _ZN12_GLOBAL__N_135rocblas_gemm_batched_general_kernelIdLi16ELi16ELi32ELi32ELi8ELi32ELi8ELi8ELi32ELc78ELc67EKdS1_dEEvlllT_PT11_llS4_llS2_PT12_llPT13_lli.numbered_sgpr, 52
	.set _ZN12_GLOBAL__N_135rocblas_gemm_batched_general_kernelIdLi16ELi16ELi32ELi32ELi8ELi32ELi8ELi8ELi32ELc78ELc67EKdS1_dEEvlllT_PT11_llS4_llS2_PT12_llPT13_lli.num_named_barrier, 0
	.set _ZN12_GLOBAL__N_135rocblas_gemm_batched_general_kernelIdLi16ELi16ELi32ELi32ELi8ELi32ELi8ELi8ELi32ELc78ELc67EKdS1_dEEvlllT_PT11_llS4_llS2_PT12_llPT13_lli.private_seg_size, 0
	.set _ZN12_GLOBAL__N_135rocblas_gemm_batched_general_kernelIdLi16ELi16ELi32ELi32ELi8ELi32ELi8ELi8ELi32ELc78ELc67EKdS1_dEEvlllT_PT11_llS4_llS2_PT12_llPT13_lli.uses_vcc, 1
	.set _ZN12_GLOBAL__N_135rocblas_gemm_batched_general_kernelIdLi16ELi16ELi32ELi32ELi8ELi32ELi8ELi8ELi32ELc78ELc67EKdS1_dEEvlllT_PT11_llS4_llS2_PT12_llPT13_lli.uses_flat_scratch, 0
	.set _ZN12_GLOBAL__N_135rocblas_gemm_batched_general_kernelIdLi16ELi16ELi32ELi32ELi8ELi32ELi8ELi8ELi32ELc78ELc67EKdS1_dEEvlllT_PT11_llS4_llS2_PT12_llPT13_lli.has_dyn_sized_stack, 0
	.set _ZN12_GLOBAL__N_135rocblas_gemm_batched_general_kernelIdLi16ELi16ELi32ELi32ELi8ELi32ELi8ELi8ELi32ELc78ELc67EKdS1_dEEvlllT_PT11_llS4_llS2_PT12_llPT13_lli.has_recursion, 0
	.set _ZN12_GLOBAL__N_135rocblas_gemm_batched_general_kernelIdLi16ELi16ELi32ELi32ELi8ELi32ELi8ELi8ELi32ELc78ELc67EKdS1_dEEvlllT_PT11_llS4_llS2_PT12_llPT13_lli.has_indirect_call, 0
	.section	.AMDGPU.csdata,"",@progbits
; Kernel info:
; codeLenInByte = 1620
; TotalNumSgprs: 58
; NumVgprs: 58
; NumAgprs: 0
; TotalNumVgprs: 58
; ScratchSize: 0
; MemoryBound: 0
; FloatMode: 240
; IeeeMode: 1
; LDSByteSize: 4096 bytes/workgroup (compile time only)
; SGPRBlocks: 7
; VGPRBlocks: 7
; NumSGPRsForWavesPerEU: 58
; NumVGPRsForWavesPerEU: 58
; AccumOffset: 60
; Occupancy: 8
; WaveLimiterHint : 0
; COMPUTE_PGM_RSRC2:SCRATCH_EN: 0
; COMPUTE_PGM_RSRC2:USER_SGPR: 2
; COMPUTE_PGM_RSRC2:TRAP_HANDLER: 0
; COMPUTE_PGM_RSRC2:TGID_X_EN: 1
; COMPUTE_PGM_RSRC2:TGID_Y_EN: 1
; COMPUTE_PGM_RSRC2:TGID_Z_EN: 1
; COMPUTE_PGM_RSRC2:TIDIG_COMP_CNT: 1
; COMPUTE_PGM_RSRC3_GFX90A:ACCUM_OFFSET: 14
; COMPUTE_PGM_RSRC3_GFX90A:TG_SPLIT: 0
	.section	.text._ZN12_GLOBAL__N_135rocblas_gemm_batched_general_kernelIdLi16ELi16ELi32ELi32ELi8ELi32ELi8ELi8ELi32ELc84ELc67EKdS1_dEEvlllT_PT11_llS4_llS2_PT12_llPT13_lli,"axG",@progbits,_ZN12_GLOBAL__N_135rocblas_gemm_batched_general_kernelIdLi16ELi16ELi32ELi32ELi8ELi32ELi8ELi8ELi32ELc84ELc67EKdS1_dEEvlllT_PT11_llS4_llS2_PT12_llPT13_lli,comdat
	.globl	_ZN12_GLOBAL__N_135rocblas_gemm_batched_general_kernelIdLi16ELi16ELi32ELi32ELi8ELi32ELi8ELi8ELi32ELc84ELc67EKdS1_dEEvlllT_PT11_llS4_llS2_PT12_llPT13_lli ; -- Begin function _ZN12_GLOBAL__N_135rocblas_gemm_batched_general_kernelIdLi16ELi16ELi32ELi32ELi8ELi32ELi8ELi8ELi32ELc84ELc67EKdS1_dEEvlllT_PT11_llS4_llS2_PT12_llPT13_lli
	.p2align	8
	.type	_ZN12_GLOBAL__N_135rocblas_gemm_batched_general_kernelIdLi16ELi16ELi32ELi32ELi8ELi32ELi8ELi8ELi32ELc84ELc67EKdS1_dEEvlllT_PT11_llS4_llS2_PT12_llPT13_lli,@function
_ZN12_GLOBAL__N_135rocblas_gemm_batched_general_kernelIdLi16ELi16ELi32ELi32ELi8ELi32ELi8ELi8ELi32ELc84ELc67EKdS1_dEEvlllT_PT11_llS4_llS2_PT12_llPT13_lli: ; @_ZN12_GLOBAL__N_135rocblas_gemm_batched_general_kernelIdLi16ELi16ELi32ELi32ELi8ELi32ELi8ELi8ELi32ELc84ELc67EKdS1_dEEvlllT_PT11_llS4_llS2_PT12_llPT13_lli
; %bb.0:
	s_load_dwordx16 s[8:23], s[0:1], 0x0
	s_load_dwordx16 s[36:51], s[0:1], 0x40
	s_mov_b32 s28, s3
	s_ashr_i32 s3, s2, 31
	v_mov_b32_e32 v11, 0
	s_lshl_b64 s[24:25], s[2:3], 5
	s_ashr_i32 s29, s28, 31
	s_waitcnt lgkmcnt(0)
	v_cmp_lt_i64_e64 s[2:3], s[12:13], 1
	v_and_b32_e32 v2, 0x3ff, v0
	v_bfe_u32 v10, v0, 10, 10
	v_mov_b32_e32 v3, v11
	s_lshl_b64 s[26:27], s[28:29], 5
	s_and_b64 vcc, exec, s[2:3]
	s_cbranch_vccnz .LBB86_7
; %bb.1:
	v_lshl_add_u32 v16, v10, 4, v2
	v_lshrrev_b32_e32 v0, 3, v16
	v_mov_b32_e32 v1, v11
	v_and_b32_e32 v6, 31, v16
	v_lshrrev_b32_e32 v12, 5, v16
	v_and_b32_e32 v14, 7, v2
	v_lshl_add_u64 v[4:5], v[0:1], 0, s[26:27]
	v_lshlrev_b32_e32 v1, 3, v6
	v_lshl_or_b32 v22, v12, 8, v1
	v_lshlrev_b32_e32 v1, 3, v14
	v_lshl_or_b32 v0, v0, 6, v1
	v_add_u32_e32 v23, 0x800, v0
	v_mov_b32_e32 v0, 0x800
	s_mul_i32 s5, s39, s4
	s_mul_hi_u32 s30, s38, s4
	v_lshl_add_u32 v25, v10, 6, v0
	s_add_i32 s31, s30, s5
	s_mul_i32 s30, s38, s4
	v_mad_u64_u32 v[0:1], s[34:35], s36, v14, 0
	v_cmp_gt_i64_e64 s[6:7], s[10:11], v[4:5]
	s_lshl_b64 s[30:31], s[30:31], 3
	v_mov_b32_e32 v4, v1
	s_lshl_b64 s[28:29], s[28:29], 8
	v_mad_u64_u32 v[4:5], s[34:35], s37, v14, v[4:5]
	s_add_u32 s28, s28, s30
	v_mov_b32_e32 v1, v4
	s_addc_u32 s29, s29, s31
	v_lshl_add_u64 v[0:1], v[0:1], 3, s[28:29]
	v_and_b32_e32 v4, 0x7ff8, v16
	v_mov_b32_e32 v5, v11
	v_mov_b32_e32 v7, v11
	v_lshl_add_u64 v[0:1], v[0:1], 0, v[4:5]
	v_lshl_add_u64 v[16:17], s[22:23], 0, v[0:1]
	;; [unrolled: 1-line block ×3, first 2 shown]
	v_mul_lo_u32 v4, s19, v0
	v_mul_lo_u32 v5, s18, v1
	v_mad_u64_u32 v[0:1], s[18:19], s18, v0, 0
	s_mul_i32 s5, s21, s4
	s_mul_hi_u32 s18, s20, s4
	s_add_i32 s19, s18, s5
	s_mul_i32 s18, s20, s4
	v_add3_u32 v1, v1, v5, v4
	s_lshl_b64 s[18:19], s[18:19], 3
	v_lshl_add_u64 v[0:1], v[0:1], 3, s[18:19]
	v_lshlrev_b32_e32 v4, 3, v12
	v_mov_b32_e32 v5, v11
	v_or_b32_e32 v8, s24, v6
	v_mov_b32_e32 v9, s25
	v_lshl_add_u64 v[0:1], v[0:1], 0, v[4:5]
	v_mov_b32_e32 v13, v11
	v_mov_b32_e32 v15, v11
	v_cmp_gt_i64_e64 s[2:3], s[8:9], v[8:9]
	v_lshlrev_b32_e32 v24, 3, v2
	s_lshl_b64 s[22:23], s[36:37], 6
	v_lshl_add_u64 v[18:19], s[16:17], 0, v[0:1]
	s_mov_b64 s[16:17], 0
	v_mov_b64_e32 v[0:1], 0
	v_mov_b64_e32 v[20:21], s[12:13]
	;; [unrolled: 1-line block ×5, first 2 shown]
	s_branch .LBB86_3
.LBB86_2:                               ;   in Loop: Header=BB86_3 Depth=1
	s_or_b64 exec, exec, s[18:19]
	s_waitcnt vmcnt(0)
	ds_write_b64 v23, v[26:27]
	s_waitcnt lgkmcnt(0)
	s_barrier
	ds_read2_b64 v[26:29], v24 offset1:16
	ds_read_b128 v[30:33], v25
	ds_read_b128 v[34:37], v25 offset:16
	ds_read_b128 v[38:41], v25 offset:32
	ds_read_b128 v[42:45], v25 offset:48
	ds_read_b128 v[46:49], v25 offset:1024
	ds_read2_b64 v[50:53], v24 offset0:32 offset1:48
	s_waitcnt lgkmcnt(5)
	v_fmac_f64_e32 v[8:9], v[26:27], v[30:31]
	v_fmac_f64_e32 v[6:7], v[28:29], v[30:31]
	ds_read_b128 v[54:57], v25 offset:1040
	s_waitcnt lgkmcnt(2)
	v_fmac_f64_e32 v[4:5], v[26:27], v[46:47]
	v_fmac_f64_e32 v[0:1], v[28:29], v[46:47]
	ds_read2_b64 v[26:29], v24 offset0:64 offset1:80
	s_waitcnt lgkmcnt(2)
	v_fmac_f64_e32 v[8:9], v[50:51], v[32:33]
	v_fmac_f64_e32 v[6:7], v[52:53], v[32:33]
	ds_read2_b64 v[30:33], v24 offset0:96 offset1:112
	v_fmac_f64_e32 v[4:5], v[50:51], v[48:49]
	v_fmac_f64_e32 v[0:1], v[52:53], v[48:49]
	s_waitcnt lgkmcnt(1)
	v_fmac_f64_e32 v[8:9], v[26:27], v[34:35]
	v_fmac_f64_e32 v[6:7], v[28:29], v[34:35]
	ds_read_b128 v[46:49], v25 offset:1072
	v_fmac_f64_e32 v[4:5], v[26:27], v[54:55]
	v_fmac_f64_e32 v[0:1], v[28:29], v[54:55]
	s_waitcnt lgkmcnt(1)
	v_fmac_f64_e32 v[8:9], v[30:31], v[36:37]
	ds_read2_b64 v[26:29], v24 offset0:128 offset1:144
	v_fmac_f64_e32 v[6:7], v[32:33], v[36:37]
	v_fmac_f64_e32 v[4:5], v[30:31], v[56:57]
	;; [unrolled: 1-line block ×3, first 2 shown]
	ds_read_b128 v[30:33], v25 offset:1056
	ds_read2_b64 v[34:37], v24 offset0:160 offset1:176
	s_waitcnt lgkmcnt(2)
	v_fmac_f64_e32 v[8:9], v[26:27], v[38:39]
	v_fmac_f64_e32 v[6:7], v[28:29], v[38:39]
	s_add_u32 s16, s16, 8
	s_waitcnt lgkmcnt(1)
	v_fmac_f64_e32 v[4:5], v[26:27], v[30:31]
	v_fmac_f64_e32 v[0:1], v[28:29], v[30:31]
	ds_read2_b64 v[26:29], v24 offset0:192 offset1:208
	s_waitcnt lgkmcnt(1)
	v_fmac_f64_e32 v[4:5], v[34:35], v[32:33]
	v_fmac_f64_e32 v[0:1], v[36:37], v[32:33]
	ds_read2_b64 v[30:33], v24 offset0:224 offset1:240
	v_fmac_f64_e32 v[8:9], v[34:35], v[40:41]
	v_fmac_f64_e32 v[6:7], v[36:37], v[40:41]
	s_addc_u32 s17, s17, 0
	s_waitcnt lgkmcnt(1)
	v_fmac_f64_e32 v[8:9], v[26:27], v[42:43]
	v_fmac_f64_e32 v[6:7], v[28:29], v[42:43]
	;; [unrolled: 1-line block ×4, first 2 shown]
	v_cmp_lt_i64_e32 vcc, s[16:17], v[20:21]
	s_waitcnt lgkmcnt(0)
	v_fmac_f64_e32 v[8:9], v[30:31], v[44:45]
	v_fmac_f64_e32 v[6:7], v[32:33], v[44:45]
	;; [unrolled: 1-line block ×4, first 2 shown]
	v_lshl_add_u64 v[16:17], v[16:17], 0, s[22:23]
	v_lshl_add_u64 v[18:19], v[18:19], 0, 64
	s_barrier
	s_cbranch_vccz .LBB86_8
.LBB86_3:                               ; =>This Inner Loop Header: Depth=1
	v_lshl_add_u64 v[26:27], v[12:13], 0, s[16:17]
	v_cmp_gt_i64_e32 vcc, s[12:13], v[26:27]
	s_and_b64 s[20:21], s[2:3], vcc
	v_mov_b64_e32 v[26:27], 0
	s_and_saveexec_b64 s[18:19], s[20:21]
	s_cbranch_execz .LBB86_5
; %bb.4:                                ;   in Loop: Header=BB86_3 Depth=1
	global_load_dwordx2 v[26:27], v[18:19], off
.LBB86_5:                               ;   in Loop: Header=BB86_3 Depth=1
	s_or_b64 exec, exec, s[18:19]
	s_waitcnt vmcnt(0)
	ds_write_b64 v22, v[26:27]
	v_lshl_add_u64 v[26:27], v[14:15], 0, s[16:17]
	v_cmp_gt_i64_e32 vcc, s[12:13], v[26:27]
	s_and_b64 s[20:21], vcc, s[6:7]
	v_mov_b64_e32 v[26:27], 0
	s_and_saveexec_b64 s[18:19], s[20:21]
	s_cbranch_execz .LBB86_2
; %bb.6:                                ;   in Loop: Header=BB86_3 Depth=1
	global_load_dwordx2 v[26:27], v[16:17], off
	s_branch .LBB86_2
.LBB86_7:
	v_mov_b64_e32 v[8:9], 0
	v_mov_b64_e32 v[6:7], 0
	;; [unrolled: 1-line block ×4, first 2 shown]
.LBB86_8:
	s_load_dwordx2 s[0:1], s[0:1], 0x80
	v_lshl_add_u64 v[10:11], s[26:27], 0, v[10:11]
	v_cmp_neq_f64_e64 s[2:3], s[40:41], 0
	s_waitcnt lgkmcnt(0)
	s_mul_i32 s1, s1, s4
	s_mul_hi_u32 s5, s0, s4
	s_mul_i32 s0, s0, s4
	s_add_i32 s1, s5, s1
	s_lshl_b64 s[0:1], s[0:1], 3
	s_add_u32 s12, s48, s0
	s_addc_u32 s13, s49, s1
	v_cmp_gt_i64_e64 s[0:1], s[10:11], v[10:11]
	s_and_b64 vcc, exec, s[2:3]
	s_cbranch_vccnz .LBB86_21
; %bb.9:
	s_and_saveexec_b64 s[16:17], s[0:1]
	s_cbranch_execz .LBB86_19
; %bb.10:
	v_mul_lo_u32 v16, v11, s50
	v_mul_lo_u32 v17, v10, s51
	v_mad_u64_u32 v[14:15], s[2:3], v10, s50, 0
	v_add3_u32 v15, v15, v17, v16
	v_lshl_add_u64 v[12:13], s[24:25], 0, v[2:3]
	v_lshl_add_u64 v[14:15], v[14:15], 3, s[12:13]
	v_cmp_gt_i64_e32 vcc, s[8:9], v[12:13]
	v_lshl_add_u64 v[16:17], v[12:13], 3, v[14:15]
	s_and_saveexec_b64 s[2:3], vcc
	s_cbranch_execz .LBB86_12
; %bb.11:
	v_mul_f64 v[18:19], s[14:15], v[8:9]
	global_store_dwordx2 v[16:17], v[18:19], off
.LBB86_12:
	s_or_b64 exec, exec, s[2:3]
	v_lshl_add_u64 v[18:19], v[12:13], 0, 16
	v_cmp_gt_i64_e64 s[2:3], s[8:9], v[18:19]
	s_and_saveexec_b64 s[6:7], s[2:3]
	s_cbranch_execz .LBB86_14
; %bb.13:
	v_mul_f64 v[18:19], s[14:15], v[6:7]
	global_store_dwordx2 v[16:17], v[18:19], off offset:128
.LBB86_14:
	s_or_b64 exec, exec, s[6:7]
	v_lshl_add_u64 v[16:17], v[10:11], 0, 16
	v_cmp_gt_i64_e64 s[6:7], s[10:11], v[16:17]
	s_and_b64 exec, exec, s[6:7]
	s_cbranch_execz .LBB86_19
; %bb.15:
	s_lshl_b64 s[6:7], s[50:51], 7
	v_lshl_add_u64 v[14:15], v[14:15], 0, s[6:7]
	v_lshl_add_u64 v[12:13], v[12:13], 3, v[14:15]
	s_and_saveexec_b64 s[6:7], vcc
	s_cbranch_execz .LBB86_17
; %bb.16:
	v_mul_f64 v[14:15], s[14:15], v[4:5]
	global_store_dwordx2 v[12:13], v[14:15], off
.LBB86_17:
	s_or_b64 exec, exec, s[6:7]
	s_and_b64 exec, exec, s[2:3]
	s_cbranch_execz .LBB86_19
; %bb.18:
	v_mul_f64 v[14:15], s[14:15], v[0:1]
	global_store_dwordx2 v[12:13], v[14:15], off offset:128
.LBB86_19:
	s_or_b64 exec, exec, s[16:17]
	s_cbranch_execz .LBB86_22
.LBB86_20:
	s_endpgm
.LBB86_21:
.LBB86_22:
	s_and_saveexec_b64 s[2:3], s[0:1]
	s_cbranch_execz .LBB86_20
; %bb.23:
	s_mul_i32 s0, s47, s4
	s_mul_hi_u32 s1, s46, s4
	s_add_i32 s1, s1, s0
	s_mul_i32 s0, s46, s4
	s_lshl_b64 s[0:1], s[0:1], 3
	v_lshl_add_u64 v[16:17], s[24:25], 0, v[2:3]
	v_mul_lo_u32 v12, v11, s44
	v_mul_lo_u32 v13, v10, s45
	v_mad_u64_u32 v[2:3], s[2:3], v10, s44, 0
	s_add_u32 s0, s42, s0
	v_add3_u32 v3, v3, v13, v12
	v_mul_lo_u32 v14, v11, s50
	v_mul_lo_u32 v15, v10, s51
	v_mad_u64_u32 v[12:13], s[2:3], v10, s50, 0
	s_addc_u32 s1, s43, s1
	v_add3_u32 v13, v13, v15, v14
	v_cmp_gt_i64_e32 vcc, s[8:9], v[16:17]
	v_lshl_add_u64 v[14:15], v[2:3], 3, s[0:1]
	v_lshl_add_u64 v[12:13], v[12:13], 3, s[12:13]
	v_lshlrev_b64 v[2:3], 3, v[16:17]
	s_and_saveexec_b64 s[0:1], vcc
	s_cbranch_execz .LBB86_25
; %bb.24:
	v_lshl_add_u64 v[18:19], v[14:15], 0, v[2:3]
	global_load_dwordx2 v[18:19], v[18:19], off
	s_waitcnt vmcnt(0)
	v_mul_f64 v[18:19], s[40:41], v[18:19]
	v_fmac_f64_e32 v[18:19], s[14:15], v[8:9]
	v_lshl_add_u64 v[8:9], v[12:13], 0, v[2:3]
	global_store_dwordx2 v[8:9], v[18:19], off
.LBB86_25:
	s_or_b64 exec, exec, s[0:1]
	v_lshl_add_u64 v[8:9], v[16:17], 0, 16
	v_cmp_gt_i64_e64 s[0:1], s[8:9], v[8:9]
	s_and_saveexec_b64 s[2:3], s[0:1]
	s_cbranch_execz .LBB86_27
; %bb.26:
	v_lshl_add_u64 v[8:9], v[14:15], 0, v[2:3]
	global_load_dwordx2 v[8:9], v[8:9], off offset:128
	s_waitcnt vmcnt(0)
	v_mul_f64 v[8:9], s[40:41], v[8:9]
	v_fmac_f64_e32 v[8:9], s[14:15], v[6:7]
	v_lshl_add_u64 v[6:7], v[12:13], 0, v[2:3]
	global_store_dwordx2 v[6:7], v[8:9], off offset:128
.LBB86_27:
	s_or_b64 exec, exec, s[2:3]
	v_lshl_add_u64 v[6:7], v[10:11], 0, 16
	v_cmp_gt_i64_e64 s[2:3], s[10:11], v[6:7]
	s_and_b64 exec, exec, s[2:3]
	s_cbranch_execz .LBB86_20
; %bb.28:
	s_lshl_b64 s[2:3], s[44:45], 7
	v_lshl_add_u64 v[6:7], v[14:15], 0, s[2:3]
	s_lshl_b64 s[2:3], s[50:51], 7
	v_lshl_add_u64 v[8:9], v[12:13], 0, s[2:3]
	v_lshl_add_u64 v[6:7], v[6:7], 0, v[2:3]
	;; [unrolled: 1-line block ×3, first 2 shown]
	s_and_saveexec_b64 s[2:3], vcc
	s_cbranch_execz .LBB86_30
; %bb.29:
	global_load_dwordx2 v[8:9], v[6:7], off
	s_waitcnt vmcnt(0)
	v_mul_f64 v[8:9], s[40:41], v[8:9]
	v_fmac_f64_e32 v[8:9], s[14:15], v[4:5]
	global_store_dwordx2 v[2:3], v[8:9], off
.LBB86_30:
	s_or_b64 exec, exec, s[2:3]
	s_and_b64 exec, exec, s[0:1]
	s_cbranch_execz .LBB86_20
; %bb.31:
	global_load_dwordx2 v[4:5], v[6:7], off offset:128
	s_waitcnt vmcnt(0)
	v_mul_f64 v[4:5], s[40:41], v[4:5]
	v_fmac_f64_e32 v[4:5], s[14:15], v[0:1]
	global_store_dwordx2 v[2:3], v[4:5], off offset:128
	s_endpgm
	.section	.rodata,"a",@progbits
	.p2align	6, 0x0
	.amdhsa_kernel _ZN12_GLOBAL__N_135rocblas_gemm_batched_general_kernelIdLi16ELi16ELi32ELi32ELi8ELi32ELi8ELi8ELi32ELc84ELc67EKdS1_dEEvlllT_PT11_llS4_llS2_PT12_llPT13_lli
		.amdhsa_group_segment_fixed_size 4096
		.amdhsa_private_segment_fixed_size 0
		.amdhsa_kernarg_size 140
		.amdhsa_user_sgpr_count 2
		.amdhsa_user_sgpr_dispatch_ptr 0
		.amdhsa_user_sgpr_queue_ptr 0
		.amdhsa_user_sgpr_kernarg_segment_ptr 1
		.amdhsa_user_sgpr_dispatch_id 0
		.amdhsa_user_sgpr_kernarg_preload_length 0
		.amdhsa_user_sgpr_kernarg_preload_offset 0
		.amdhsa_user_sgpr_private_segment_size 0
		.amdhsa_uses_dynamic_stack 0
		.amdhsa_enable_private_segment 0
		.amdhsa_system_sgpr_workgroup_id_x 1
		.amdhsa_system_sgpr_workgroup_id_y 1
		.amdhsa_system_sgpr_workgroup_id_z 1
		.amdhsa_system_sgpr_workgroup_info 0
		.amdhsa_system_vgpr_workitem_id 1
		.amdhsa_next_free_vgpr 58
		.amdhsa_next_free_sgpr 52
		.amdhsa_accum_offset 60
		.amdhsa_reserve_vcc 1
		.amdhsa_float_round_mode_32 0
		.amdhsa_float_round_mode_16_64 0
		.amdhsa_float_denorm_mode_32 3
		.amdhsa_float_denorm_mode_16_64 3
		.amdhsa_dx10_clamp 1
		.amdhsa_ieee_mode 1
		.amdhsa_fp16_overflow 0
		.amdhsa_tg_split 0
		.amdhsa_exception_fp_ieee_invalid_op 0
		.amdhsa_exception_fp_denorm_src 0
		.amdhsa_exception_fp_ieee_div_zero 0
		.amdhsa_exception_fp_ieee_overflow 0
		.amdhsa_exception_fp_ieee_underflow 0
		.amdhsa_exception_fp_ieee_inexact 0
		.amdhsa_exception_int_div_zero 0
	.end_amdhsa_kernel
	.section	.text._ZN12_GLOBAL__N_135rocblas_gemm_batched_general_kernelIdLi16ELi16ELi32ELi32ELi8ELi32ELi8ELi8ELi32ELc84ELc67EKdS1_dEEvlllT_PT11_llS4_llS2_PT12_llPT13_lli,"axG",@progbits,_ZN12_GLOBAL__N_135rocblas_gemm_batched_general_kernelIdLi16ELi16ELi32ELi32ELi8ELi32ELi8ELi8ELi32ELc84ELc67EKdS1_dEEvlllT_PT11_llS4_llS2_PT12_llPT13_lli,comdat
.Lfunc_end86:
	.size	_ZN12_GLOBAL__N_135rocblas_gemm_batched_general_kernelIdLi16ELi16ELi32ELi32ELi8ELi32ELi8ELi8ELi32ELc84ELc67EKdS1_dEEvlllT_PT11_llS4_llS2_PT12_llPT13_lli, .Lfunc_end86-_ZN12_GLOBAL__N_135rocblas_gemm_batched_general_kernelIdLi16ELi16ELi32ELi32ELi8ELi32ELi8ELi8ELi32ELc84ELc67EKdS1_dEEvlllT_PT11_llS4_llS2_PT12_llPT13_lli
                                        ; -- End function
	.set _ZN12_GLOBAL__N_135rocblas_gemm_batched_general_kernelIdLi16ELi16ELi32ELi32ELi8ELi32ELi8ELi8ELi32ELc84ELc67EKdS1_dEEvlllT_PT11_llS4_llS2_PT12_llPT13_lli.num_vgpr, 58
	.set _ZN12_GLOBAL__N_135rocblas_gemm_batched_general_kernelIdLi16ELi16ELi32ELi32ELi8ELi32ELi8ELi8ELi32ELc84ELc67EKdS1_dEEvlllT_PT11_llS4_llS2_PT12_llPT13_lli.num_agpr, 0
	.set _ZN12_GLOBAL__N_135rocblas_gemm_batched_general_kernelIdLi16ELi16ELi32ELi32ELi8ELi32ELi8ELi8ELi32ELc84ELc67EKdS1_dEEvlllT_PT11_llS4_llS2_PT12_llPT13_lli.numbered_sgpr, 52
	.set _ZN12_GLOBAL__N_135rocblas_gemm_batched_general_kernelIdLi16ELi16ELi32ELi32ELi8ELi32ELi8ELi8ELi32ELc84ELc67EKdS1_dEEvlllT_PT11_llS4_llS2_PT12_llPT13_lli.num_named_barrier, 0
	.set _ZN12_GLOBAL__N_135rocblas_gemm_batched_general_kernelIdLi16ELi16ELi32ELi32ELi8ELi32ELi8ELi8ELi32ELc84ELc67EKdS1_dEEvlllT_PT11_llS4_llS2_PT12_llPT13_lli.private_seg_size, 0
	.set _ZN12_GLOBAL__N_135rocblas_gemm_batched_general_kernelIdLi16ELi16ELi32ELi32ELi8ELi32ELi8ELi8ELi32ELc84ELc67EKdS1_dEEvlllT_PT11_llS4_llS2_PT12_llPT13_lli.uses_vcc, 1
	.set _ZN12_GLOBAL__N_135rocblas_gemm_batched_general_kernelIdLi16ELi16ELi32ELi32ELi8ELi32ELi8ELi8ELi32ELc84ELc67EKdS1_dEEvlllT_PT11_llS4_llS2_PT12_llPT13_lli.uses_flat_scratch, 0
	.set _ZN12_GLOBAL__N_135rocblas_gemm_batched_general_kernelIdLi16ELi16ELi32ELi32ELi8ELi32ELi8ELi8ELi32ELc84ELc67EKdS1_dEEvlllT_PT11_llS4_llS2_PT12_llPT13_lli.has_dyn_sized_stack, 0
	.set _ZN12_GLOBAL__N_135rocblas_gemm_batched_general_kernelIdLi16ELi16ELi32ELi32ELi8ELi32ELi8ELi8ELi32ELc84ELc67EKdS1_dEEvlllT_PT11_llS4_llS2_PT12_llPT13_lli.has_recursion, 0
	.set _ZN12_GLOBAL__N_135rocblas_gemm_batched_general_kernelIdLi16ELi16ELi32ELi32ELi8ELi32ELi8ELi8ELi32ELc84ELc67EKdS1_dEEvlllT_PT11_llS4_llS2_PT12_llPT13_lli.has_indirect_call, 0
	.section	.AMDGPU.csdata,"",@progbits
; Kernel info:
; codeLenInByte = 1628
; TotalNumSgprs: 58
; NumVgprs: 58
; NumAgprs: 0
; TotalNumVgprs: 58
; ScratchSize: 0
; MemoryBound: 0
; FloatMode: 240
; IeeeMode: 1
; LDSByteSize: 4096 bytes/workgroup (compile time only)
; SGPRBlocks: 7
; VGPRBlocks: 7
; NumSGPRsForWavesPerEU: 58
; NumVGPRsForWavesPerEU: 58
; AccumOffset: 60
; Occupancy: 8
; WaveLimiterHint : 0
; COMPUTE_PGM_RSRC2:SCRATCH_EN: 0
; COMPUTE_PGM_RSRC2:USER_SGPR: 2
; COMPUTE_PGM_RSRC2:TRAP_HANDLER: 0
; COMPUTE_PGM_RSRC2:TGID_X_EN: 1
; COMPUTE_PGM_RSRC2:TGID_Y_EN: 1
; COMPUTE_PGM_RSRC2:TGID_Z_EN: 1
; COMPUTE_PGM_RSRC2:TIDIG_COMP_CNT: 1
; COMPUTE_PGM_RSRC3_GFX90A:ACCUM_OFFSET: 14
; COMPUTE_PGM_RSRC3_GFX90A:TG_SPLIT: 0
	.section	.text._ZN12_GLOBAL__N_125rocblas_gemm_scale_kernelILi32ELi32E19rocblas_complex_numIfEPS2_EEviiT1_T2_llli,"axG",@progbits,_ZN12_GLOBAL__N_125rocblas_gemm_scale_kernelILi32ELi32E19rocblas_complex_numIfEPS2_EEviiT1_T2_llli,comdat
	.globl	_ZN12_GLOBAL__N_125rocblas_gemm_scale_kernelILi32ELi32E19rocblas_complex_numIfEPS2_EEviiT1_T2_llli ; -- Begin function _ZN12_GLOBAL__N_125rocblas_gemm_scale_kernelILi32ELi32E19rocblas_complex_numIfEPS2_EEviiT1_T2_llli
	.p2align	8
	.type	_ZN12_GLOBAL__N_125rocblas_gemm_scale_kernelILi32ELi32E19rocblas_complex_numIfEPS2_EEviiT1_T2_llli,@function
_ZN12_GLOBAL__N_125rocblas_gemm_scale_kernelILi32ELi32E19rocblas_complex_numIfEPS2_EEviiT1_T2_llli: ; @_ZN12_GLOBAL__N_125rocblas_gemm_scale_kernelILi32ELi32E19rocblas_complex_numIfEPS2_EEviiT1_T2_llli
; %bb.0:
	s_load_dwordx4 s[8:11], s[0:1], 0x0
	v_and_b32_e32 v1, 0x3ff, v0
	v_bfe_u32 v0, v0, 10, 10
	v_lshl_add_u32 v2, s2, 5, v1
	v_lshl_add_u32 v0, s3, 5, v0
	s_waitcnt lgkmcnt(0)
	v_cmp_gt_u32_e32 vcc, s8, v2
	v_cmp_gt_u32_e64 s[2:3], s9, v0
	s_and_b64 s[2:3], vcc, s[2:3]
	s_and_saveexec_b64 s[6:7], s[2:3]
	s_cbranch_execz .LBB87_4
; %bb.1:
	s_load_dwordx8 s[12:19], s[0:1], 0x10
	v_mov_b32_e32 v3, 0
	s_waitcnt lgkmcnt(0)
	s_mul_i32 s1, s19, s4
	s_mul_hi_u32 s2, s18, s4
	s_mul_i32 s0, s18, s4
	s_add_i32 s1, s2, s1
	s_lshl_b64 s[0:1], s[0:1], 3
	s_add_u32 s2, s12, s0
	s_addc_u32 s3, s13, s1
	s_lshl_b64 s[0:1], s[14:15], 3
	s_add_u32 s0, s2, s0
	s_addc_u32 s1, s3, s1
	s_or_b32 s2, s10, s11
	s_and_b32 s4, s2, 0x7fffffff
	v_mad_u64_u32 v[4:5], s[2:3], s16, v0, 0
	v_mov_b32_e32 v6, v5
	v_mad_u64_u32 v[0:1], s[2:3], s17, v0, v[6:7]
	v_mov_b32_e32 v5, v0
	s_cmp_eq_u32 s4, 0
	v_lshl_add_u64 v[0:1], v[4:5], 3, s[0:1]
	v_mov_b32_e32 v4, v3
	v_mov_b32_e32 v5, v3
	s_cbranch_scc1 .LBB87_3
; %bb.2:
	v_lshl_add_u64 v[4:5], v[2:3], 3, v[0:1]
	global_load_dwordx2 v[6:7], v[4:5], off
	s_mov_b32 s0, s11
	s_waitcnt vmcnt(0)
	v_pk_mul_f32 v[8:9], v[6:7], s[0:1] op_sel:[1,0] op_sel_hi:[0,0]
	v_pk_fma_f32 v[4:5], v[6:7], s[10:11], v[8:9] neg_lo:[0,0,1] neg_hi:[0,0,1]
	v_pk_fma_f32 v[6:7], v[6:7], s[10:11], v[8:9] op_sel_hi:[1,0,1]
	s_nop 0
	v_mov_b32_e32 v5, v7
.LBB87_3:
	v_lshl_add_u64 v[0:1], v[2:3], 3, v[0:1]
	global_store_dwordx2 v[0:1], v[4:5], off
.LBB87_4:
	s_endpgm
	.section	.rodata,"a",@progbits
	.p2align	6, 0x0
	.amdhsa_kernel _ZN12_GLOBAL__N_125rocblas_gemm_scale_kernelILi32ELi32E19rocblas_complex_numIfEPS2_EEviiT1_T2_llli
		.amdhsa_group_segment_fixed_size 0
		.amdhsa_private_segment_fixed_size 0
		.amdhsa_kernarg_size 52
		.amdhsa_user_sgpr_count 2
		.amdhsa_user_sgpr_dispatch_ptr 0
		.amdhsa_user_sgpr_queue_ptr 0
		.amdhsa_user_sgpr_kernarg_segment_ptr 1
		.amdhsa_user_sgpr_dispatch_id 0
		.amdhsa_user_sgpr_kernarg_preload_length 0
		.amdhsa_user_sgpr_kernarg_preload_offset 0
		.amdhsa_user_sgpr_private_segment_size 0
		.amdhsa_uses_dynamic_stack 0
		.amdhsa_enable_private_segment 0
		.amdhsa_system_sgpr_workgroup_id_x 1
		.amdhsa_system_sgpr_workgroup_id_y 1
		.amdhsa_system_sgpr_workgroup_id_z 1
		.amdhsa_system_sgpr_workgroup_info 0
		.amdhsa_system_vgpr_workitem_id 1
		.amdhsa_next_free_vgpr 10
		.amdhsa_next_free_sgpr 20
		.amdhsa_accum_offset 12
		.amdhsa_reserve_vcc 1
		.amdhsa_float_round_mode_32 0
		.amdhsa_float_round_mode_16_64 0
		.amdhsa_float_denorm_mode_32 3
		.amdhsa_float_denorm_mode_16_64 3
		.amdhsa_dx10_clamp 1
		.amdhsa_ieee_mode 1
		.amdhsa_fp16_overflow 0
		.amdhsa_tg_split 0
		.amdhsa_exception_fp_ieee_invalid_op 0
		.amdhsa_exception_fp_denorm_src 0
		.amdhsa_exception_fp_ieee_div_zero 0
		.amdhsa_exception_fp_ieee_overflow 0
		.amdhsa_exception_fp_ieee_underflow 0
		.amdhsa_exception_fp_ieee_inexact 0
		.amdhsa_exception_int_div_zero 0
	.end_amdhsa_kernel
	.section	.text._ZN12_GLOBAL__N_125rocblas_gemm_scale_kernelILi32ELi32E19rocblas_complex_numIfEPS2_EEviiT1_T2_llli,"axG",@progbits,_ZN12_GLOBAL__N_125rocblas_gemm_scale_kernelILi32ELi32E19rocblas_complex_numIfEPS2_EEviiT1_T2_llli,comdat
.Lfunc_end87:
	.size	_ZN12_GLOBAL__N_125rocblas_gemm_scale_kernelILi32ELi32E19rocblas_complex_numIfEPS2_EEviiT1_T2_llli, .Lfunc_end87-_ZN12_GLOBAL__N_125rocblas_gemm_scale_kernelILi32ELi32E19rocblas_complex_numIfEPS2_EEviiT1_T2_llli
                                        ; -- End function
	.set _ZN12_GLOBAL__N_125rocblas_gemm_scale_kernelILi32ELi32E19rocblas_complex_numIfEPS2_EEviiT1_T2_llli.num_vgpr, 10
	.set _ZN12_GLOBAL__N_125rocblas_gemm_scale_kernelILi32ELi32E19rocblas_complex_numIfEPS2_EEviiT1_T2_llli.num_agpr, 0
	.set _ZN12_GLOBAL__N_125rocblas_gemm_scale_kernelILi32ELi32E19rocblas_complex_numIfEPS2_EEviiT1_T2_llli.numbered_sgpr, 20
	.set _ZN12_GLOBAL__N_125rocblas_gemm_scale_kernelILi32ELi32E19rocblas_complex_numIfEPS2_EEviiT1_T2_llli.num_named_barrier, 0
	.set _ZN12_GLOBAL__N_125rocblas_gemm_scale_kernelILi32ELi32E19rocblas_complex_numIfEPS2_EEviiT1_T2_llli.private_seg_size, 0
	.set _ZN12_GLOBAL__N_125rocblas_gemm_scale_kernelILi32ELi32E19rocblas_complex_numIfEPS2_EEviiT1_T2_llli.uses_vcc, 1
	.set _ZN12_GLOBAL__N_125rocblas_gemm_scale_kernelILi32ELi32E19rocblas_complex_numIfEPS2_EEviiT1_T2_llli.uses_flat_scratch, 0
	.set _ZN12_GLOBAL__N_125rocblas_gemm_scale_kernelILi32ELi32E19rocblas_complex_numIfEPS2_EEviiT1_T2_llli.has_dyn_sized_stack, 0
	.set _ZN12_GLOBAL__N_125rocblas_gemm_scale_kernelILi32ELi32E19rocblas_complex_numIfEPS2_EEviiT1_T2_llli.has_recursion, 0
	.set _ZN12_GLOBAL__N_125rocblas_gemm_scale_kernelILi32ELi32E19rocblas_complex_numIfEPS2_EEviiT1_T2_llli.has_indirect_call, 0
	.section	.AMDGPU.csdata,"",@progbits
; Kernel info:
; codeLenInByte = 260
; TotalNumSgprs: 26
; NumVgprs: 10
; NumAgprs: 0
; TotalNumVgprs: 10
; ScratchSize: 0
; MemoryBound: 0
; FloatMode: 240
; IeeeMode: 1
; LDSByteSize: 0 bytes/workgroup (compile time only)
; SGPRBlocks: 3
; VGPRBlocks: 1
; NumSGPRsForWavesPerEU: 26
; NumVGPRsForWavesPerEU: 10
; AccumOffset: 12
; Occupancy: 8
; WaveLimiterHint : 0
; COMPUTE_PGM_RSRC2:SCRATCH_EN: 0
; COMPUTE_PGM_RSRC2:USER_SGPR: 2
; COMPUTE_PGM_RSRC2:TRAP_HANDLER: 0
; COMPUTE_PGM_RSRC2:TGID_X_EN: 1
; COMPUTE_PGM_RSRC2:TGID_Y_EN: 1
; COMPUTE_PGM_RSRC2:TGID_Z_EN: 1
; COMPUTE_PGM_RSRC2:TIDIG_COMP_CNT: 1
; COMPUTE_PGM_RSRC3_GFX90A:ACCUM_OFFSET: 2
; COMPUTE_PGM_RSRC3_GFX90A:TG_SPLIT: 0
	.section	.text._ZN12_GLOBAL__N_120gemm_ex_scale_kernelILi32ELi32E19rocblas_complex_numIfEPKS2_PS2_EEviiT1_T2_lllT3_llli,"axG",@progbits,_ZN12_GLOBAL__N_120gemm_ex_scale_kernelILi32ELi32E19rocblas_complex_numIfEPKS2_PS2_EEviiT1_T2_lllT3_llli,comdat
	.globl	_ZN12_GLOBAL__N_120gemm_ex_scale_kernelILi32ELi32E19rocblas_complex_numIfEPKS2_PS2_EEviiT1_T2_lllT3_llli ; -- Begin function _ZN12_GLOBAL__N_120gemm_ex_scale_kernelILi32ELi32E19rocblas_complex_numIfEPKS2_PS2_EEviiT1_T2_lllT3_llli
	.p2align	8
	.type	_ZN12_GLOBAL__N_120gemm_ex_scale_kernelILi32ELi32E19rocblas_complex_numIfEPKS2_PS2_EEviiT1_T2_lllT3_llli,@function
_ZN12_GLOBAL__N_120gemm_ex_scale_kernelILi32ELi32E19rocblas_complex_numIfEPKS2_PS2_EEviiT1_T2_lllT3_llli: ; @_ZN12_GLOBAL__N_120gemm_ex_scale_kernelILi32ELi32E19rocblas_complex_numIfEPKS2_PS2_EEviiT1_T2_lllT3_llli
; %bb.0:
	s_load_dwordx4 s[24:27], s[0:1], 0x0
	v_and_b32_e32 v1, 0x3ff, v0
	v_bfe_u32 v0, v0, 10, 10
	v_lshl_add_u32 v2, s2, 5, v1
	v_lshl_add_u32 v6, s3, 5, v0
	s_waitcnt lgkmcnt(0)
	v_cmp_gt_u32_e32 vcc, s24, v2
	v_cmp_gt_u32_e64 s[2:3], s25, v6
	s_and_b64 s[2:3], vcc, s[2:3]
	s_and_saveexec_b64 s[6:7], s[2:3]
	s_cbranch_execz .LBB88_6
; %bb.1:
	s_or_b32 s2, s26, s27
	s_bitset0_b32 s2, 31
	s_cmp_lg_u32 s2, 0
	v_mov_b32_e32 v3, 0
	s_cbranch_scc1 .LBB88_3
; %bb.2:
	v_mov_b32_e32 v1, 0
	v_mov_b32_e32 v0, v2
	s_load_dwordx16 s[8:23], s[0:1], 0x10
	v_mov_b32_e32 v5, 0
	s_cbranch_execz .LBB88_4
	s_branch .LBB88_5
.LBB88_3:
	v_mov_b64_e32 v[0:1], v[2:3]
	s_load_dwordx16 s[8:23], s[0:1], 0x10
	v_mov_b32_e32 v5, 0
.LBB88_4:
	s_waitcnt lgkmcnt(0)
	s_mul_i32 s0, s15, s4
	s_mul_hi_u32 s1, s14, s4
	s_add_i32 s1, s1, s0
	s_mul_i32 s0, s14, s4
	s_lshl_b64 s[0:1], s[0:1], 3
	s_add_u32 s2, s8, s0
	s_addc_u32 s3, s9, s1
	s_lshl_b64 s[0:1], s[10:11], 3
	s_add_u32 s0, s2, s0
	s_addc_u32 s1, s3, s1
	v_mad_u64_u32 v[4:5], s[2:3], s12, v6, 0
	v_mov_b32_e32 v8, v5
	v_mad_u64_u32 v[8:9], s[2:3], s13, v6, v[8:9]
	v_mov_b32_e32 v5, v8
	v_lshl_add_u64 v[4:5], v[4:5], 3, s[0:1]
	v_lshl_add_u64 v[2:3], v[2:3], 3, v[4:5]
	global_load_dwordx2 v[2:3], v[2:3], off
	s_mov_b32 s0, s27
	s_waitcnt vmcnt(0)
	v_pk_mul_f32 v[4:5], v[2:3], s[0:1] op_sel:[1,0] op_sel_hi:[0,0]
	v_pk_fma_f32 v[8:9], v[2:3], s[26:27], v[4:5] neg_lo:[0,0,1] neg_hi:[0,0,1]
	v_pk_fma_f32 v[4:5], v[2:3], s[26:27], v[4:5] op_sel_hi:[1,0,1]
	v_mov_b32_e32 v3, v8
.LBB88_5:
	s_waitcnt lgkmcnt(0)
	s_mul_i32 s0, s23, s4
	s_mul_hi_u32 s1, s22, s4
	s_add_i32 s1, s1, s0
	s_mul_i32 s0, s22, s4
	s_lshl_b64 s[0:1], s[0:1], 3
	s_add_u32 s2, s16, s0
	s_addc_u32 s3, s17, s1
	s_lshl_b64 s[0:1], s[18:19], 3
	s_add_u32 s0, s2, s0
	s_addc_u32 s1, s3, s1
	v_mov_b32_e32 v4, v3
	v_mad_u64_u32 v[2:3], s[2:3], s20, v6, 0
	v_mov_b32_e32 v8, v3
	v_mad_u64_u32 v[6:7], s[2:3], s21, v6, v[8:9]
	v_mov_b32_e32 v3, v6
	v_lshl_add_u64 v[2:3], v[2:3], 3, s[0:1]
	v_lshl_add_u64 v[0:1], v[0:1], 3, v[2:3]
	global_store_dwordx2 v[0:1], v[4:5], off
.LBB88_6:
	s_endpgm
	.section	.rodata,"a",@progbits
	.p2align	6, 0x0
	.amdhsa_kernel _ZN12_GLOBAL__N_120gemm_ex_scale_kernelILi32ELi32E19rocblas_complex_numIfEPKS2_PS2_EEviiT1_T2_lllT3_llli
		.amdhsa_group_segment_fixed_size 0
		.amdhsa_private_segment_fixed_size 0
		.amdhsa_kernarg_size 84
		.amdhsa_user_sgpr_count 2
		.amdhsa_user_sgpr_dispatch_ptr 0
		.amdhsa_user_sgpr_queue_ptr 0
		.amdhsa_user_sgpr_kernarg_segment_ptr 1
		.amdhsa_user_sgpr_dispatch_id 0
		.amdhsa_user_sgpr_kernarg_preload_length 0
		.amdhsa_user_sgpr_kernarg_preload_offset 0
		.amdhsa_user_sgpr_private_segment_size 0
		.amdhsa_uses_dynamic_stack 0
		.amdhsa_enable_private_segment 0
		.amdhsa_system_sgpr_workgroup_id_x 1
		.amdhsa_system_sgpr_workgroup_id_y 1
		.amdhsa_system_sgpr_workgroup_id_z 1
		.amdhsa_system_sgpr_workgroup_info 0
		.amdhsa_system_vgpr_workitem_id 1
		.amdhsa_next_free_vgpr 10
		.amdhsa_next_free_sgpr 28
		.amdhsa_accum_offset 12
		.amdhsa_reserve_vcc 1
		.amdhsa_float_round_mode_32 0
		.amdhsa_float_round_mode_16_64 0
		.amdhsa_float_denorm_mode_32 3
		.amdhsa_float_denorm_mode_16_64 3
		.amdhsa_dx10_clamp 1
		.amdhsa_ieee_mode 1
		.amdhsa_fp16_overflow 0
		.amdhsa_tg_split 0
		.amdhsa_exception_fp_ieee_invalid_op 0
		.amdhsa_exception_fp_denorm_src 0
		.amdhsa_exception_fp_ieee_div_zero 0
		.amdhsa_exception_fp_ieee_overflow 0
		.amdhsa_exception_fp_ieee_underflow 0
		.amdhsa_exception_fp_ieee_inexact 0
		.amdhsa_exception_int_div_zero 0
	.end_amdhsa_kernel
	.section	.text._ZN12_GLOBAL__N_120gemm_ex_scale_kernelILi32ELi32E19rocblas_complex_numIfEPKS2_PS2_EEviiT1_T2_lllT3_llli,"axG",@progbits,_ZN12_GLOBAL__N_120gemm_ex_scale_kernelILi32ELi32E19rocblas_complex_numIfEPKS2_PS2_EEviiT1_T2_lllT3_llli,comdat
.Lfunc_end88:
	.size	_ZN12_GLOBAL__N_120gemm_ex_scale_kernelILi32ELi32E19rocblas_complex_numIfEPKS2_PS2_EEviiT1_T2_lllT3_llli, .Lfunc_end88-_ZN12_GLOBAL__N_120gemm_ex_scale_kernelILi32ELi32E19rocblas_complex_numIfEPKS2_PS2_EEviiT1_T2_lllT3_llli
                                        ; -- End function
	.set _ZN12_GLOBAL__N_120gemm_ex_scale_kernelILi32ELi32E19rocblas_complex_numIfEPKS2_PS2_EEviiT1_T2_lllT3_llli.num_vgpr, 10
	.set _ZN12_GLOBAL__N_120gemm_ex_scale_kernelILi32ELi32E19rocblas_complex_numIfEPKS2_PS2_EEviiT1_T2_lllT3_llli.num_agpr, 0
	.set _ZN12_GLOBAL__N_120gemm_ex_scale_kernelILi32ELi32E19rocblas_complex_numIfEPKS2_PS2_EEviiT1_T2_lllT3_llli.numbered_sgpr, 28
	.set _ZN12_GLOBAL__N_120gemm_ex_scale_kernelILi32ELi32E19rocblas_complex_numIfEPKS2_PS2_EEviiT1_T2_lllT3_llli.num_named_barrier, 0
	.set _ZN12_GLOBAL__N_120gemm_ex_scale_kernelILi32ELi32E19rocblas_complex_numIfEPKS2_PS2_EEviiT1_T2_lllT3_llli.private_seg_size, 0
	.set _ZN12_GLOBAL__N_120gemm_ex_scale_kernelILi32ELi32E19rocblas_complex_numIfEPKS2_PS2_EEviiT1_T2_lllT3_llli.uses_vcc, 1
	.set _ZN12_GLOBAL__N_120gemm_ex_scale_kernelILi32ELi32E19rocblas_complex_numIfEPKS2_PS2_EEviiT1_T2_lllT3_llli.uses_flat_scratch, 0
	.set _ZN12_GLOBAL__N_120gemm_ex_scale_kernelILi32ELi32E19rocblas_complex_numIfEPKS2_PS2_EEviiT1_T2_lllT3_llli.has_dyn_sized_stack, 0
	.set _ZN12_GLOBAL__N_120gemm_ex_scale_kernelILi32ELi32E19rocblas_complex_numIfEPKS2_PS2_EEviiT1_T2_lllT3_llli.has_recursion, 0
	.set _ZN12_GLOBAL__N_120gemm_ex_scale_kernelILi32ELi32E19rocblas_complex_numIfEPKS2_PS2_EEviiT1_T2_lllT3_llli.has_indirect_call, 0
	.section	.AMDGPU.csdata,"",@progbits
; Kernel info:
; codeLenInByte = 360
; TotalNumSgprs: 34
; NumVgprs: 10
; NumAgprs: 0
; TotalNumVgprs: 10
; ScratchSize: 0
; MemoryBound: 0
; FloatMode: 240
; IeeeMode: 1
; LDSByteSize: 0 bytes/workgroup (compile time only)
; SGPRBlocks: 4
; VGPRBlocks: 1
; NumSGPRsForWavesPerEU: 34
; NumVGPRsForWavesPerEU: 10
; AccumOffset: 12
; Occupancy: 8
; WaveLimiterHint : 0
; COMPUTE_PGM_RSRC2:SCRATCH_EN: 0
; COMPUTE_PGM_RSRC2:USER_SGPR: 2
; COMPUTE_PGM_RSRC2:TRAP_HANDLER: 0
; COMPUTE_PGM_RSRC2:TGID_X_EN: 1
; COMPUTE_PGM_RSRC2:TGID_Y_EN: 1
; COMPUTE_PGM_RSRC2:TGID_Z_EN: 1
; COMPUTE_PGM_RSRC2:TIDIG_COMP_CNT: 1
; COMPUTE_PGM_RSRC3_GFX90A:ACCUM_OFFSET: 2
; COMPUTE_PGM_RSRC3_GFX90A:TG_SPLIT: 0
	.section	.text._ZN12_GLOBAL__N_127rocblas_gemm_batched_kernelI19rocblas_complex_numIfELi16ELi16ELi64ELi64ELi4ELi64ELi4ELi4ELi64ELc78ELc78EKS2_S3_S2_EEvlllT_PT11_llS6_llS4_PT12_llPT13_lli,"axG",@progbits,_ZN12_GLOBAL__N_127rocblas_gemm_batched_kernelI19rocblas_complex_numIfELi16ELi16ELi64ELi64ELi4ELi64ELi4ELi4ELi64ELc78ELc78EKS2_S3_S2_EEvlllT_PT11_llS6_llS4_PT12_llPT13_lli,comdat
	.globl	_ZN12_GLOBAL__N_127rocblas_gemm_batched_kernelI19rocblas_complex_numIfELi16ELi16ELi64ELi64ELi4ELi64ELi4ELi4ELi64ELc78ELc78EKS2_S3_S2_EEvlllT_PT11_llS6_llS4_PT12_llPT13_lli ; -- Begin function _ZN12_GLOBAL__N_127rocblas_gemm_batched_kernelI19rocblas_complex_numIfELi16ELi16ELi64ELi64ELi4ELi64ELi4ELi4ELi64ELc78ELc78EKS2_S3_S2_EEvlllT_PT11_llS6_llS4_PT12_llPT13_lli
	.p2align	8
	.type	_ZN12_GLOBAL__N_127rocblas_gemm_batched_kernelI19rocblas_complex_numIfELi16ELi16ELi64ELi64ELi4ELi64ELi4ELi4ELi64ELc78ELc78EKS2_S3_S2_EEvlllT_PT11_llS6_llS4_PT12_llPT13_lli,@function
_ZN12_GLOBAL__N_127rocblas_gemm_batched_kernelI19rocblas_complex_numIfELi16ELi16ELi64ELi64ELi4ELi64ELi4ELi4ELi64ELc78ELc78EKS2_S3_S2_EEvlllT_PT11_llS6_llS4_PT12_llPT13_lli: ; @_ZN12_GLOBAL__N_127rocblas_gemm_batched_kernelI19rocblas_complex_numIfELi16ELi16ELi64ELi64ELi4ELi64ELi4ELi4ELi64ELc78ELc78EKS2_S3_S2_EEvlllT_PT11_llS6_llS4_PT12_llPT13_lli
; %bb.0:
	s_load_dwordx16 s[8:23], s[0:1], 0x10
	s_load_dwordx2 s[6:7], s[0:1], 0x50
	s_mov_b32 s24, s3
	v_mov_b32_e32 v39, 0
	s_ashr_i32 s3, s2, 31
	s_ashr_i32 s25, s24, 31
	s_waitcnt lgkmcnt(0)
	v_cmp_lt_i64_e64 s[26:27], s[8:9], 1
	v_bfe_u32 v38, v0, 10, 10
	v_and_b32_e32 v36, 0x3ff, v0
	v_mov_b32_e32 v37, v39
	s_lshl_b64 s[2:3], s[2:3], 6
	s_lshl_b64 s[24:25], s[24:25], 6
	s_and_b64 vcc, exec, s[26:27]
	v_mov_b32_e32 v59, v39
	v_mov_b32_e32 v58, v39
	;; [unrolled: 1-line block ×32, first 2 shown]
	s_cbranch_vccnz .LBB89_3
; %bb.1:
	v_lshl_add_u32 v4, v38, 4, v36
	v_lshrrev_b32_e32 v9, 6, v4
	v_mov_b64_e32 v[6:7], s[2:3]
	v_and_b32_e32 v2, 63, v4
	s_mul_i32 s5, s17, s4
	s_mul_hi_u32 s17, s16, s4
	v_mad_u64_u32 v[6:7], s[26:27], s14, v9, v[6:7]
	v_lshrrev_b32_e32 v40, 2, v4
	v_lshlrev_b32_e32 v4, 3, v2
	s_add_i32 s17, s17, s5
	s_mul_i32 s16, s16, s4
	v_mov_b32_e32 v8, v7
	v_mov_b32_e32 v41, 0
	v_lshl_or_b32 v43, v9, 9, v4
	s_lshl_b64 s[16:17], s[16:17], 3
	v_mad_u64_u32 v[8:9], s[26:27], s15, v9, v[8:9]
	v_mov_b32_e32 v3, v41
	v_mov_b32_e32 v7, v8
	s_add_u32 s12, s12, s16
	v_lshl_add_u64 v[0:1], v[40:41], 0, s[24:25]
	v_lshl_add_u64 v[2:3], v[6:7], 0, v[2:3]
	s_addc_u32 s13, s13, s17
	v_and_b32_e32 v5, 3, v36
	v_lshl_add_u64 v[50:51], v[2:3], 3, s[12:13]
	s_lshl_b64 s[12:13], s[14:15], 5
	v_mul_lo_u32 v2, s21, v0
	v_mul_lo_u32 v3, s20, v1
	v_mad_u64_u32 v[0:1], s[14:15], s20, v0, 0
	v_lshlrev_b32_e32 v4, 3, v5
	s_mul_i32 s5, s23, s4
	s_mul_hi_u32 s14, s22, s4
	v_lshl_or_b32 v5, v40, 5, v4
	s_add_i32 s15, s14, s5
	s_mul_i32 s14, s22, s4
	v_add_u32_e32 v45, 0x800, v5
	v_mov_b32_e32 v5, 0x800
	v_add3_u32 v1, v1, v3, v2
	s_lshl_b64 s[14:15], s[14:15], 3
	v_lshl_add_u32 v49, v38, 5, v5
	v_lshl_add_u64 v[0:1], v[0:1], 3, s[14:15]
	v_mov_b32_e32 v5, v41
	v_lshl_add_u64 v[0:1], v[0:1], 0, v[4:5]
	v_lshlrev_b32_e32 v47, 3, v36
	v_lshl_add_u64 v[52:53], s[18:19], 0, v[0:1]
	s_mov_b64 s[14:15], 0
	v_mov_b64_e32 v[54:55], s[8:9]
	v_mov_b32_e32 v40, v41
	v_mov_b32_e32 v44, v41
	;; [unrolled: 1-line block ×31, first 2 shown]
.LBB89_2:                               ; =>This Inner Loop Header: Depth=1
	global_load_dwordx2 v[0:1], v[50:51], off
	s_add_u32 s14, s14, 4
	s_addc_u32 s15, s15, 0
	v_cmp_lt_i64_e32 vcc, s[14:15], v[54:55]
	v_lshl_add_u64 v[50:51], v[50:51], 0, s[12:13]
	s_and_b64 vcc, exec, vcc
	s_waitcnt vmcnt(0)
	ds_write_b64 v43, v[0:1]
	global_load_dwordx2 v[0:1], v[52:53], off
	v_lshl_add_u64 v[52:53], v[52:53], 0, 32
	s_waitcnt vmcnt(0)
	ds_write_b64 v45, v[0:1]
	s_waitcnt lgkmcnt(0)
	s_barrier
	ds_read_b128 v[0:3], v49
	ds_read_b128 v[32:35], v49 offset:16
	ds_read2_b64 v[8:11], v47 offset1:16
	ds_read2_b64 v[12:15], v47 offset0:32 offset1:48
	s_waitcnt lgkmcnt(1)
	v_mul_f32_e32 v4, v1, v9
	v_fma_f32 v4, v0, v8, -v4
	v_mul_f32_e32 v5, v0, v9
	v_add_f32_e32 v20, v102, v4
	v_mul_f32_e32 v4, v1, v11
	v_fmac_f32_e32 v5, v1, v8
	v_fma_f32 v4, v0, v10, -v4
	v_add_f32_e32 v21, v104, v5
	v_mul_f32_e32 v5, v0, v11
	v_add_f32_e32 v22, v98, v4
	s_waitcnt lgkmcnt(0)
	v_mul_f32_e32 v4, v1, v13
	v_fmac_f32_e32 v5, v1, v10
	v_fma_f32 v4, v0, v12, -v4
	v_add_f32_e32 v23, v100, v5
	v_mul_f32_e32 v5, v0, v13
	v_add_f32_e32 v57, v94, v4
	v_mul_f32_e32 v4, v1, v15
	v_fmac_f32_e32 v5, v1, v12
	v_fma_f32 v4, v0, v14, -v4
	v_mul_f32_e32 v0, v0, v15
	v_add_f32_e32 v61, v96, v5
	v_fmac_f32_e32 v0, v1, v14
	v_add_f32_e32 v1, v90, v4
	ds_read_b128 v[4:7], v49 offset:512
	ds_read_b128 v[104:107], v49 offset:1040
	v_add_f32_e32 v0, v92, v0
	s_waitcnt lgkmcnt(1)
	v_mul_f32_e32 v16, v5, v9
	v_fma_f32 v16, v4, v8, -v16
	v_mul_f32_e32 v17, v4, v9
	v_add_f32_e32 v63, v86, v16
	v_mul_f32_e32 v16, v5, v11
	v_fmac_f32_e32 v17, v5, v8
	v_fma_f32 v16, v4, v10, -v16
	v_add_f32_e32 v65, v88, v17
	v_mul_f32_e32 v17, v4, v11
	v_add_f32_e32 v67, v82, v16
	v_mul_f32_e32 v16, v5, v13
	v_fmac_f32_e32 v17, v5, v10
	v_fma_f32 v16, v4, v12, -v16
	v_add_f32_e32 v69, v84, v17
	v_mul_f32_e32 v17, v4, v13
	v_add_f32_e32 v71, v78, v16
	v_mul_f32_e32 v16, v5, v15
	v_fmac_f32_e32 v17, v5, v12
	v_fma_f32 v16, v4, v14, -v16
	v_mul_f32_e32 v4, v4, v15
	v_add_f32_e32 v73, v80, v17
	v_fmac_f32_e32 v4, v5, v14
	v_add_f32_e32 v5, v74, v16
	ds_read_b128 v[16:19], v49 offset:1024
	v_add_f32_e32 v4, v76, v4
	s_waitcnt lgkmcnt(0)
	v_mul_f32_e32 v24, v17, v9
	v_fma_f32 v24, v16, v8, -v24
	v_mul_f32_e32 v25, v16, v9
	v_add_f32_e32 v70, v70, v24
	v_mul_f32_e32 v24, v17, v11
	v_fmac_f32_e32 v25, v17, v8
	v_fma_f32 v24, v16, v10, -v24
	v_add_f32_e32 v72, v72, v25
	v_mul_f32_e32 v25, v16, v11
	v_add_f32_e32 v66, v66, v24
	v_mul_f32_e32 v24, v17, v13
	v_fmac_f32_e32 v25, v17, v10
	v_fma_f32 v24, v16, v12, -v24
	v_add_f32_e32 v68, v68, v25
	v_mul_f32_e32 v25, v16, v13
	v_add_f32_e32 v62, v62, v24
	v_mul_f32_e32 v24, v17, v15
	v_fmac_f32_e32 v25, v17, v12
	v_fma_f32 v24, v16, v14, -v24
	v_mul_f32_e32 v16, v16, v15
	v_add_f32_e32 v64, v64, v25
	v_fmac_f32_e32 v16, v17, v14
	v_add_f32_e32 v17, v56, v24
	ds_read2_b64 v[24:27], v47 offset0:64 offset1:80
	v_add_f32_e32 v16, v60, v16
	s_waitcnt lgkmcnt(0)
	v_mul_f32_e32 v28, v3, v25
	v_mul_f32_e32 v29, v2, v25
	v_fma_f32 v28, v2, v24, -v28
	v_fmac_f32_e32 v29, v3, v24
	v_add_f32_e32 v20, v20, v28
	v_add_f32_e32 v21, v21, v29
	v_mul_f32_e32 v28, v3, v27
	v_mul_f32_e32 v29, v2, v27
	v_fma_f32 v28, v2, v26, -v28
	v_fmac_f32_e32 v29, v3, v26
	v_add_f32_e32 v22, v22, v28
	v_add_f32_e32 v23, v23, v29
	ds_read2_b64 v[28:31], v47 offset0:96 offset1:112
	s_waitcnt lgkmcnt(0)
	v_mul_f32_e32 v56, v3, v29
	v_mul_f32_e32 v60, v2, v29
	v_fma_f32 v56, v2, v28, -v56
	v_fmac_f32_e32 v60, v3, v28
	v_add_f32_e32 v56, v57, v56
	v_add_f32_e32 v57, v61, v60
	v_mul_f32_e32 v60, v3, v31
	v_fma_f32 v60, v2, v30, -v60
	v_mul_f32_e32 v2, v2, v31
	v_fmac_f32_e32 v2, v3, v30
	v_add_f32_e32 v60, v1, v60
	v_add_f32_e32 v61, v0, v2
	v_mul_f32_e32 v0, v7, v25
	v_mul_f32_e32 v1, v6, v25
	v_fma_f32 v0, v6, v24, -v0
	v_fmac_f32_e32 v1, v7, v24
	v_add_f32_e32 v74, v63, v0
	v_add_f32_e32 v65, v65, v1
	v_mul_f32_e32 v0, v7, v27
	v_mul_f32_e32 v1, v6, v27
	v_fma_f32 v0, v6, v26, -v0
	;; [unrolled: 6-line block ×6, first 2 shown]
	v_fmac_f32_e32 v1, v19, v26
	ds_read2_b64 v[4:7], v47 offset0:128 offset1:144
	v_add_f32_e32 v66, v66, v0
	v_add_f32_e32 v68, v68, v1
	v_mul_f32_e32 v0, v19, v29
	v_mul_f32_e32 v1, v18, v29
	v_fma_f32 v0, v18, v28, -v0
	v_fmac_f32_e32 v1, v19, v28
	v_add_f32_e32 v77, v62, v0
	v_add_f32_e32 v64, v64, v1
	v_mul_f32_e32 v0, v19, v31
	v_mul_f32_e32 v1, v18, v31
	v_fma_f32 v0, v18, v30, -v0
	v_fmac_f32_e32 v1, v19, v30
	v_add_f32_e32 v17, v17, v0
	v_add_f32_e32 v16, v16, v1
	s_waitcnt lgkmcnt(0)
	v_mul_f32_e32 v0, v33, v5
	v_mul_f32_e32 v1, v32, v5
	v_fma_f32 v0, v32, v4, -v0
	v_fmac_f32_e32 v1, v33, v4
	v_add_f32_e32 v18, v20, v0
	v_add_f32_e32 v19, v21, v1
	v_mul_f32_e32 v0, v33, v7
	v_mul_f32_e32 v1, v32, v7
	v_fma_f32 v0, v32, v6, -v0
	v_fmac_f32_e32 v1, v33, v6
	v_add_f32_e32 v78, v22, v0
	v_add_f32_e32 v79, v23, v1
	ds_read2_b64 v[0:3], v47 offset0:160 offset1:176
	s_waitcnt lgkmcnt(0)
	v_mul_f32_e32 v20, v33, v1
	v_mul_f32_e32 v21, v32, v1
	v_fma_f32 v20, v32, v0, -v20
	v_fmac_f32_e32 v21, v33, v0
	v_add_f32_e32 v56, v56, v20
	v_add_f32_e32 v57, v57, v21
	v_mul_f32_e32 v20, v33, v3
	v_mul_f32_e32 v21, v32, v3
	v_fma_f32 v20, v32, v2, -v20
	v_fmac_f32_e32 v21, v33, v2
	v_add_f32_e32 v32, v60, v20
	v_add_f32_e32 v33, v61, v21
	ds_read_b128 v[60:63], v49 offset:528
	s_waitcnt lgkmcnt(0)
	v_mul_f32_e32 v20, v61, v5
	v_mul_f32_e32 v21, v60, v5
	v_fma_f32 v20, v60, v4, -v20
	v_fmac_f32_e32 v21, v61, v4
	v_add_f32_e32 v74, v74, v20
	v_add_f32_e32 v65, v65, v21
	v_mul_f32_e32 v20, v61, v7
	v_mul_f32_e32 v21, v60, v7
	v_fma_f32 v20, v60, v6, -v20
	v_fmac_f32_e32 v21, v61, v6
	v_add_f32_e32 v67, v67, v20
	v_add_f32_e32 v69, v69, v21
	;; [unrolled: 6-line block ×8, first 2 shown]
	ds_read2_b64 v[20:23], v47 offset0:192 offset1:208
	s_waitcnt lgkmcnt(0)
	v_mul_f32_e32 v16, v35, v21
	v_mul_f32_e32 v17, v34, v21
	v_fma_f32 v16, v34, v20, -v16
	v_fmac_f32_e32 v17, v35, v20
	v_add_f32_e32 v102, v18, v16
	v_add_f32_e32 v104, v19, v17
	v_mul_f32_e32 v16, v35, v23
	v_mul_f32_e32 v17, v34, v23
	v_fma_f32 v16, v34, v22, -v16
	v_fmac_f32_e32 v17, v35, v22
	v_add_f32_e32 v98, v78, v16
	v_add_f32_e32 v100, v79, v17
	ds_read2_b64 v[16:19], v47 offset0:224 offset1:240
	s_waitcnt lgkmcnt(0)
	v_mul_f32_e32 v76, v35, v17
	v_fma_f32 v76, v34, v16, -v76
	v_add_f32_e32 v94, v56, v76
	v_mul_f32_e32 v56, v35, v19
	v_mul_f32_e32 v78, v34, v17
	v_fma_f32 v56, v34, v18, -v56
	v_mul_f32_e32 v34, v34, v19
	v_fmac_f32_e32 v34, v35, v18
	v_add_f32_e32 v90, v32, v56
	v_add_f32_e32 v92, v33, v34
	v_mul_f32_e32 v32, v63, v21
	v_mul_f32_e32 v33, v62, v21
	v_fma_f32 v32, v62, v20, -v32
	v_fmac_f32_e32 v33, v63, v20
	v_add_f32_e32 v86, v74, v32
	v_add_f32_e32 v88, v65, v33
	v_mul_f32_e32 v32, v63, v23
	v_mul_f32_e32 v33, v62, v23
	v_fma_f32 v32, v62, v22, -v32
	v_fmac_f32_e32 v33, v63, v22
	v_add_f32_e32 v82, v67, v32
	v_add_f32_e32 v84, v69, v33
	v_mul_f32_e32 v32, v63, v17
	v_mul_f32_e32 v33, v62, v17
	v_fmac_f32_e32 v78, v35, v16
	v_fma_f32 v32, v62, v16, -v32
	v_fmac_f32_e32 v33, v63, v16
	v_add_f32_e32 v96, v57, v78
	v_add_f32_e32 v78, v71, v32
	;; [unrolled: 1-line block ×3, first 2 shown]
	v_mul_f32_e32 v32, v63, v19
	v_mul_f32_e32 v33, v62, v19
	v_fma_f32 v32, v62, v18, -v32
	v_fmac_f32_e32 v33, v63, v18
	v_add_f32_e32 v74, v60, v32
	v_add_f32_e32 v76, v61, v33
	v_mul_f32_e32 v32, v107, v21
	v_mul_f32_e32 v33, v106, v21
	v_fma_f32 v32, v106, v20, -v32
	v_fmac_f32_e32 v33, v107, v20
	v_add_f32_e32 v70, v70, v32
	v_add_f32_e32 v72, v72, v33
	;; [unrolled: 6-line block ×5, first 2 shown]
	ds_read_b128 v[32:35], v49 offset:1536
	s_waitcnt lgkmcnt(0)
	v_mul_f32_e32 v57, v33, v9
	v_mul_f32_e32 v9, v32, v9
	v_fmac_f32_e32 v9, v33, v8
	v_fma_f32 v57, v32, v8, -v57
	v_add_f32_e32 v48, v48, v9
	v_mul_f32_e32 v8, v33, v11
	v_mul_f32_e32 v9, v32, v11
	v_fma_f32 v8, v32, v10, -v8
	v_fmac_f32_e32 v9, v33, v10
	v_add_f32_e32 v42, v42, v8
	v_add_f32_e32 v44, v44, v9
	v_mul_f32_e32 v8, v33, v13
	v_mul_f32_e32 v9, v32, v13
	v_fma_f32 v8, v32, v12, -v8
	v_fmac_f32_e32 v9, v33, v12
	v_add_f32_e32 v12, v40, v8
	v_add_f32_e32 v13, v41, v9
	v_pk_mul_f32 v[8:9], v[32:33], v[14:15] op_sel:[1,1] op_sel_hi:[0,1]
	v_pk_fma_f32 v[10:11], v[32:33], v[14:15], v[8:9] neg_lo:[0,0,1] neg_hi:[0,0,1]
	v_pk_fma_f32 v[8:9], v[32:33], v[14:15], v[8:9] op_sel_hi:[1,0,1]
	v_add_f32_e32 v46, v46, v57
	v_mov_b32_e32 v11, v9
	v_pk_add_f32 v[8:9], v[58:59], v[10:11]
	v_mul_f32_e32 v10, v35, v25
	v_mul_f32_e32 v11, v34, v25
	v_fma_f32 v10, v34, v24, -v10
	v_fmac_f32_e32 v11, v35, v24
	v_add_f32_e32 v32, v46, v10
	v_add_f32_e32 v33, v48, v11
	v_mul_f32_e32 v10, v35, v27
	v_mul_f32_e32 v11, v34, v27
	v_fma_f32 v10, v34, v26, -v10
	v_fmac_f32_e32 v11, v35, v26
	v_add_f32_e32 v24, v42, v10
	v_add_f32_e32 v25, v44, v11
	v_mul_f32_e32 v10, v35, v29
	v_mul_f32_e32 v11, v34, v29
	v_fma_f32 v10, v34, v28, -v10
	v_fmac_f32_e32 v11, v35, v28
	v_add_f32_e32 v14, v12, v10
	v_add_f32_e32 v15, v13, v11
	v_pk_mul_f32 v[10:11], v[34:35], v[30:31] op_sel:[1,1] op_sel_hi:[0,1]
	v_pk_fma_f32 v[12:13], v[34:35], v[30:31], v[10:11] neg_lo:[0,0,1] neg_hi:[0,0,1]
	v_pk_fma_f32 v[10:11], v[34:35], v[30:31], v[10:11] op_sel_hi:[1,0,1]
	s_nop 0
	v_mov_b32_e32 v13, v11
	v_pk_add_f32 v[12:13], v[8:9], v[12:13]
	ds_read_b128 v[8:11], v49 offset:1552
	s_waitcnt lgkmcnt(0)
	s_barrier
	v_mul_f32_e32 v26, v9, v5
	v_mul_f32_e32 v5, v8, v5
	v_fma_f32 v26, v8, v4, -v26
	v_fmac_f32_e32 v5, v9, v4
	v_mul_f32_e32 v4, v9, v7
	v_add_f32_e32 v27, v33, v5
	v_fma_f32 v4, v8, v6, -v4
	v_mul_f32_e32 v5, v8, v7
	v_fmac_f32_e32 v5, v9, v6
	v_add_f32_e32 v6, v24, v4
	v_mul_f32_e32 v4, v9, v1
	v_mul_f32_e32 v1, v8, v1
	v_fmac_f32_e32 v1, v9, v0
	v_fma_f32 v4, v8, v0, -v4
	v_add_f32_e32 v15, v15, v1
	v_pk_mul_f32 v[0:1], v[8:9], v[2:3] op_sel:[1,1] op_sel_hi:[0,1]
	v_add_f32_e32 v7, v25, v5
	v_add_f32_e32 v14, v14, v4
	v_pk_fma_f32 v[4:5], v[8:9], v[2:3], v[0:1] neg_lo:[0,0,1] neg_hi:[0,0,1]
	v_pk_fma_f32 v[0:1], v[8:9], v[2:3], v[0:1] op_sel_hi:[1,0,1]
	v_mul_f32_e32 v2, v11, v21
	v_mul_f32_e32 v3, v10, v21
	v_add_f32_e32 v26, v32, v26
	v_fma_f32 v2, v10, v20, -v2
	v_fmac_f32_e32 v3, v11, v20
	v_add_f32_e32 v46, v26, v2
	v_add_f32_e32 v48, v27, v3
	v_mul_f32_e32 v2, v11, v23
	v_mul_f32_e32 v3, v10, v23
	v_fma_f32 v2, v10, v22, -v2
	v_fmac_f32_e32 v3, v11, v22
	v_add_f32_e32 v42, v6, v2
	v_add_f32_e32 v44, v7, v3
	v_mul_f32_e32 v2, v11, v17
	v_mul_f32_e32 v3, v10, v17
	v_fma_f32 v2, v10, v16, -v2
	v_fmac_f32_e32 v3, v11, v16
	v_mov_b32_e32 v5, v1
	v_add_f32_e32 v40, v14, v2
	v_add_f32_e32 v41, v15, v3
	v_pk_mul_f32 v[2:3], v[10:11], v[18:19] op_sel:[1,1] op_sel_hi:[0,1]
	v_pk_add_f32 v[0:1], v[12:13], v[4:5]
	v_pk_fma_f32 v[4:5], v[10:11], v[18:19], v[2:3] neg_lo:[0,0,1] neg_hi:[0,0,1]
	v_pk_fma_f32 v[2:3], v[10:11], v[18:19], v[2:3] op_sel_hi:[1,0,1]
	s_nop 0
	v_mov_b32_e32 v5, v3
	v_pk_add_f32 v[58:59], v[0:1], v[4:5]
	s_cbranch_vccnz .LBB89_2
.LBB89_3:
	s_load_dwordx4 s[20:23], s[0:1], 0x78
	s_load_dwordx8 s[12:19], s[0:1], 0x58
	v_lshl_add_u64 v[2:3], s[24:25], 0, v[38:39]
	v_lshl_add_u64 v[0:1], s[2:3], 0, v[36:37]
	s_waitcnt lgkmcnt(0)
	s_mul_i32 s1, s23, s4
	s_mul_hi_u32 s5, s22, s4
	s_mul_i32 s0, s22, s4
	s_add_i32 s1, s5, s1
	s_lshl_b64 s[0:1], s[0:1], 3
	s_add_u32 s8, s18, s0
	s_addc_u32 s9, s19, s1
	s_or_b32 s0, s6, s7
	s_bitset0_b32 s0, 31
	s_cmp_lg_u32 s0, 0
	s_mov_b32 s0, s11
	s_mov_b32 s1, s10
	s_cbranch_scc1 .LBB89_5
; %bb.4:
	v_mul_lo_u32 v6, v3, s20
	v_mul_lo_u32 v7, v2, s21
	v_mad_u64_u32 v[4:5], s[2:3], v2, s20, 0
	v_add3_u32 v5, v5, v7, v6
	v_pk_mul_f32 v[6:7], v[104:105], s[0:1] op_sel_hi:[0,1]
	v_lshl_add_u64 v[4:5], v[4:5], 3, s[8:9]
	v_lshlrev_b64 v[8:9], 3, v[0:1]
	v_pk_fma_f32 v[12:13], v[102:103], s[0:1], v[6:7] op_sel:[0,1,0] op_sel_hi:[1,0,1] neg_lo:[0,0,1] neg_hi:[0,0,1]
	v_pk_fma_f32 v[6:7], v[102:103], s[0:1], v[6:7] op_sel:[0,1,0] op_sel_hi:[0,0,1]
	v_lshl_add_u64 v[10:11], v[4:5], 0, v[8:9]
	v_mov_b32_e32 v13, v7
	v_pk_mul_f32 v[6:7], v[100:101], s[0:1] op_sel_hi:[0,1]
	global_store_dwordx2 v[10:11], v[12:13], off
	v_pk_fma_f32 v[12:13], v[98:99], s[0:1], v[6:7] op_sel:[0,1,0] op_sel_hi:[1,0,1] neg_lo:[0,0,1] neg_hi:[0,0,1]
	v_pk_fma_f32 v[6:7], v[98:99], s[0:1], v[6:7] op_sel:[0,1,0] op_sel_hi:[0,0,1]
	v_mov_b32_e32 v13, v7
	v_pk_mul_f32 v[6:7], v[96:97], s[0:1] op_sel_hi:[0,1]
	global_store_dwordx2 v[10:11], v[12:13], off offset:128
	v_pk_fma_f32 v[12:13], v[94:95], s[0:1], v[6:7] op_sel:[0,1,0] op_sel_hi:[1,0,1] neg_lo:[0,0,1] neg_hi:[0,0,1]
	v_pk_fma_f32 v[6:7], v[94:95], s[0:1], v[6:7] op_sel:[0,1,0] op_sel_hi:[0,0,1]
	v_mov_b32_e32 v13, v7
	v_pk_mul_f32 v[6:7], v[92:93], s[0:1] op_sel_hi:[0,1]
	global_store_dwordx2 v[10:11], v[12:13], off offset:256
	v_pk_fma_f32 v[12:13], v[90:91], s[0:1], v[6:7] op_sel:[0,1,0] op_sel_hi:[1,0,1] neg_lo:[0,0,1] neg_hi:[0,0,1]
	v_pk_fma_f32 v[6:7], v[90:91], s[0:1], v[6:7] op_sel:[0,1,0] op_sel_hi:[0,0,1]
	v_mov_b32_e32 v13, v7
	s_lshl_b64 s[2:3], s[20:21], 7
	v_pk_mul_f32 v[6:7], v[88:89], s[0:1] op_sel_hi:[0,1]
	global_store_dwordx2 v[10:11], v[12:13], off offset:384
	v_lshl_add_u64 v[4:5], v[4:5], 0, s[2:3]
	v_pk_fma_f32 v[12:13], v[86:87], s[0:1], v[6:7] op_sel:[0,1,0] op_sel_hi:[1,0,1] neg_lo:[0,0,1] neg_hi:[0,0,1]
	v_pk_fma_f32 v[6:7], v[86:87], s[0:1], v[6:7] op_sel:[0,1,0] op_sel_hi:[0,0,1]
	v_lshl_add_u64 v[10:11], v[4:5], 0, v[8:9]
	v_mov_b32_e32 v13, v7
	v_pk_mul_f32 v[6:7], v[84:85], s[0:1] op_sel_hi:[0,1]
	global_store_dwordx2 v[10:11], v[12:13], off
	v_pk_fma_f32 v[12:13], v[82:83], s[0:1], v[6:7] op_sel:[0,1,0] op_sel_hi:[1,0,1] neg_lo:[0,0,1] neg_hi:[0,0,1]
	v_pk_fma_f32 v[6:7], v[82:83], s[0:1], v[6:7] op_sel:[0,1,0] op_sel_hi:[0,0,1]
	v_mov_b32_e32 v13, v7
	v_pk_mul_f32 v[6:7], v[80:81], s[0:1] op_sel_hi:[0,1]
	global_store_dwordx2 v[10:11], v[12:13], off offset:128
	v_pk_fma_f32 v[12:13], v[78:79], s[0:1], v[6:7] op_sel:[0,1,0] op_sel_hi:[1,0,1] neg_lo:[0,0,1] neg_hi:[0,0,1]
	v_pk_fma_f32 v[6:7], v[78:79], s[0:1], v[6:7] op_sel:[0,1,0] op_sel_hi:[0,0,1]
	v_mov_b32_e32 v13, v7
	v_pk_mul_f32 v[6:7], v[76:77], s[0:1] op_sel_hi:[0,1]
	global_store_dwordx2 v[10:11], v[12:13], off offset:256
	;; [unrolled: 5-line block ×3, first 2 shown]
	v_lshl_add_u64 v[4:5], v[4:5], 0, s[2:3]
	v_pk_fma_f32 v[12:13], v[70:71], s[0:1], v[6:7] op_sel:[0,1,0] op_sel_hi:[1,0,1] neg_lo:[0,0,1] neg_hi:[0,0,1]
	v_pk_fma_f32 v[6:7], v[70:71], s[0:1], v[6:7] op_sel:[0,1,0] op_sel_hi:[0,0,1]
	v_lshl_add_u64 v[10:11], v[4:5], 0, v[8:9]
	v_mov_b32_e32 v13, v7
	v_pk_mul_f32 v[6:7], v[68:69], s[0:1] op_sel_hi:[0,1]
	global_store_dwordx2 v[10:11], v[12:13], off
	v_pk_fma_f32 v[12:13], v[66:67], s[0:1], v[6:7] op_sel:[0,1,0] op_sel_hi:[1,0,1] neg_lo:[0,0,1] neg_hi:[0,0,1]
	v_pk_fma_f32 v[6:7], v[66:67], s[0:1], v[6:7] op_sel:[0,1,0] op_sel_hi:[0,0,1]
	v_mov_b32_e32 v13, v7
	v_pk_mul_f32 v[6:7], v[64:65], s[0:1] op_sel_hi:[0,1]
	global_store_dwordx2 v[10:11], v[12:13], off offset:128
	v_pk_fma_f32 v[12:13], v[62:63], s[0:1], v[6:7] op_sel:[0,1,0] op_sel_hi:[1,0,1] neg_lo:[0,0,1] neg_hi:[0,0,1]
	v_pk_fma_f32 v[6:7], v[62:63], s[0:1], v[6:7] op_sel:[0,1,0] op_sel_hi:[0,0,1]
	v_mov_b32_e32 v13, v7
	v_pk_mul_f32 v[6:7], v[60:61], s[0:1] op_sel_hi:[0,1]
	global_store_dwordx2 v[10:11], v[12:13], off offset:256
	v_pk_fma_f32 v[12:13], v[56:57], s[0:1], v[6:7] op_sel:[0,1,0] op_sel_hi:[1,0,1] neg_lo:[0,0,1] neg_hi:[0,0,1]
	v_pk_fma_f32 v[6:7], v[56:57], s[0:1], v[6:7] op_sel:[0,1,0] op_sel_hi:[0,0,1]
	v_mov_b32_e32 v13, v7
	v_lshl_add_u64 v[4:5], v[4:5], 0, s[2:3]
	v_pk_mul_f32 v[6:7], v[48:49], s[0:1] op_sel_hi:[0,1]
	v_lshl_add_u64 v[8:9], v[4:5], 0, v[8:9]
	v_pk_fma_f32 v[4:5], v[46:47], s[0:1], v[6:7] op_sel:[0,1,0] op_sel_hi:[1,0,1] neg_lo:[0,0,1] neg_hi:[0,0,1]
	v_pk_fma_f32 v[6:7], v[46:47], s[0:1], v[6:7] op_sel:[0,1,0] op_sel_hi:[0,0,1]
	v_mov_b32_e32 v5, v7
	global_store_dwordx2 v[10:11], v[12:13], off offset:384
	global_store_dwordx2 v[8:9], v[4:5], off
	v_pk_mul_f32 v[4:5], v[44:45], s[0:1] op_sel_hi:[0,1]
	v_pk_fma_f32 v[6:7], v[42:43], s[0:1], v[4:5] op_sel:[0,1,0] op_sel_hi:[1,0,1] neg_lo:[0,0,1] neg_hi:[0,0,1]
	v_pk_fma_f32 v[4:5], v[42:43], s[0:1], v[4:5] op_sel:[0,1,0] op_sel_hi:[0,0,1]
	v_mov_b32_e32 v4, v41
	v_mov_b32_e32 v7, v5
	v_pk_mul_f32 v[4:5], v[4:5], s[0:1] op_sel_hi:[0,1]
	global_store_dwordx2 v[8:9], v[6:7], off offset:128
	v_pk_fma_f32 v[6:7], v[40:41], s[0:1], v[4:5] op_sel:[0,1,0] op_sel_hi:[1,0,1] neg_lo:[0,0,1] neg_hi:[0,0,1]
	v_pk_fma_f32 v[4:5], v[40:41], s[0:1], v[4:5] op_sel:[0,1,0] op_sel_hi:[0,0,1]
	v_mov_b32_e32 v7, v5
	v_mul_f32_e32 v4, s1, v58
	global_store_dwordx2 v[8:9], v[6:7], off offset:256
	v_fma_f32 v7, -v59, s0, v4
	v_pk_mul_f32 v[4:5], v[58:59], s[0:1]
	s_mov_b64 s[2:3], 0x180
	v_add_f32_e32 v6, v4, v5
	v_lshl_add_u64 v[4:5], v[8:9], 0, s[2:3]
	global_store_dword v[8:9], v7, off offset:384
	s_cbranch_execz .LBB89_6
	s_branch .LBB89_7
.LBB89_5:
                                        ; implicit-def: $vgpr6
                                        ; implicit-def: $vgpr4_vgpr5
.LBB89_6:
	s_mul_i32 s2, s17, s4
	s_mul_hi_u32 s3, s16, s4
	s_add_i32 s3, s3, s2
	s_mul_i32 s2, s16, s4
	s_lshl_b64 s[2:3], s[2:3], 3
	s_add_u32 s2, s12, s2
	v_mul_lo_u32 v6, v3, s14
	v_mul_lo_u32 v7, v2, s15
	v_mad_u64_u32 v[4:5], s[4:5], v2, s14, 0
	s_addc_u32 s3, s13, s3
	v_add3_u32 v5, v5, v7, v6
	v_lshl_add_u64 v[4:5], v[4:5], 3, s[2:3]
	v_lshlrev_b64 v[0:1], 3, v[0:1]
	v_lshl_add_u64 v[6:7], v[4:5], 0, v[0:1]
	global_load_dwordx2 v[8:9], v[6:7], off
	v_mul_lo_u32 v12, v3, s20
	v_mul_lo_u32 v13, v2, s21
	v_mad_u64_u32 v[2:3], s[2:3], v2, s20, 0
	s_mov_b32 s2, s7
	v_pk_mul_f32 v[10:11], v[104:105], s[0:1] op_sel_hi:[0,1]
	v_add3_u32 v3, v3, v13, v12
	v_pk_fma_f32 v[12:13], v[102:103], s[0:1], v[10:11] op_sel:[0,1,0] op_sel_hi:[1,0,1] neg_lo:[0,0,1] neg_hi:[0,0,1]
	v_pk_fma_f32 v[10:11], v[102:103], s[0:1], v[10:11] op_sel:[0,1,0] op_sel_hi:[0,0,1]
	v_lshl_add_u64 v[2:3], v[2:3], 3, s[8:9]
	v_mov_b32_e32 v13, v11
	v_lshl_add_u64 v[10:11], v[2:3], 0, v[0:1]
	s_lshl_b64 s[4:5], s[14:15], 7
	v_lshl_add_u64 v[4:5], v[4:5], 0, s[4:5]
	s_lshl_b64 s[8:9], s[20:21], 7
	v_lshl_add_u64 v[2:3], v[2:3], 0, s[8:9]
	s_mov_b32 s11, s6
	s_waitcnt vmcnt(0)
	v_pk_mul_f32 v[14:15], v[8:9], s[2:3] op_sel_hi:[1,0]
	s_nop 0
	v_pk_fma_f32 v[16:17], v[8:9], s[6:7], v[14:15] op_sel:[0,0,1] op_sel_hi:[1,1,0] neg_lo:[0,0,1] neg_hi:[0,0,1]
	v_pk_fma_f32 v[8:9], v[8:9], s[6:7], v[14:15] op_sel:[0,0,1] op_sel_hi:[1,0,0]
	s_nop 0
	v_mov_b32_e32 v17, v9
	v_pk_add_f32 v[8:9], v[12:13], v[16:17]
	global_store_dwordx2 v[10:11], v[8:9], off
	global_load_dwordx2 v[8:9], v[6:7], off offset:128
	v_pk_mul_f32 v[12:13], v[100:101], s[0:1] op_sel_hi:[0,1]
	v_pk_fma_f32 v[14:15], v[98:99], s[0:1], v[12:13] op_sel:[0,1,0] op_sel_hi:[1,0,1] neg_lo:[0,0,1] neg_hi:[0,0,1]
	v_pk_fma_f32 v[12:13], v[98:99], s[0:1], v[12:13] op_sel:[0,1,0] op_sel_hi:[0,0,1]
	v_mov_b32_e32 v15, v13
	s_waitcnt vmcnt(0)
	v_pk_mul_f32 v[12:13], v[8:9], s[2:3] op_sel_hi:[1,0]
	s_nop 0
	v_pk_fma_f32 v[16:17], v[8:9], s[6:7], v[12:13] op_sel:[0,0,1] op_sel_hi:[1,1,0] neg_lo:[0,0,1] neg_hi:[0,0,1]
	v_pk_fma_f32 v[8:9], v[8:9], s[6:7], v[12:13] op_sel:[0,0,1] op_sel_hi:[1,0,0]
	v_pk_mul_f32 v[12:13], v[96:97], s[0:1] op_sel_hi:[0,1]
	v_mov_b32_e32 v17, v9
	v_pk_add_f32 v[8:9], v[14:15], v[16:17]
	global_store_dwordx2 v[10:11], v[8:9], off offset:128
	global_load_dwordx2 v[8:9], v[6:7], off offset:256
	v_pk_fma_f32 v[14:15], v[94:95], s[0:1], v[12:13] op_sel:[0,1,0] op_sel_hi:[1,0,1] neg_lo:[0,0,1] neg_hi:[0,0,1]
	v_pk_fma_f32 v[12:13], v[94:95], s[0:1], v[12:13] op_sel:[0,1,0] op_sel_hi:[0,0,1]
	v_mov_b32_e32 v15, v13
	s_waitcnt vmcnt(0)
	v_pk_mul_f32 v[12:13], v[8:9], s[2:3] op_sel_hi:[1,0]
	s_nop 0
	v_pk_fma_f32 v[16:17], v[8:9], s[6:7], v[12:13] op_sel:[0,0,1] op_sel_hi:[1,1,0] neg_lo:[0,0,1] neg_hi:[0,0,1]
	v_pk_fma_f32 v[8:9], v[8:9], s[6:7], v[12:13] op_sel:[0,0,1] op_sel_hi:[1,0,0]
	s_nop 0
	v_mov_b32_e32 v17, v9
	v_pk_add_f32 v[8:9], v[14:15], v[16:17]
	global_store_dwordx2 v[10:11], v[8:9], off offset:256
	global_load_dwordx2 v[6:7], v[6:7], off offset:384
	v_pk_mul_f32 v[8:9], v[92:93], s[0:1] op_sel_hi:[0,1]
	v_pk_fma_f32 v[12:13], v[90:91], s[0:1], v[8:9] op_sel:[0,1,0] op_sel_hi:[1,0,1] neg_lo:[0,0,1] neg_hi:[0,0,1]
	v_pk_fma_f32 v[8:9], v[90:91], s[0:1], v[8:9] op_sel:[0,1,0] op_sel_hi:[0,0,1]
	v_mov_b32_e32 v13, v9
	v_lshl_add_u64 v[8:9], v[4:5], 0, v[0:1]
	v_lshl_add_u64 v[4:5], v[4:5], 0, s[4:5]
	s_waitcnt vmcnt(0)
	v_pk_mul_f32 v[14:15], v[6:7], s[2:3] op_sel_hi:[1,0]
	s_nop 0
	v_pk_fma_f32 v[16:17], v[6:7], s[6:7], v[14:15] op_sel:[0,0,1] op_sel_hi:[1,1,0] neg_lo:[0,0,1] neg_hi:[0,0,1]
	v_pk_fma_f32 v[6:7], v[6:7], s[6:7], v[14:15] op_sel:[0,0,1] op_sel_hi:[1,0,0]
	s_nop 0
	v_mov_b32_e32 v17, v7
	v_pk_add_f32 v[6:7], v[12:13], v[16:17]
	global_store_dwordx2 v[10:11], v[6:7], off offset:384
	global_load_dwordx2 v[6:7], v[8:9], off
	v_pk_mul_f32 v[10:11], v[88:89], s[0:1] op_sel_hi:[0,1]
	v_pk_fma_f32 v[12:13], v[86:87], s[0:1], v[10:11] op_sel:[0,1,0] op_sel_hi:[1,0,1] neg_lo:[0,0,1] neg_hi:[0,0,1]
	v_pk_fma_f32 v[10:11], v[86:87], s[0:1], v[10:11] op_sel:[0,1,0] op_sel_hi:[0,0,1]
	v_mov_b32_e32 v13, v11
	v_lshl_add_u64 v[10:11], v[2:3], 0, v[0:1]
	v_lshl_add_u64 v[2:3], v[2:3], 0, s[8:9]
	s_waitcnt vmcnt(0)
	v_pk_mul_f32 v[14:15], v[6:7], s[2:3] op_sel_hi:[1,0]
	s_nop 0
	v_pk_fma_f32 v[16:17], v[6:7], s[6:7], v[14:15] op_sel:[0,0,1] op_sel_hi:[1,1,0] neg_lo:[0,0,1] neg_hi:[0,0,1]
	v_pk_fma_f32 v[6:7], v[6:7], s[6:7], v[14:15] op_sel:[0,0,1] op_sel_hi:[1,0,0]
	s_nop 0
	v_mov_b32_e32 v17, v7
	v_pk_add_f32 v[6:7], v[12:13], v[16:17]
	global_store_dwordx2 v[10:11], v[6:7], off
	global_load_dwordx2 v[6:7], v[8:9], off offset:128
	v_pk_mul_f32 v[12:13], v[84:85], s[0:1] op_sel_hi:[0,1]
	v_pk_fma_f32 v[14:15], v[82:83], s[0:1], v[12:13] op_sel:[0,1,0] op_sel_hi:[1,0,1] neg_lo:[0,0,1] neg_hi:[0,0,1]
	v_pk_fma_f32 v[12:13], v[82:83], s[0:1], v[12:13] op_sel:[0,1,0] op_sel_hi:[0,0,1]
	v_mov_b32_e32 v15, v13
	s_waitcnt vmcnt(0)
	v_pk_mul_f32 v[12:13], v[6:7], s[2:3] op_sel_hi:[1,0]
	s_nop 0
	v_pk_fma_f32 v[16:17], v[6:7], s[6:7], v[12:13] op_sel:[0,0,1] op_sel_hi:[1,1,0] neg_lo:[0,0,1] neg_hi:[0,0,1]
	v_pk_fma_f32 v[6:7], v[6:7], s[6:7], v[12:13] op_sel:[0,0,1] op_sel_hi:[1,0,0]
	v_pk_mul_f32 v[12:13], v[80:81], s[0:1] op_sel_hi:[0,1]
	v_mov_b32_e32 v17, v7
	v_pk_add_f32 v[6:7], v[14:15], v[16:17]
	global_store_dwordx2 v[10:11], v[6:7], off offset:128
	global_load_dwordx2 v[6:7], v[8:9], off offset:256
	v_pk_fma_f32 v[14:15], v[78:79], s[0:1], v[12:13] op_sel:[0,1,0] op_sel_hi:[1,0,1] neg_lo:[0,0,1] neg_hi:[0,0,1]
	v_pk_fma_f32 v[12:13], v[78:79], s[0:1], v[12:13] op_sel:[0,1,0] op_sel_hi:[0,0,1]
	v_mov_b32_e32 v15, v13
	s_waitcnt vmcnt(0)
	v_pk_mul_f32 v[12:13], v[6:7], s[2:3] op_sel_hi:[1,0]
	s_nop 0
	v_pk_fma_f32 v[16:17], v[6:7], s[6:7], v[12:13] op_sel:[0,0,1] op_sel_hi:[1,1,0] neg_lo:[0,0,1] neg_hi:[0,0,1]
	v_pk_fma_f32 v[6:7], v[6:7], s[6:7], v[12:13] op_sel:[0,0,1] op_sel_hi:[1,0,0]
	s_nop 0
	v_mov_b32_e32 v17, v7
	v_pk_add_f32 v[6:7], v[14:15], v[16:17]
	global_store_dwordx2 v[10:11], v[6:7], off offset:256
	global_load_dwordx2 v[6:7], v[8:9], off offset:384
	v_pk_mul_f32 v[8:9], v[76:77], s[0:1] op_sel_hi:[0,1]
	v_pk_fma_f32 v[12:13], v[74:75], s[0:1], v[8:9] op_sel:[0,1,0] op_sel_hi:[1,0,1] neg_lo:[0,0,1] neg_hi:[0,0,1]
	v_pk_fma_f32 v[8:9], v[74:75], s[0:1], v[8:9] op_sel:[0,1,0] op_sel_hi:[0,0,1]
	v_mov_b32_e32 v13, v9
	v_lshl_add_u64 v[8:9], v[4:5], 0, v[0:1]
	v_lshl_add_u64 v[4:5], v[4:5], 0, s[4:5]
	;; [unrolled: 1-line block ×3, first 2 shown]
	s_waitcnt vmcnt(0)
	v_pk_mul_f32 v[14:15], v[6:7], s[2:3] op_sel_hi:[1,0]
	s_nop 0
	v_pk_fma_f32 v[16:17], v[6:7], s[6:7], v[14:15] op_sel:[0,0,1] op_sel_hi:[1,1,0] neg_lo:[0,0,1] neg_hi:[0,0,1]
	v_pk_fma_f32 v[6:7], v[6:7], s[6:7], v[14:15] op_sel:[0,0,1] op_sel_hi:[1,0,0]
	s_nop 0
	v_mov_b32_e32 v17, v7
	v_pk_add_f32 v[6:7], v[12:13], v[16:17]
	global_store_dwordx2 v[10:11], v[6:7], off offset:384
	global_load_dwordx2 v[6:7], v[8:9], off
	v_pk_mul_f32 v[10:11], v[72:73], s[0:1] op_sel_hi:[0,1]
	v_pk_fma_f32 v[12:13], v[70:71], s[0:1], v[10:11] op_sel:[0,1,0] op_sel_hi:[1,0,1] neg_lo:[0,0,1] neg_hi:[0,0,1]
	v_pk_fma_f32 v[10:11], v[70:71], s[0:1], v[10:11] op_sel:[0,1,0] op_sel_hi:[0,0,1]
	v_mov_b32_e32 v13, v11
	v_lshl_add_u64 v[10:11], v[2:3], 0, v[0:1]
	v_lshl_add_u64 v[2:3], v[2:3], 0, s[8:9]
	;; [unrolled: 1-line block ×3, first 2 shown]
	s_waitcnt vmcnt(0)
	v_pk_mul_f32 v[14:15], v[6:7], s[2:3] op_sel_hi:[1,0]
	s_nop 0
	v_pk_fma_f32 v[16:17], v[6:7], s[6:7], v[14:15] op_sel:[0,0,1] op_sel_hi:[1,1,0] neg_lo:[0,0,1] neg_hi:[0,0,1]
	v_pk_fma_f32 v[6:7], v[6:7], s[6:7], v[14:15] op_sel:[0,0,1] op_sel_hi:[1,0,0]
	s_nop 0
	v_mov_b32_e32 v17, v7
	v_pk_add_f32 v[6:7], v[12:13], v[16:17]
	global_store_dwordx2 v[10:11], v[6:7], off
	global_load_dwordx2 v[6:7], v[8:9], off offset:128
	v_pk_mul_f32 v[12:13], v[68:69], s[0:1] op_sel_hi:[0,1]
	v_pk_fma_f32 v[14:15], v[66:67], s[0:1], v[12:13] op_sel:[0,1,0] op_sel_hi:[1,0,1] neg_lo:[0,0,1] neg_hi:[0,0,1]
	v_pk_fma_f32 v[12:13], v[66:67], s[0:1], v[12:13] op_sel:[0,1,0] op_sel_hi:[0,0,1]
	v_mov_b32_e32 v15, v13
	s_waitcnt vmcnt(0)
	v_pk_mul_f32 v[12:13], v[6:7], s[2:3] op_sel_hi:[1,0]
	s_nop 0
	v_pk_fma_f32 v[16:17], v[6:7], s[6:7], v[12:13] op_sel:[0,0,1] op_sel_hi:[1,1,0] neg_lo:[0,0,1] neg_hi:[0,0,1]
	v_pk_fma_f32 v[6:7], v[6:7], s[6:7], v[12:13] op_sel:[0,0,1] op_sel_hi:[1,0,0]
	v_pk_mul_f32 v[12:13], v[64:65], s[0:1] op_sel_hi:[0,1]
	v_mov_b32_e32 v17, v7
	v_pk_add_f32 v[6:7], v[14:15], v[16:17]
	global_store_dwordx2 v[10:11], v[6:7], off offset:128
	global_load_dwordx2 v[6:7], v[8:9], off offset:256
	v_pk_fma_f32 v[14:15], v[62:63], s[0:1], v[12:13] op_sel:[0,1,0] op_sel_hi:[1,0,1] neg_lo:[0,0,1] neg_hi:[0,0,1]
	v_pk_fma_f32 v[12:13], v[62:63], s[0:1], v[12:13] op_sel:[0,1,0] op_sel_hi:[0,0,1]
	v_mov_b32_e32 v15, v13
	s_waitcnt vmcnt(0)
	v_pk_mul_f32 v[12:13], v[6:7], s[2:3] op_sel_hi:[1,0]
	s_nop 0
	v_pk_fma_f32 v[16:17], v[6:7], s[6:7], v[12:13] op_sel:[0,0,1] op_sel_hi:[1,1,0] neg_lo:[0,0,1] neg_hi:[0,0,1]
	v_pk_fma_f32 v[6:7], v[6:7], s[6:7], v[12:13] op_sel:[0,0,1] op_sel_hi:[1,0,0]
	s_nop 0
	v_mov_b32_e32 v17, v7
	v_pk_add_f32 v[6:7], v[14:15], v[16:17]
	global_store_dwordx2 v[10:11], v[6:7], off offset:256
	global_load_dwordx2 v[6:7], v[8:9], off offset:384
	v_pk_mul_f32 v[8:9], v[60:61], s[0:1] op_sel_hi:[0,1]
	v_pk_fma_f32 v[12:13], v[56:57], s[0:1], v[8:9] op_sel:[0,1,0] op_sel_hi:[1,0,1] neg_lo:[0,0,1] neg_hi:[0,0,1]
	v_pk_fma_f32 v[8:9], v[56:57], s[0:1], v[8:9] op_sel:[0,1,0] op_sel_hi:[0,0,1]
	v_mov_b32_e32 v13, v9
	s_waitcnt vmcnt(0)
	v_pk_mul_f32 v[8:9], v[6:7], s[2:3] op_sel_hi:[1,0]
	s_nop 0
	v_pk_fma_f32 v[14:15], v[6:7], s[6:7], v[8:9] op_sel:[0,0,1] op_sel_hi:[1,1,0] neg_lo:[0,0,1] neg_hi:[0,0,1]
	v_pk_fma_f32 v[6:7], v[6:7], s[6:7], v[8:9] op_sel:[0,0,1] op_sel_hi:[1,0,0]
	v_pk_mul_f32 v[8:9], v[48:49], s[0:1] op_sel_hi:[0,1]
	v_mov_b32_e32 v15, v7
	v_pk_add_f32 v[6:7], v[12:13], v[14:15]
	global_store_dwordx2 v[10:11], v[6:7], off offset:384
	global_load_dwordx2 v[6:7], v[4:5], off
	v_pk_fma_f32 v[10:11], v[46:47], s[0:1], v[8:9] op_sel:[0,1,0] op_sel_hi:[1,0,1] neg_lo:[0,0,1] neg_hi:[0,0,1]
	v_pk_fma_f32 v[8:9], v[46:47], s[0:1], v[8:9] op_sel:[0,1,0] op_sel_hi:[0,0,1]
	v_mov_b32_e32 v11, v9
	s_waitcnt vmcnt(0)
	v_pk_mul_f32 v[2:3], v[6:7], s[2:3] op_sel_hi:[1,0]
	s_nop 0
	v_pk_fma_f32 v[8:9], v[6:7], s[6:7], v[2:3] op_sel:[0,0,1] op_sel_hi:[1,1,0] neg_lo:[0,0,1] neg_hi:[0,0,1]
	v_pk_fma_f32 v[2:3], v[6:7], s[6:7], v[2:3] op_sel:[0,0,1] op_sel_hi:[1,0,0]
	v_pk_mul_f32 v[6:7], v[44:45], s[0:1] op_sel_hi:[0,1]
	v_mov_b32_e32 v9, v3
	v_pk_add_f32 v[2:3], v[10:11], v[8:9]
	global_store_dwordx2 v[0:1], v[2:3], off
	global_load_dwordx2 v[2:3], v[4:5], off offset:128
	v_pk_fma_f32 v[8:9], v[42:43], s[0:1], v[6:7] op_sel:[0,1,0] op_sel_hi:[1,0,1] neg_lo:[0,0,1] neg_hi:[0,0,1]
	v_pk_fma_f32 v[6:7], v[42:43], s[0:1], v[6:7] op_sel:[0,1,0] op_sel_hi:[0,0,1]
	v_mov_b32_e32 v9, v7
	s_waitcnt vmcnt(0)
	v_pk_mul_f32 v[6:7], v[2:3], s[2:3] op_sel_hi:[1,0]
	s_nop 0
	v_pk_fma_f32 v[10:11], v[2:3], s[6:7], v[6:7] op_sel:[0,0,1] op_sel_hi:[1,1,0] neg_lo:[0,0,1] neg_hi:[0,0,1]
	v_pk_fma_f32 v[2:3], v[2:3], s[6:7], v[6:7] op_sel:[0,0,1] op_sel_hi:[1,0,0]
	v_mov_b32_e32 v6, v41
	v_mov_b32_e32 v11, v3
	v_pk_add_f32 v[2:3], v[8:9], v[10:11]
	global_store_dwordx2 v[0:1], v[2:3], off offset:128
	global_load_dwordx2 v[2:3], v[4:5], off offset:256
	v_pk_mul_f32 v[6:7], v[6:7], s[0:1] op_sel_hi:[0,1]
	v_pk_fma_f32 v[8:9], v[40:41], s[0:1], v[6:7] op_sel:[0,1,0] op_sel_hi:[1,0,1] neg_lo:[0,0,1] neg_hi:[0,0,1]
	v_pk_fma_f32 v[6:7], v[40:41], s[0:1], v[6:7] op_sel:[0,1,0] op_sel_hi:[0,0,1]
	v_mov_b32_e32 v9, v7
	s_waitcnt vmcnt(0)
	v_pk_mul_f32 v[6:7], v[2:3], s[2:3] op_sel_hi:[1,0]
	s_nop 0
	v_pk_fma_f32 v[10:11], v[2:3], s[6:7], v[6:7] op_sel:[0,0,1] op_sel_hi:[1,1,0] neg_lo:[0,0,1] neg_hi:[0,0,1]
	v_pk_fma_f32 v[2:3], v[2:3], s[6:7], v[6:7] op_sel:[0,0,1] op_sel_hi:[1,0,0]
	v_mov_b32_e32 v6, v58
	v_mov_b32_e32 v11, v3
	v_pk_add_f32 v[2:3], v[8:9], v[10:11]
	global_store_dwordx2 v[0:1], v[2:3], off offset:256
	global_load_dwordx2 v[2:3], v[4:5], off offset:384
	v_mul_f32_e32 v4, s1, v58
	s_mov_b32 s1, s7
	s_mov_b64 s[2:3], 0x180
	v_fma_f32 v8, -v59, s0, v4
	v_lshl_add_u64 v[4:5], v[0:1], 0, s[2:3]
	s_waitcnt vmcnt(0)
	v_mul_f32_e32 v9, s7, v3
	v_mov_b32_e32 v7, v2
	v_fma_f32 v9, v2, s6, -v9
	v_mov_b32_e32 v2, v59
	v_pk_mul_f32 v[2:3], v[2:3], s[10:11]
	v_add_f32_e32 v8, v8, v9
	v_pk_fma_f32 v[2:3], v[6:7], s[0:1], v[2:3]
	global_store_dword v[0:1], v8, off offset:384
	v_add_f32_e32 v6, v2, v3
.LBB89_7:
	global_store_dword v[4:5], v6, off offset:4
	s_endpgm
	.section	.rodata,"a",@progbits
	.p2align	6, 0x0
	.amdhsa_kernel _ZN12_GLOBAL__N_127rocblas_gemm_batched_kernelI19rocblas_complex_numIfELi16ELi16ELi64ELi64ELi4ELi64ELi4ELi4ELi64ELc78ELc78EKS2_S3_S2_EEvlllT_PT11_llS6_llS4_PT12_llPT13_lli
		.amdhsa_group_segment_fixed_size 4096
		.amdhsa_private_segment_fixed_size 0
		.amdhsa_kernarg_size 140
		.amdhsa_user_sgpr_count 2
		.amdhsa_user_sgpr_dispatch_ptr 0
		.amdhsa_user_sgpr_queue_ptr 0
		.amdhsa_user_sgpr_kernarg_segment_ptr 1
		.amdhsa_user_sgpr_dispatch_id 0
		.amdhsa_user_sgpr_kernarg_preload_length 0
		.amdhsa_user_sgpr_kernarg_preload_offset 0
		.amdhsa_user_sgpr_private_segment_size 0
		.amdhsa_uses_dynamic_stack 0
		.amdhsa_enable_private_segment 0
		.amdhsa_system_sgpr_workgroup_id_x 1
		.amdhsa_system_sgpr_workgroup_id_y 1
		.amdhsa_system_sgpr_workgroup_id_z 1
		.amdhsa_system_sgpr_workgroup_info 0
		.amdhsa_system_vgpr_workitem_id 1
		.amdhsa_next_free_vgpr 108
		.amdhsa_next_free_sgpr 28
		.amdhsa_accum_offset 108
		.amdhsa_reserve_vcc 1
		.amdhsa_float_round_mode_32 0
		.amdhsa_float_round_mode_16_64 0
		.amdhsa_float_denorm_mode_32 3
		.amdhsa_float_denorm_mode_16_64 3
		.amdhsa_dx10_clamp 1
		.amdhsa_ieee_mode 1
		.amdhsa_fp16_overflow 0
		.amdhsa_tg_split 0
		.amdhsa_exception_fp_ieee_invalid_op 0
		.amdhsa_exception_fp_denorm_src 0
		.amdhsa_exception_fp_ieee_div_zero 0
		.amdhsa_exception_fp_ieee_overflow 0
		.amdhsa_exception_fp_ieee_underflow 0
		.amdhsa_exception_fp_ieee_inexact 0
		.amdhsa_exception_int_div_zero 0
	.end_amdhsa_kernel
	.section	.text._ZN12_GLOBAL__N_127rocblas_gemm_batched_kernelI19rocblas_complex_numIfELi16ELi16ELi64ELi64ELi4ELi64ELi4ELi4ELi64ELc78ELc78EKS2_S3_S2_EEvlllT_PT11_llS6_llS4_PT12_llPT13_lli,"axG",@progbits,_ZN12_GLOBAL__N_127rocblas_gemm_batched_kernelI19rocblas_complex_numIfELi16ELi16ELi64ELi64ELi4ELi64ELi4ELi4ELi64ELc78ELc78EKS2_S3_S2_EEvlllT_PT11_llS6_llS4_PT12_llPT13_lli,comdat
.Lfunc_end89:
	.size	_ZN12_GLOBAL__N_127rocblas_gemm_batched_kernelI19rocblas_complex_numIfELi16ELi16ELi64ELi64ELi4ELi64ELi4ELi4ELi64ELc78ELc78EKS2_S3_S2_EEvlllT_PT11_llS6_llS4_PT12_llPT13_lli, .Lfunc_end89-_ZN12_GLOBAL__N_127rocblas_gemm_batched_kernelI19rocblas_complex_numIfELi16ELi16ELi64ELi64ELi4ELi64ELi4ELi4ELi64ELc78ELc78EKS2_S3_S2_EEvlllT_PT11_llS6_llS4_PT12_llPT13_lli
                                        ; -- End function
	.set _ZN12_GLOBAL__N_127rocblas_gemm_batched_kernelI19rocblas_complex_numIfELi16ELi16ELi64ELi64ELi4ELi64ELi4ELi4ELi64ELc78ELc78EKS2_S3_S2_EEvlllT_PT11_llS6_llS4_PT12_llPT13_lli.num_vgpr, 108
	.set _ZN12_GLOBAL__N_127rocblas_gemm_batched_kernelI19rocblas_complex_numIfELi16ELi16ELi64ELi64ELi4ELi64ELi4ELi4ELi64ELc78ELc78EKS2_S3_S2_EEvlllT_PT11_llS6_llS4_PT12_llPT13_lli.num_agpr, 0
	.set _ZN12_GLOBAL__N_127rocblas_gemm_batched_kernelI19rocblas_complex_numIfELi16ELi16ELi64ELi64ELi4ELi64ELi4ELi4ELi64ELc78ELc78EKS2_S3_S2_EEvlllT_PT11_llS6_llS4_PT12_llPT13_lli.numbered_sgpr, 28
	.set _ZN12_GLOBAL__N_127rocblas_gemm_batched_kernelI19rocblas_complex_numIfELi16ELi16ELi64ELi64ELi4ELi64ELi4ELi4ELi64ELc78ELc78EKS2_S3_S2_EEvlllT_PT11_llS6_llS4_PT12_llPT13_lli.num_named_barrier, 0
	.set _ZN12_GLOBAL__N_127rocblas_gemm_batched_kernelI19rocblas_complex_numIfELi16ELi16ELi64ELi64ELi4ELi64ELi4ELi4ELi64ELc78ELc78EKS2_S3_S2_EEvlllT_PT11_llS6_llS4_PT12_llPT13_lli.private_seg_size, 0
	.set _ZN12_GLOBAL__N_127rocblas_gemm_batched_kernelI19rocblas_complex_numIfELi16ELi16ELi64ELi64ELi4ELi64ELi4ELi4ELi64ELc78ELc78EKS2_S3_S2_EEvlllT_PT11_llS6_llS4_PT12_llPT13_lli.uses_vcc, 1
	.set _ZN12_GLOBAL__N_127rocblas_gemm_batched_kernelI19rocblas_complex_numIfELi16ELi16ELi64ELi64ELi4ELi64ELi4ELi4ELi64ELc78ELc78EKS2_S3_S2_EEvlllT_PT11_llS6_llS4_PT12_llPT13_lli.uses_flat_scratch, 0
	.set _ZN12_GLOBAL__N_127rocblas_gemm_batched_kernelI19rocblas_complex_numIfELi16ELi16ELi64ELi64ELi4ELi64ELi4ELi4ELi64ELc78ELc78EKS2_S3_S2_EEvlllT_PT11_llS6_llS4_PT12_llPT13_lli.has_dyn_sized_stack, 0
	.set _ZN12_GLOBAL__N_127rocblas_gemm_batched_kernelI19rocblas_complex_numIfELi16ELi16ELi64ELi64ELi4ELi64ELi4ELi4ELi64ELc78ELc78EKS2_S3_S2_EEvlllT_PT11_llS6_llS4_PT12_llPT13_lli.has_recursion, 0
	.set _ZN12_GLOBAL__N_127rocblas_gemm_batched_kernelI19rocblas_complex_numIfELi16ELi16ELi64ELi64ELi4ELi64ELi4ELi4ELi64ELc78ELc78EKS2_S3_S2_EEvlllT_PT11_llS6_llS4_PT12_llPT13_lli.has_indirect_call, 0
	.section	.AMDGPU.csdata,"",@progbits
; Kernel info:
; codeLenInByte = 5196
; TotalNumSgprs: 34
; NumVgprs: 108
; NumAgprs: 0
; TotalNumVgprs: 108
; ScratchSize: 0
; MemoryBound: 0
; FloatMode: 240
; IeeeMode: 1
; LDSByteSize: 4096 bytes/workgroup (compile time only)
; SGPRBlocks: 4
; VGPRBlocks: 13
; NumSGPRsForWavesPerEU: 34
; NumVGPRsForWavesPerEU: 108
; AccumOffset: 108
; Occupancy: 4
; WaveLimiterHint : 1
; COMPUTE_PGM_RSRC2:SCRATCH_EN: 0
; COMPUTE_PGM_RSRC2:USER_SGPR: 2
; COMPUTE_PGM_RSRC2:TRAP_HANDLER: 0
; COMPUTE_PGM_RSRC2:TGID_X_EN: 1
; COMPUTE_PGM_RSRC2:TGID_Y_EN: 1
; COMPUTE_PGM_RSRC2:TGID_Z_EN: 1
; COMPUTE_PGM_RSRC2:TIDIG_COMP_CNT: 1
; COMPUTE_PGM_RSRC3_GFX90A:ACCUM_OFFSET: 26
; COMPUTE_PGM_RSRC3_GFX90A:TG_SPLIT: 0
	.section	.text._ZN12_GLOBAL__N_127rocblas_gemm_batched_kernelI19rocblas_complex_numIfELi16ELi16ELi64ELi64ELi4ELi64ELi4ELi4ELi64ELc84ELc78EKS2_S3_S2_EEvlllT_PT11_llS6_llS4_PT12_llPT13_lli,"axG",@progbits,_ZN12_GLOBAL__N_127rocblas_gemm_batched_kernelI19rocblas_complex_numIfELi16ELi16ELi64ELi64ELi4ELi64ELi4ELi4ELi64ELc84ELc78EKS2_S3_S2_EEvlllT_PT11_llS6_llS4_PT12_llPT13_lli,comdat
	.globl	_ZN12_GLOBAL__N_127rocblas_gemm_batched_kernelI19rocblas_complex_numIfELi16ELi16ELi64ELi64ELi4ELi64ELi4ELi4ELi64ELc84ELc78EKS2_S3_S2_EEvlllT_PT11_llS6_llS4_PT12_llPT13_lli ; -- Begin function _ZN12_GLOBAL__N_127rocblas_gemm_batched_kernelI19rocblas_complex_numIfELi16ELi16ELi64ELi64ELi4ELi64ELi4ELi4ELi64ELc84ELc78EKS2_S3_S2_EEvlllT_PT11_llS6_llS4_PT12_llPT13_lli
	.p2align	8
	.type	_ZN12_GLOBAL__N_127rocblas_gemm_batched_kernelI19rocblas_complex_numIfELi16ELi16ELi64ELi64ELi4ELi64ELi4ELi4ELi64ELc84ELc78EKS2_S3_S2_EEvlllT_PT11_llS6_llS4_PT12_llPT13_lli,@function
_ZN12_GLOBAL__N_127rocblas_gemm_batched_kernelI19rocblas_complex_numIfELi16ELi16ELi64ELi64ELi4ELi64ELi4ELi4ELi64ELc84ELc78EKS2_S3_S2_EEvlllT_PT11_llS6_llS4_PT12_llPT13_lli: ; @_ZN12_GLOBAL__N_127rocblas_gemm_batched_kernelI19rocblas_complex_numIfELi16ELi16ELi64ELi64ELi4ELi64ELi4ELi4ELi64ELc84ELc78EKS2_S3_S2_EEvlllT_PT11_llS6_llS4_PT12_llPT13_lli
; %bb.0:
	s_load_dwordx16 s[8:23], s[0:1], 0x10
	s_load_dwordx2 s[6:7], s[0:1], 0x50
	s_mov_b32 s24, s3
	v_mov_b32_e32 v39, 0
	s_ashr_i32 s3, s2, 31
	s_ashr_i32 s25, s24, 31
	s_waitcnt lgkmcnt(0)
	v_cmp_lt_i64_e64 s[26:27], s[8:9], 1
	v_bfe_u32 v38, v0, 10, 10
	v_and_b32_e32 v36, 0x3ff, v0
	v_mov_b32_e32 v37, v39
	s_lshl_b64 s[2:3], s[2:3], 6
	s_lshl_b64 s[24:25], s[24:25], 6
	s_and_b64 vcc, exec, s[26:27]
	v_mov_b32_e32 v59, v39
	v_mov_b32_e32 v58, v39
	;; [unrolled: 1-line block ×32, first 2 shown]
	s_cbranch_vccnz .LBB90_3
; %bb.1:
	v_lshl_add_u32 v4, v38, 4, v36
	v_and_b32_e32 v2, 63, v4
	v_lshrrev_b32_e32 v40, 2, v4
	v_and_b32_e32 v5, 3, v36
	v_lshrrev_b32_e32 v6, 6, v4
	v_lshlrev_b32_e32 v4, 3, v2
	v_mov_b32_e32 v41, 0
	v_lshl_or_b32 v43, v6, 9, v4
	v_lshlrev_b32_e32 v4, 3, v5
	v_mov_b32_e32 v3, v41
	v_lshl_or_b32 v5, v40, 5, v4
	v_add_u32_e32 v45, 0x800, v5
	v_mov_b32_e32 v5, 0x800
	v_lshl_add_u64 v[2:3], s[2:3], 0, v[2:3]
	v_lshl_add_u32 v49, v38, 5, v5
	v_mul_lo_u32 v5, s15, v2
	v_mul_lo_u32 v7, s14, v3
	v_mad_u64_u32 v[2:3], s[14:15], s14, v2, 0
	s_mul_i32 s5, s17, s4
	s_mul_hi_u32 s14, s16, s4
	s_add_i32 s15, s14, s5
	s_mul_i32 s14, s16, s4
	v_add3_u32 v3, v3, v7, v5
	s_lshl_b64 s[14:15], s[14:15], 3
	v_lshl_add_u64 v[0:1], v[40:41], 0, s[24:25]
	v_lshl_add_u64 v[2:3], v[2:3], 3, s[14:15]
	v_lshlrev_b32_e32 v40, 3, v6
	v_lshl_add_u64 v[2:3], v[2:3], 0, v[40:41]
	v_lshl_add_u64 v[50:51], s[12:13], 0, v[2:3]
	v_mul_lo_u32 v2, s21, v0
	v_mul_lo_u32 v3, s20, v1
	v_mad_u64_u32 v[0:1], s[12:13], s20, v0, 0
	s_mul_i32 s5, s23, s4
	s_mul_hi_u32 s12, s22, s4
	s_add_i32 s13, s12, s5
	s_mul_i32 s12, s22, s4
	v_add3_u32 v1, v1, v3, v2
	s_lshl_b64 s[12:13], s[12:13], 3
	v_lshl_add_u64 v[0:1], v[0:1], 3, s[12:13]
	v_mov_b32_e32 v5, v41
	v_lshl_add_u64 v[0:1], v[0:1], 0, v[4:5]
	v_lshlrev_b32_e32 v47, 3, v36
	v_lshl_add_u64 v[52:53], s[18:19], 0, v[0:1]
	s_mov_b64 s[12:13], 0
	v_mov_b64_e32 v[54:55], s[8:9]
	v_mov_b32_e32 v40, v41
	v_mov_b32_e32 v44, v41
	;; [unrolled: 1-line block ×31, first 2 shown]
.LBB90_2:                               ; =>This Inner Loop Header: Depth=1
	global_load_dwordx2 v[0:1], v[50:51], off
	s_add_u32 s12, s12, 4
	s_addc_u32 s13, s13, 0
	v_cmp_lt_i64_e32 vcc, s[12:13], v[54:55]
	v_lshl_add_u64 v[50:51], v[50:51], 0, 32
	s_and_b64 vcc, exec, vcc
	s_waitcnt vmcnt(0)
	ds_write_b64 v43, v[0:1]
	global_load_dwordx2 v[0:1], v[52:53], off
	v_lshl_add_u64 v[52:53], v[52:53], 0, 32
	s_waitcnt vmcnt(0)
	ds_write_b64 v45, v[0:1]
	s_waitcnt lgkmcnt(0)
	s_barrier
	ds_read_b128 v[0:3], v49
	ds_read_b128 v[32:35], v49 offset:16
	ds_read2_b64 v[8:11], v47 offset1:16
	ds_read2_b64 v[12:15], v47 offset0:32 offset1:48
	s_waitcnt lgkmcnt(1)
	v_mul_f32_e32 v4, v1, v9
	v_fma_f32 v4, v0, v8, -v4
	v_mul_f32_e32 v5, v0, v9
	v_add_f32_e32 v20, v102, v4
	v_mul_f32_e32 v4, v1, v11
	v_fmac_f32_e32 v5, v1, v8
	v_fma_f32 v4, v0, v10, -v4
	v_add_f32_e32 v21, v104, v5
	v_mul_f32_e32 v5, v0, v11
	v_add_f32_e32 v22, v98, v4
	s_waitcnt lgkmcnt(0)
	v_mul_f32_e32 v4, v1, v13
	v_fmac_f32_e32 v5, v1, v10
	v_fma_f32 v4, v0, v12, -v4
	v_add_f32_e32 v23, v100, v5
	v_mul_f32_e32 v5, v0, v13
	v_add_f32_e32 v57, v94, v4
	v_mul_f32_e32 v4, v1, v15
	v_fmac_f32_e32 v5, v1, v12
	v_fma_f32 v4, v0, v14, -v4
	v_mul_f32_e32 v0, v0, v15
	v_add_f32_e32 v61, v96, v5
	v_fmac_f32_e32 v0, v1, v14
	v_add_f32_e32 v1, v90, v4
	ds_read_b128 v[4:7], v49 offset:512
	ds_read_b128 v[104:107], v49 offset:1040
	v_add_f32_e32 v0, v92, v0
	s_waitcnt lgkmcnt(1)
	v_mul_f32_e32 v16, v5, v9
	v_fma_f32 v16, v4, v8, -v16
	v_mul_f32_e32 v17, v4, v9
	v_add_f32_e32 v63, v86, v16
	v_mul_f32_e32 v16, v5, v11
	v_fmac_f32_e32 v17, v5, v8
	v_fma_f32 v16, v4, v10, -v16
	v_add_f32_e32 v65, v88, v17
	v_mul_f32_e32 v17, v4, v11
	v_add_f32_e32 v67, v82, v16
	v_mul_f32_e32 v16, v5, v13
	v_fmac_f32_e32 v17, v5, v10
	v_fma_f32 v16, v4, v12, -v16
	v_add_f32_e32 v69, v84, v17
	v_mul_f32_e32 v17, v4, v13
	v_add_f32_e32 v71, v78, v16
	v_mul_f32_e32 v16, v5, v15
	v_fmac_f32_e32 v17, v5, v12
	v_fma_f32 v16, v4, v14, -v16
	v_mul_f32_e32 v4, v4, v15
	v_add_f32_e32 v73, v80, v17
	v_fmac_f32_e32 v4, v5, v14
	v_add_f32_e32 v5, v74, v16
	ds_read_b128 v[16:19], v49 offset:1024
	v_add_f32_e32 v4, v76, v4
	s_waitcnt lgkmcnt(0)
	v_mul_f32_e32 v24, v17, v9
	v_fma_f32 v24, v16, v8, -v24
	v_mul_f32_e32 v25, v16, v9
	v_add_f32_e32 v70, v70, v24
	v_mul_f32_e32 v24, v17, v11
	v_fmac_f32_e32 v25, v17, v8
	v_fma_f32 v24, v16, v10, -v24
	v_add_f32_e32 v72, v72, v25
	v_mul_f32_e32 v25, v16, v11
	v_add_f32_e32 v66, v66, v24
	v_mul_f32_e32 v24, v17, v13
	v_fmac_f32_e32 v25, v17, v10
	v_fma_f32 v24, v16, v12, -v24
	v_add_f32_e32 v68, v68, v25
	v_mul_f32_e32 v25, v16, v13
	v_add_f32_e32 v62, v62, v24
	v_mul_f32_e32 v24, v17, v15
	v_fmac_f32_e32 v25, v17, v12
	v_fma_f32 v24, v16, v14, -v24
	v_mul_f32_e32 v16, v16, v15
	v_add_f32_e32 v64, v64, v25
	v_fmac_f32_e32 v16, v17, v14
	v_add_f32_e32 v17, v56, v24
	ds_read2_b64 v[24:27], v47 offset0:64 offset1:80
	v_add_f32_e32 v16, v60, v16
	s_waitcnt lgkmcnt(0)
	v_mul_f32_e32 v28, v3, v25
	v_mul_f32_e32 v29, v2, v25
	v_fma_f32 v28, v2, v24, -v28
	v_fmac_f32_e32 v29, v3, v24
	v_add_f32_e32 v20, v20, v28
	v_add_f32_e32 v21, v21, v29
	v_mul_f32_e32 v28, v3, v27
	v_mul_f32_e32 v29, v2, v27
	v_fma_f32 v28, v2, v26, -v28
	v_fmac_f32_e32 v29, v3, v26
	v_add_f32_e32 v22, v22, v28
	v_add_f32_e32 v23, v23, v29
	ds_read2_b64 v[28:31], v47 offset0:96 offset1:112
	s_waitcnt lgkmcnt(0)
	v_mul_f32_e32 v56, v3, v29
	v_mul_f32_e32 v60, v2, v29
	v_fma_f32 v56, v2, v28, -v56
	v_fmac_f32_e32 v60, v3, v28
	v_add_f32_e32 v56, v57, v56
	v_add_f32_e32 v57, v61, v60
	v_mul_f32_e32 v60, v3, v31
	v_fma_f32 v60, v2, v30, -v60
	v_mul_f32_e32 v2, v2, v31
	v_fmac_f32_e32 v2, v3, v30
	v_add_f32_e32 v60, v1, v60
	v_add_f32_e32 v61, v0, v2
	v_mul_f32_e32 v0, v7, v25
	v_mul_f32_e32 v1, v6, v25
	v_fma_f32 v0, v6, v24, -v0
	v_fmac_f32_e32 v1, v7, v24
	v_add_f32_e32 v74, v63, v0
	v_add_f32_e32 v65, v65, v1
	v_mul_f32_e32 v0, v7, v27
	v_mul_f32_e32 v1, v6, v27
	v_fma_f32 v0, v6, v26, -v0
	;; [unrolled: 6-line block ×6, first 2 shown]
	v_fmac_f32_e32 v1, v19, v26
	ds_read2_b64 v[4:7], v47 offset0:128 offset1:144
	v_add_f32_e32 v66, v66, v0
	v_add_f32_e32 v68, v68, v1
	v_mul_f32_e32 v0, v19, v29
	v_mul_f32_e32 v1, v18, v29
	v_fma_f32 v0, v18, v28, -v0
	v_fmac_f32_e32 v1, v19, v28
	v_add_f32_e32 v77, v62, v0
	v_add_f32_e32 v64, v64, v1
	v_mul_f32_e32 v0, v19, v31
	v_mul_f32_e32 v1, v18, v31
	v_fma_f32 v0, v18, v30, -v0
	v_fmac_f32_e32 v1, v19, v30
	v_add_f32_e32 v17, v17, v0
	v_add_f32_e32 v16, v16, v1
	s_waitcnt lgkmcnt(0)
	v_mul_f32_e32 v0, v33, v5
	v_mul_f32_e32 v1, v32, v5
	v_fma_f32 v0, v32, v4, -v0
	v_fmac_f32_e32 v1, v33, v4
	v_add_f32_e32 v18, v20, v0
	v_add_f32_e32 v19, v21, v1
	v_mul_f32_e32 v0, v33, v7
	v_mul_f32_e32 v1, v32, v7
	v_fma_f32 v0, v32, v6, -v0
	v_fmac_f32_e32 v1, v33, v6
	v_add_f32_e32 v78, v22, v0
	v_add_f32_e32 v79, v23, v1
	ds_read2_b64 v[0:3], v47 offset0:160 offset1:176
	s_waitcnt lgkmcnt(0)
	v_mul_f32_e32 v20, v33, v1
	v_mul_f32_e32 v21, v32, v1
	v_fma_f32 v20, v32, v0, -v20
	v_fmac_f32_e32 v21, v33, v0
	v_add_f32_e32 v56, v56, v20
	v_add_f32_e32 v57, v57, v21
	v_mul_f32_e32 v20, v33, v3
	v_mul_f32_e32 v21, v32, v3
	v_fma_f32 v20, v32, v2, -v20
	v_fmac_f32_e32 v21, v33, v2
	v_add_f32_e32 v32, v60, v20
	v_add_f32_e32 v33, v61, v21
	ds_read_b128 v[60:63], v49 offset:528
	s_waitcnt lgkmcnt(0)
	v_mul_f32_e32 v20, v61, v5
	v_mul_f32_e32 v21, v60, v5
	v_fma_f32 v20, v60, v4, -v20
	v_fmac_f32_e32 v21, v61, v4
	v_add_f32_e32 v74, v74, v20
	v_add_f32_e32 v65, v65, v21
	v_mul_f32_e32 v20, v61, v7
	v_mul_f32_e32 v21, v60, v7
	v_fma_f32 v20, v60, v6, -v20
	v_fmac_f32_e32 v21, v61, v6
	v_add_f32_e32 v67, v67, v20
	v_add_f32_e32 v69, v69, v21
	v_mul_f32_e32 v20, v61, v1
	v_mul_f32_e32 v21, v60, v1
	v_fma_f32 v20, v60, v0, -v20
	v_fmac_f32_e32 v21, v61, v0
	v_add_f32_e32 v71, v71, v20
	v_add_f32_e32 v73, v73, v21
	v_mul_f32_e32 v20, v61, v3
	v_mul_f32_e32 v21, v60, v3
	v_fma_f32 v20, v60, v2, -v20
	v_fmac_f32_e32 v21, v61, v2
	v_add_f32_e32 v60, v75, v20
	v_add_f32_e32 v61, v76, v21
	v_mul_f32_e32 v20, v105, v5
	v_mul_f32_e32 v21, v104, v5
	v_fma_f32 v20, v104, v4, -v20
	v_fmac_f32_e32 v21, v105, v4
	v_add_f32_e32 v70, v70, v20
	v_add_f32_e32 v72, v72, v21
	v_mul_f32_e32 v20, v105, v7
	v_mul_f32_e32 v21, v104, v7
	v_fma_f32 v20, v104, v6, -v20
	v_fmac_f32_e32 v21, v105, v6
	v_add_f32_e32 v66, v66, v20
	v_add_f32_e32 v68, v68, v21
	v_mul_f32_e32 v20, v105, v1
	v_mul_f32_e32 v21, v104, v1
	v_fma_f32 v20, v104, v0, -v20
	v_fmac_f32_e32 v21, v105, v0
	v_add_f32_e32 v75, v77, v20
	v_add_f32_e32 v64, v64, v21
	v_mul_f32_e32 v20, v105, v3
	v_mul_f32_e32 v21, v104, v3
	v_fma_f32 v20, v104, v2, -v20
	v_fmac_f32_e32 v21, v105, v2
	v_add_f32_e32 v77, v17, v20
	v_add_f32_e32 v81, v16, v21
	ds_read2_b64 v[20:23], v47 offset0:192 offset1:208
	s_waitcnt lgkmcnt(0)
	v_mul_f32_e32 v16, v35, v21
	v_mul_f32_e32 v17, v34, v21
	v_fma_f32 v16, v34, v20, -v16
	v_fmac_f32_e32 v17, v35, v20
	v_add_f32_e32 v102, v18, v16
	v_add_f32_e32 v104, v19, v17
	v_mul_f32_e32 v16, v35, v23
	v_mul_f32_e32 v17, v34, v23
	v_fma_f32 v16, v34, v22, -v16
	v_fmac_f32_e32 v17, v35, v22
	v_add_f32_e32 v98, v78, v16
	v_add_f32_e32 v100, v79, v17
	ds_read2_b64 v[16:19], v47 offset0:224 offset1:240
	s_waitcnt lgkmcnt(0)
	v_mul_f32_e32 v76, v35, v17
	v_fma_f32 v76, v34, v16, -v76
	v_add_f32_e32 v94, v56, v76
	v_mul_f32_e32 v56, v35, v19
	v_mul_f32_e32 v78, v34, v17
	v_fma_f32 v56, v34, v18, -v56
	v_mul_f32_e32 v34, v34, v19
	v_fmac_f32_e32 v34, v35, v18
	v_add_f32_e32 v90, v32, v56
	v_add_f32_e32 v92, v33, v34
	v_mul_f32_e32 v32, v63, v21
	v_mul_f32_e32 v33, v62, v21
	v_fma_f32 v32, v62, v20, -v32
	v_fmac_f32_e32 v33, v63, v20
	v_add_f32_e32 v86, v74, v32
	v_add_f32_e32 v88, v65, v33
	v_mul_f32_e32 v32, v63, v23
	v_mul_f32_e32 v33, v62, v23
	v_fma_f32 v32, v62, v22, -v32
	v_fmac_f32_e32 v33, v63, v22
	v_add_f32_e32 v82, v67, v32
	v_add_f32_e32 v84, v69, v33
	v_mul_f32_e32 v32, v63, v17
	v_mul_f32_e32 v33, v62, v17
	v_fmac_f32_e32 v78, v35, v16
	v_fma_f32 v32, v62, v16, -v32
	v_fmac_f32_e32 v33, v63, v16
	v_add_f32_e32 v96, v57, v78
	v_add_f32_e32 v78, v71, v32
	;; [unrolled: 1-line block ×3, first 2 shown]
	v_mul_f32_e32 v32, v63, v19
	v_mul_f32_e32 v33, v62, v19
	v_fma_f32 v32, v62, v18, -v32
	v_fmac_f32_e32 v33, v63, v18
	v_add_f32_e32 v74, v60, v32
	v_add_f32_e32 v76, v61, v33
	v_mul_f32_e32 v32, v107, v21
	v_mul_f32_e32 v33, v106, v21
	v_fma_f32 v32, v106, v20, -v32
	v_fmac_f32_e32 v33, v107, v20
	v_add_f32_e32 v70, v70, v32
	v_add_f32_e32 v72, v72, v33
	v_mul_f32_e32 v32, v107, v23
	v_mul_f32_e32 v33, v106, v23
	v_fma_f32 v32, v106, v22, -v32
	v_fmac_f32_e32 v33, v107, v22
	v_add_f32_e32 v66, v66, v32
	v_add_f32_e32 v68, v68, v33
	v_mul_f32_e32 v32, v107, v17
	v_mul_f32_e32 v33, v106, v17
	v_fma_f32 v32, v106, v16, -v32
	v_fmac_f32_e32 v33, v107, v16
	v_add_f32_e32 v62, v75, v32
	v_add_f32_e32 v64, v64, v33
	v_mul_f32_e32 v32, v107, v19
	v_mul_f32_e32 v33, v106, v19
	v_fma_f32 v32, v106, v18, -v32
	v_fmac_f32_e32 v33, v107, v18
	v_add_f32_e32 v56, v77, v32
	v_add_f32_e32 v60, v81, v33
	ds_read_b128 v[32:35], v49 offset:1536
	s_waitcnt lgkmcnt(0)
	v_mul_f32_e32 v57, v33, v9
	v_mul_f32_e32 v9, v32, v9
	v_fmac_f32_e32 v9, v33, v8
	v_fma_f32 v57, v32, v8, -v57
	v_add_f32_e32 v48, v48, v9
	v_mul_f32_e32 v8, v33, v11
	v_mul_f32_e32 v9, v32, v11
	v_fma_f32 v8, v32, v10, -v8
	v_fmac_f32_e32 v9, v33, v10
	v_add_f32_e32 v42, v42, v8
	v_add_f32_e32 v44, v44, v9
	v_mul_f32_e32 v8, v33, v13
	v_mul_f32_e32 v9, v32, v13
	v_fma_f32 v8, v32, v12, -v8
	v_fmac_f32_e32 v9, v33, v12
	v_add_f32_e32 v12, v40, v8
	v_add_f32_e32 v13, v41, v9
	v_pk_mul_f32 v[8:9], v[32:33], v[14:15] op_sel:[1,1] op_sel_hi:[0,1]
	v_pk_fma_f32 v[10:11], v[32:33], v[14:15], v[8:9] neg_lo:[0,0,1] neg_hi:[0,0,1]
	v_pk_fma_f32 v[8:9], v[32:33], v[14:15], v[8:9] op_sel_hi:[1,0,1]
	v_add_f32_e32 v46, v46, v57
	v_mov_b32_e32 v11, v9
	v_pk_add_f32 v[8:9], v[58:59], v[10:11]
	v_mul_f32_e32 v10, v35, v25
	v_mul_f32_e32 v11, v34, v25
	v_fma_f32 v10, v34, v24, -v10
	v_fmac_f32_e32 v11, v35, v24
	v_add_f32_e32 v32, v46, v10
	v_add_f32_e32 v33, v48, v11
	v_mul_f32_e32 v10, v35, v27
	v_mul_f32_e32 v11, v34, v27
	v_fma_f32 v10, v34, v26, -v10
	v_fmac_f32_e32 v11, v35, v26
	v_add_f32_e32 v24, v42, v10
	v_add_f32_e32 v25, v44, v11
	;; [unrolled: 6-line block ×3, first 2 shown]
	v_pk_mul_f32 v[10:11], v[34:35], v[30:31] op_sel:[1,1] op_sel_hi:[0,1]
	v_pk_fma_f32 v[12:13], v[34:35], v[30:31], v[10:11] neg_lo:[0,0,1] neg_hi:[0,0,1]
	v_pk_fma_f32 v[10:11], v[34:35], v[30:31], v[10:11] op_sel_hi:[1,0,1]
	s_nop 0
	v_mov_b32_e32 v13, v11
	v_pk_add_f32 v[12:13], v[8:9], v[12:13]
	ds_read_b128 v[8:11], v49 offset:1552
	s_waitcnt lgkmcnt(0)
	s_barrier
	v_mul_f32_e32 v26, v9, v5
	v_mul_f32_e32 v5, v8, v5
	v_fma_f32 v26, v8, v4, -v26
	v_fmac_f32_e32 v5, v9, v4
	v_mul_f32_e32 v4, v9, v7
	v_add_f32_e32 v27, v33, v5
	v_fma_f32 v4, v8, v6, -v4
	v_mul_f32_e32 v5, v8, v7
	v_fmac_f32_e32 v5, v9, v6
	v_add_f32_e32 v6, v24, v4
	v_mul_f32_e32 v4, v9, v1
	v_mul_f32_e32 v1, v8, v1
	v_fmac_f32_e32 v1, v9, v0
	v_fma_f32 v4, v8, v0, -v4
	v_add_f32_e32 v15, v15, v1
	v_pk_mul_f32 v[0:1], v[8:9], v[2:3] op_sel:[1,1] op_sel_hi:[0,1]
	v_add_f32_e32 v7, v25, v5
	v_add_f32_e32 v14, v14, v4
	v_pk_fma_f32 v[4:5], v[8:9], v[2:3], v[0:1] neg_lo:[0,0,1] neg_hi:[0,0,1]
	v_pk_fma_f32 v[0:1], v[8:9], v[2:3], v[0:1] op_sel_hi:[1,0,1]
	v_mul_f32_e32 v2, v11, v21
	v_mul_f32_e32 v3, v10, v21
	v_add_f32_e32 v26, v32, v26
	v_fma_f32 v2, v10, v20, -v2
	v_fmac_f32_e32 v3, v11, v20
	v_add_f32_e32 v46, v26, v2
	v_add_f32_e32 v48, v27, v3
	v_mul_f32_e32 v2, v11, v23
	v_mul_f32_e32 v3, v10, v23
	v_fma_f32 v2, v10, v22, -v2
	v_fmac_f32_e32 v3, v11, v22
	v_add_f32_e32 v42, v6, v2
	v_add_f32_e32 v44, v7, v3
	v_mul_f32_e32 v2, v11, v17
	v_mul_f32_e32 v3, v10, v17
	v_fma_f32 v2, v10, v16, -v2
	v_fmac_f32_e32 v3, v11, v16
	v_mov_b32_e32 v5, v1
	v_add_f32_e32 v40, v14, v2
	v_add_f32_e32 v41, v15, v3
	v_pk_mul_f32 v[2:3], v[10:11], v[18:19] op_sel:[1,1] op_sel_hi:[0,1]
	v_pk_add_f32 v[0:1], v[12:13], v[4:5]
	v_pk_fma_f32 v[4:5], v[10:11], v[18:19], v[2:3] neg_lo:[0,0,1] neg_hi:[0,0,1]
	v_pk_fma_f32 v[2:3], v[10:11], v[18:19], v[2:3] op_sel_hi:[1,0,1]
	s_nop 0
	v_mov_b32_e32 v5, v3
	v_pk_add_f32 v[58:59], v[0:1], v[4:5]
	s_cbranch_vccnz .LBB90_2
.LBB90_3:
	s_load_dwordx4 s[20:23], s[0:1], 0x78
	s_load_dwordx8 s[12:19], s[0:1], 0x58
	v_lshl_add_u64 v[2:3], s[24:25], 0, v[38:39]
	v_lshl_add_u64 v[0:1], s[2:3], 0, v[36:37]
	s_waitcnt lgkmcnt(0)
	s_mul_i32 s1, s23, s4
	s_mul_hi_u32 s5, s22, s4
	s_mul_i32 s0, s22, s4
	s_add_i32 s1, s5, s1
	s_lshl_b64 s[0:1], s[0:1], 3
	s_add_u32 s8, s18, s0
	s_addc_u32 s9, s19, s1
	s_or_b32 s0, s6, s7
	s_bitset0_b32 s0, 31
	s_cmp_lg_u32 s0, 0
	s_mov_b32 s0, s11
	s_mov_b32 s1, s10
	s_cbranch_scc1 .LBB90_5
; %bb.4:
	v_mul_lo_u32 v6, v3, s20
	v_mul_lo_u32 v7, v2, s21
	v_mad_u64_u32 v[4:5], s[2:3], v2, s20, 0
	v_add3_u32 v5, v5, v7, v6
	v_pk_mul_f32 v[6:7], v[104:105], s[0:1] op_sel_hi:[0,1]
	v_lshl_add_u64 v[4:5], v[4:5], 3, s[8:9]
	v_lshlrev_b64 v[8:9], 3, v[0:1]
	v_pk_fma_f32 v[12:13], v[102:103], s[0:1], v[6:7] op_sel:[0,1,0] op_sel_hi:[1,0,1] neg_lo:[0,0,1] neg_hi:[0,0,1]
	v_pk_fma_f32 v[6:7], v[102:103], s[0:1], v[6:7] op_sel:[0,1,0] op_sel_hi:[0,0,1]
	v_lshl_add_u64 v[10:11], v[4:5], 0, v[8:9]
	v_mov_b32_e32 v13, v7
	v_pk_mul_f32 v[6:7], v[100:101], s[0:1] op_sel_hi:[0,1]
	global_store_dwordx2 v[10:11], v[12:13], off
	v_pk_fma_f32 v[12:13], v[98:99], s[0:1], v[6:7] op_sel:[0,1,0] op_sel_hi:[1,0,1] neg_lo:[0,0,1] neg_hi:[0,0,1]
	v_pk_fma_f32 v[6:7], v[98:99], s[0:1], v[6:7] op_sel:[0,1,0] op_sel_hi:[0,0,1]
	v_mov_b32_e32 v13, v7
	v_pk_mul_f32 v[6:7], v[96:97], s[0:1] op_sel_hi:[0,1]
	global_store_dwordx2 v[10:11], v[12:13], off offset:128
	v_pk_fma_f32 v[12:13], v[94:95], s[0:1], v[6:7] op_sel:[0,1,0] op_sel_hi:[1,0,1] neg_lo:[0,0,1] neg_hi:[0,0,1]
	v_pk_fma_f32 v[6:7], v[94:95], s[0:1], v[6:7] op_sel:[0,1,0] op_sel_hi:[0,0,1]
	v_mov_b32_e32 v13, v7
	v_pk_mul_f32 v[6:7], v[92:93], s[0:1] op_sel_hi:[0,1]
	global_store_dwordx2 v[10:11], v[12:13], off offset:256
	v_pk_fma_f32 v[12:13], v[90:91], s[0:1], v[6:7] op_sel:[0,1,0] op_sel_hi:[1,0,1] neg_lo:[0,0,1] neg_hi:[0,0,1]
	v_pk_fma_f32 v[6:7], v[90:91], s[0:1], v[6:7] op_sel:[0,1,0] op_sel_hi:[0,0,1]
	v_mov_b32_e32 v13, v7
	s_lshl_b64 s[2:3], s[20:21], 7
	v_pk_mul_f32 v[6:7], v[88:89], s[0:1] op_sel_hi:[0,1]
	global_store_dwordx2 v[10:11], v[12:13], off offset:384
	v_lshl_add_u64 v[4:5], v[4:5], 0, s[2:3]
	v_pk_fma_f32 v[12:13], v[86:87], s[0:1], v[6:7] op_sel:[0,1,0] op_sel_hi:[1,0,1] neg_lo:[0,0,1] neg_hi:[0,0,1]
	v_pk_fma_f32 v[6:7], v[86:87], s[0:1], v[6:7] op_sel:[0,1,0] op_sel_hi:[0,0,1]
	v_lshl_add_u64 v[10:11], v[4:5], 0, v[8:9]
	v_mov_b32_e32 v13, v7
	v_pk_mul_f32 v[6:7], v[84:85], s[0:1] op_sel_hi:[0,1]
	global_store_dwordx2 v[10:11], v[12:13], off
	v_pk_fma_f32 v[12:13], v[82:83], s[0:1], v[6:7] op_sel:[0,1,0] op_sel_hi:[1,0,1] neg_lo:[0,0,1] neg_hi:[0,0,1]
	v_pk_fma_f32 v[6:7], v[82:83], s[0:1], v[6:7] op_sel:[0,1,0] op_sel_hi:[0,0,1]
	v_mov_b32_e32 v13, v7
	v_pk_mul_f32 v[6:7], v[80:81], s[0:1] op_sel_hi:[0,1]
	global_store_dwordx2 v[10:11], v[12:13], off offset:128
	v_pk_fma_f32 v[12:13], v[78:79], s[0:1], v[6:7] op_sel:[0,1,0] op_sel_hi:[1,0,1] neg_lo:[0,0,1] neg_hi:[0,0,1]
	v_pk_fma_f32 v[6:7], v[78:79], s[0:1], v[6:7] op_sel:[0,1,0] op_sel_hi:[0,0,1]
	v_mov_b32_e32 v13, v7
	v_pk_mul_f32 v[6:7], v[76:77], s[0:1] op_sel_hi:[0,1]
	global_store_dwordx2 v[10:11], v[12:13], off offset:256
	;; [unrolled: 5-line block ×3, first 2 shown]
	v_lshl_add_u64 v[4:5], v[4:5], 0, s[2:3]
	v_pk_fma_f32 v[12:13], v[70:71], s[0:1], v[6:7] op_sel:[0,1,0] op_sel_hi:[1,0,1] neg_lo:[0,0,1] neg_hi:[0,0,1]
	v_pk_fma_f32 v[6:7], v[70:71], s[0:1], v[6:7] op_sel:[0,1,0] op_sel_hi:[0,0,1]
	v_lshl_add_u64 v[10:11], v[4:5], 0, v[8:9]
	v_mov_b32_e32 v13, v7
	v_pk_mul_f32 v[6:7], v[68:69], s[0:1] op_sel_hi:[0,1]
	global_store_dwordx2 v[10:11], v[12:13], off
	v_pk_fma_f32 v[12:13], v[66:67], s[0:1], v[6:7] op_sel:[0,1,0] op_sel_hi:[1,0,1] neg_lo:[0,0,1] neg_hi:[0,0,1]
	v_pk_fma_f32 v[6:7], v[66:67], s[0:1], v[6:7] op_sel:[0,1,0] op_sel_hi:[0,0,1]
	v_mov_b32_e32 v13, v7
	v_pk_mul_f32 v[6:7], v[64:65], s[0:1] op_sel_hi:[0,1]
	global_store_dwordx2 v[10:11], v[12:13], off offset:128
	v_pk_fma_f32 v[12:13], v[62:63], s[0:1], v[6:7] op_sel:[0,1,0] op_sel_hi:[1,0,1] neg_lo:[0,0,1] neg_hi:[0,0,1]
	v_pk_fma_f32 v[6:7], v[62:63], s[0:1], v[6:7] op_sel:[0,1,0] op_sel_hi:[0,0,1]
	v_mov_b32_e32 v13, v7
	v_pk_mul_f32 v[6:7], v[60:61], s[0:1] op_sel_hi:[0,1]
	global_store_dwordx2 v[10:11], v[12:13], off offset:256
	v_pk_fma_f32 v[12:13], v[56:57], s[0:1], v[6:7] op_sel:[0,1,0] op_sel_hi:[1,0,1] neg_lo:[0,0,1] neg_hi:[0,0,1]
	v_pk_fma_f32 v[6:7], v[56:57], s[0:1], v[6:7] op_sel:[0,1,0] op_sel_hi:[0,0,1]
	v_mov_b32_e32 v13, v7
	v_lshl_add_u64 v[4:5], v[4:5], 0, s[2:3]
	v_pk_mul_f32 v[6:7], v[48:49], s[0:1] op_sel_hi:[0,1]
	v_lshl_add_u64 v[8:9], v[4:5], 0, v[8:9]
	v_pk_fma_f32 v[4:5], v[46:47], s[0:1], v[6:7] op_sel:[0,1,0] op_sel_hi:[1,0,1] neg_lo:[0,0,1] neg_hi:[0,0,1]
	v_pk_fma_f32 v[6:7], v[46:47], s[0:1], v[6:7] op_sel:[0,1,0] op_sel_hi:[0,0,1]
	v_mov_b32_e32 v5, v7
	global_store_dwordx2 v[10:11], v[12:13], off offset:384
	global_store_dwordx2 v[8:9], v[4:5], off
	v_pk_mul_f32 v[4:5], v[44:45], s[0:1] op_sel_hi:[0,1]
	v_pk_fma_f32 v[6:7], v[42:43], s[0:1], v[4:5] op_sel:[0,1,0] op_sel_hi:[1,0,1] neg_lo:[0,0,1] neg_hi:[0,0,1]
	v_pk_fma_f32 v[4:5], v[42:43], s[0:1], v[4:5] op_sel:[0,1,0] op_sel_hi:[0,0,1]
	v_mov_b32_e32 v4, v41
	v_mov_b32_e32 v7, v5
	v_pk_mul_f32 v[4:5], v[4:5], s[0:1] op_sel_hi:[0,1]
	global_store_dwordx2 v[8:9], v[6:7], off offset:128
	v_pk_fma_f32 v[6:7], v[40:41], s[0:1], v[4:5] op_sel:[0,1,0] op_sel_hi:[1,0,1] neg_lo:[0,0,1] neg_hi:[0,0,1]
	v_pk_fma_f32 v[4:5], v[40:41], s[0:1], v[4:5] op_sel:[0,1,0] op_sel_hi:[0,0,1]
	v_mov_b32_e32 v7, v5
	v_mul_f32_e32 v4, s1, v58
	global_store_dwordx2 v[8:9], v[6:7], off offset:256
	v_fma_f32 v7, -v59, s0, v4
	v_pk_mul_f32 v[4:5], v[58:59], s[0:1]
	s_mov_b64 s[2:3], 0x180
	v_add_f32_e32 v6, v4, v5
	v_lshl_add_u64 v[4:5], v[8:9], 0, s[2:3]
	global_store_dword v[8:9], v7, off offset:384
	s_cbranch_execz .LBB90_6
	s_branch .LBB90_7
.LBB90_5:
                                        ; implicit-def: $vgpr6
                                        ; implicit-def: $vgpr4_vgpr5
.LBB90_6:
	s_mul_i32 s2, s17, s4
	s_mul_hi_u32 s3, s16, s4
	s_add_i32 s3, s3, s2
	s_mul_i32 s2, s16, s4
	s_lshl_b64 s[2:3], s[2:3], 3
	s_add_u32 s2, s12, s2
	v_mul_lo_u32 v6, v3, s14
	v_mul_lo_u32 v7, v2, s15
	v_mad_u64_u32 v[4:5], s[4:5], v2, s14, 0
	s_addc_u32 s3, s13, s3
	v_add3_u32 v5, v5, v7, v6
	v_lshl_add_u64 v[4:5], v[4:5], 3, s[2:3]
	v_lshlrev_b64 v[0:1], 3, v[0:1]
	v_lshl_add_u64 v[6:7], v[4:5], 0, v[0:1]
	global_load_dwordx2 v[8:9], v[6:7], off
	v_mul_lo_u32 v12, v3, s20
	v_mul_lo_u32 v13, v2, s21
	v_mad_u64_u32 v[2:3], s[2:3], v2, s20, 0
	s_mov_b32 s2, s7
	v_pk_mul_f32 v[10:11], v[104:105], s[0:1] op_sel_hi:[0,1]
	v_add3_u32 v3, v3, v13, v12
	v_pk_fma_f32 v[12:13], v[102:103], s[0:1], v[10:11] op_sel:[0,1,0] op_sel_hi:[1,0,1] neg_lo:[0,0,1] neg_hi:[0,0,1]
	v_pk_fma_f32 v[10:11], v[102:103], s[0:1], v[10:11] op_sel:[0,1,0] op_sel_hi:[0,0,1]
	v_lshl_add_u64 v[2:3], v[2:3], 3, s[8:9]
	v_mov_b32_e32 v13, v11
	v_lshl_add_u64 v[10:11], v[2:3], 0, v[0:1]
	s_lshl_b64 s[4:5], s[14:15], 7
	v_lshl_add_u64 v[4:5], v[4:5], 0, s[4:5]
	s_lshl_b64 s[8:9], s[20:21], 7
	v_lshl_add_u64 v[2:3], v[2:3], 0, s[8:9]
	s_mov_b32 s11, s6
	s_waitcnt vmcnt(0)
	v_pk_mul_f32 v[14:15], v[8:9], s[2:3] op_sel_hi:[1,0]
	s_nop 0
	v_pk_fma_f32 v[16:17], v[8:9], s[6:7], v[14:15] op_sel:[0,0,1] op_sel_hi:[1,1,0] neg_lo:[0,0,1] neg_hi:[0,0,1]
	v_pk_fma_f32 v[8:9], v[8:9], s[6:7], v[14:15] op_sel:[0,0,1] op_sel_hi:[1,0,0]
	s_nop 0
	v_mov_b32_e32 v17, v9
	v_pk_add_f32 v[8:9], v[12:13], v[16:17]
	global_store_dwordx2 v[10:11], v[8:9], off
	global_load_dwordx2 v[8:9], v[6:7], off offset:128
	v_pk_mul_f32 v[12:13], v[100:101], s[0:1] op_sel_hi:[0,1]
	v_pk_fma_f32 v[14:15], v[98:99], s[0:1], v[12:13] op_sel:[0,1,0] op_sel_hi:[1,0,1] neg_lo:[0,0,1] neg_hi:[0,0,1]
	v_pk_fma_f32 v[12:13], v[98:99], s[0:1], v[12:13] op_sel:[0,1,0] op_sel_hi:[0,0,1]
	v_mov_b32_e32 v15, v13
	s_waitcnt vmcnt(0)
	v_pk_mul_f32 v[12:13], v[8:9], s[2:3] op_sel_hi:[1,0]
	s_nop 0
	v_pk_fma_f32 v[16:17], v[8:9], s[6:7], v[12:13] op_sel:[0,0,1] op_sel_hi:[1,1,0] neg_lo:[0,0,1] neg_hi:[0,0,1]
	v_pk_fma_f32 v[8:9], v[8:9], s[6:7], v[12:13] op_sel:[0,0,1] op_sel_hi:[1,0,0]
	v_pk_mul_f32 v[12:13], v[96:97], s[0:1] op_sel_hi:[0,1]
	v_mov_b32_e32 v17, v9
	v_pk_add_f32 v[8:9], v[14:15], v[16:17]
	global_store_dwordx2 v[10:11], v[8:9], off offset:128
	global_load_dwordx2 v[8:9], v[6:7], off offset:256
	v_pk_fma_f32 v[14:15], v[94:95], s[0:1], v[12:13] op_sel:[0,1,0] op_sel_hi:[1,0,1] neg_lo:[0,0,1] neg_hi:[0,0,1]
	v_pk_fma_f32 v[12:13], v[94:95], s[0:1], v[12:13] op_sel:[0,1,0] op_sel_hi:[0,0,1]
	v_mov_b32_e32 v15, v13
	s_waitcnt vmcnt(0)
	v_pk_mul_f32 v[12:13], v[8:9], s[2:3] op_sel_hi:[1,0]
	s_nop 0
	v_pk_fma_f32 v[16:17], v[8:9], s[6:7], v[12:13] op_sel:[0,0,1] op_sel_hi:[1,1,0] neg_lo:[0,0,1] neg_hi:[0,0,1]
	v_pk_fma_f32 v[8:9], v[8:9], s[6:7], v[12:13] op_sel:[0,0,1] op_sel_hi:[1,0,0]
	s_nop 0
	v_mov_b32_e32 v17, v9
	v_pk_add_f32 v[8:9], v[14:15], v[16:17]
	global_store_dwordx2 v[10:11], v[8:9], off offset:256
	global_load_dwordx2 v[6:7], v[6:7], off offset:384
	v_pk_mul_f32 v[8:9], v[92:93], s[0:1] op_sel_hi:[0,1]
	v_pk_fma_f32 v[12:13], v[90:91], s[0:1], v[8:9] op_sel:[0,1,0] op_sel_hi:[1,0,1] neg_lo:[0,0,1] neg_hi:[0,0,1]
	v_pk_fma_f32 v[8:9], v[90:91], s[0:1], v[8:9] op_sel:[0,1,0] op_sel_hi:[0,0,1]
	v_mov_b32_e32 v13, v9
	v_lshl_add_u64 v[8:9], v[4:5], 0, v[0:1]
	v_lshl_add_u64 v[4:5], v[4:5], 0, s[4:5]
	s_waitcnt vmcnt(0)
	v_pk_mul_f32 v[14:15], v[6:7], s[2:3] op_sel_hi:[1,0]
	s_nop 0
	v_pk_fma_f32 v[16:17], v[6:7], s[6:7], v[14:15] op_sel:[0,0,1] op_sel_hi:[1,1,0] neg_lo:[0,0,1] neg_hi:[0,0,1]
	v_pk_fma_f32 v[6:7], v[6:7], s[6:7], v[14:15] op_sel:[0,0,1] op_sel_hi:[1,0,0]
	s_nop 0
	v_mov_b32_e32 v17, v7
	v_pk_add_f32 v[6:7], v[12:13], v[16:17]
	global_store_dwordx2 v[10:11], v[6:7], off offset:384
	global_load_dwordx2 v[6:7], v[8:9], off
	v_pk_mul_f32 v[10:11], v[88:89], s[0:1] op_sel_hi:[0,1]
	v_pk_fma_f32 v[12:13], v[86:87], s[0:1], v[10:11] op_sel:[0,1,0] op_sel_hi:[1,0,1] neg_lo:[0,0,1] neg_hi:[0,0,1]
	v_pk_fma_f32 v[10:11], v[86:87], s[0:1], v[10:11] op_sel:[0,1,0] op_sel_hi:[0,0,1]
	v_mov_b32_e32 v13, v11
	v_lshl_add_u64 v[10:11], v[2:3], 0, v[0:1]
	v_lshl_add_u64 v[2:3], v[2:3], 0, s[8:9]
	s_waitcnt vmcnt(0)
	v_pk_mul_f32 v[14:15], v[6:7], s[2:3] op_sel_hi:[1,0]
	s_nop 0
	v_pk_fma_f32 v[16:17], v[6:7], s[6:7], v[14:15] op_sel:[0,0,1] op_sel_hi:[1,1,0] neg_lo:[0,0,1] neg_hi:[0,0,1]
	v_pk_fma_f32 v[6:7], v[6:7], s[6:7], v[14:15] op_sel:[0,0,1] op_sel_hi:[1,0,0]
	s_nop 0
	v_mov_b32_e32 v17, v7
	v_pk_add_f32 v[6:7], v[12:13], v[16:17]
	global_store_dwordx2 v[10:11], v[6:7], off
	global_load_dwordx2 v[6:7], v[8:9], off offset:128
	v_pk_mul_f32 v[12:13], v[84:85], s[0:1] op_sel_hi:[0,1]
	v_pk_fma_f32 v[14:15], v[82:83], s[0:1], v[12:13] op_sel:[0,1,0] op_sel_hi:[1,0,1] neg_lo:[0,0,1] neg_hi:[0,0,1]
	v_pk_fma_f32 v[12:13], v[82:83], s[0:1], v[12:13] op_sel:[0,1,0] op_sel_hi:[0,0,1]
	v_mov_b32_e32 v15, v13
	s_waitcnt vmcnt(0)
	v_pk_mul_f32 v[12:13], v[6:7], s[2:3] op_sel_hi:[1,0]
	s_nop 0
	v_pk_fma_f32 v[16:17], v[6:7], s[6:7], v[12:13] op_sel:[0,0,1] op_sel_hi:[1,1,0] neg_lo:[0,0,1] neg_hi:[0,0,1]
	v_pk_fma_f32 v[6:7], v[6:7], s[6:7], v[12:13] op_sel:[0,0,1] op_sel_hi:[1,0,0]
	v_pk_mul_f32 v[12:13], v[80:81], s[0:1] op_sel_hi:[0,1]
	v_mov_b32_e32 v17, v7
	v_pk_add_f32 v[6:7], v[14:15], v[16:17]
	global_store_dwordx2 v[10:11], v[6:7], off offset:128
	global_load_dwordx2 v[6:7], v[8:9], off offset:256
	v_pk_fma_f32 v[14:15], v[78:79], s[0:1], v[12:13] op_sel:[0,1,0] op_sel_hi:[1,0,1] neg_lo:[0,0,1] neg_hi:[0,0,1]
	v_pk_fma_f32 v[12:13], v[78:79], s[0:1], v[12:13] op_sel:[0,1,0] op_sel_hi:[0,0,1]
	v_mov_b32_e32 v15, v13
	s_waitcnt vmcnt(0)
	v_pk_mul_f32 v[12:13], v[6:7], s[2:3] op_sel_hi:[1,0]
	s_nop 0
	v_pk_fma_f32 v[16:17], v[6:7], s[6:7], v[12:13] op_sel:[0,0,1] op_sel_hi:[1,1,0] neg_lo:[0,0,1] neg_hi:[0,0,1]
	v_pk_fma_f32 v[6:7], v[6:7], s[6:7], v[12:13] op_sel:[0,0,1] op_sel_hi:[1,0,0]
	s_nop 0
	v_mov_b32_e32 v17, v7
	v_pk_add_f32 v[6:7], v[14:15], v[16:17]
	global_store_dwordx2 v[10:11], v[6:7], off offset:256
	global_load_dwordx2 v[6:7], v[8:9], off offset:384
	v_pk_mul_f32 v[8:9], v[76:77], s[0:1] op_sel_hi:[0,1]
	v_pk_fma_f32 v[12:13], v[74:75], s[0:1], v[8:9] op_sel:[0,1,0] op_sel_hi:[1,0,1] neg_lo:[0,0,1] neg_hi:[0,0,1]
	v_pk_fma_f32 v[8:9], v[74:75], s[0:1], v[8:9] op_sel:[0,1,0] op_sel_hi:[0,0,1]
	v_mov_b32_e32 v13, v9
	v_lshl_add_u64 v[8:9], v[4:5], 0, v[0:1]
	v_lshl_add_u64 v[4:5], v[4:5], 0, s[4:5]
	;; [unrolled: 1-line block ×3, first 2 shown]
	s_waitcnt vmcnt(0)
	v_pk_mul_f32 v[14:15], v[6:7], s[2:3] op_sel_hi:[1,0]
	s_nop 0
	v_pk_fma_f32 v[16:17], v[6:7], s[6:7], v[14:15] op_sel:[0,0,1] op_sel_hi:[1,1,0] neg_lo:[0,0,1] neg_hi:[0,0,1]
	v_pk_fma_f32 v[6:7], v[6:7], s[6:7], v[14:15] op_sel:[0,0,1] op_sel_hi:[1,0,0]
	s_nop 0
	v_mov_b32_e32 v17, v7
	v_pk_add_f32 v[6:7], v[12:13], v[16:17]
	global_store_dwordx2 v[10:11], v[6:7], off offset:384
	global_load_dwordx2 v[6:7], v[8:9], off
	v_pk_mul_f32 v[10:11], v[72:73], s[0:1] op_sel_hi:[0,1]
	v_pk_fma_f32 v[12:13], v[70:71], s[0:1], v[10:11] op_sel:[0,1,0] op_sel_hi:[1,0,1] neg_lo:[0,0,1] neg_hi:[0,0,1]
	v_pk_fma_f32 v[10:11], v[70:71], s[0:1], v[10:11] op_sel:[0,1,0] op_sel_hi:[0,0,1]
	v_mov_b32_e32 v13, v11
	v_lshl_add_u64 v[10:11], v[2:3], 0, v[0:1]
	v_lshl_add_u64 v[2:3], v[2:3], 0, s[8:9]
	;; [unrolled: 1-line block ×3, first 2 shown]
	s_waitcnt vmcnt(0)
	v_pk_mul_f32 v[14:15], v[6:7], s[2:3] op_sel_hi:[1,0]
	s_nop 0
	v_pk_fma_f32 v[16:17], v[6:7], s[6:7], v[14:15] op_sel:[0,0,1] op_sel_hi:[1,1,0] neg_lo:[0,0,1] neg_hi:[0,0,1]
	v_pk_fma_f32 v[6:7], v[6:7], s[6:7], v[14:15] op_sel:[0,0,1] op_sel_hi:[1,0,0]
	s_nop 0
	v_mov_b32_e32 v17, v7
	v_pk_add_f32 v[6:7], v[12:13], v[16:17]
	global_store_dwordx2 v[10:11], v[6:7], off
	global_load_dwordx2 v[6:7], v[8:9], off offset:128
	v_pk_mul_f32 v[12:13], v[68:69], s[0:1] op_sel_hi:[0,1]
	v_pk_fma_f32 v[14:15], v[66:67], s[0:1], v[12:13] op_sel:[0,1,0] op_sel_hi:[1,0,1] neg_lo:[0,0,1] neg_hi:[0,0,1]
	v_pk_fma_f32 v[12:13], v[66:67], s[0:1], v[12:13] op_sel:[0,1,0] op_sel_hi:[0,0,1]
	v_mov_b32_e32 v15, v13
	s_waitcnt vmcnt(0)
	v_pk_mul_f32 v[12:13], v[6:7], s[2:3] op_sel_hi:[1,0]
	s_nop 0
	v_pk_fma_f32 v[16:17], v[6:7], s[6:7], v[12:13] op_sel:[0,0,1] op_sel_hi:[1,1,0] neg_lo:[0,0,1] neg_hi:[0,0,1]
	v_pk_fma_f32 v[6:7], v[6:7], s[6:7], v[12:13] op_sel:[0,0,1] op_sel_hi:[1,0,0]
	v_pk_mul_f32 v[12:13], v[64:65], s[0:1] op_sel_hi:[0,1]
	v_mov_b32_e32 v17, v7
	v_pk_add_f32 v[6:7], v[14:15], v[16:17]
	global_store_dwordx2 v[10:11], v[6:7], off offset:128
	global_load_dwordx2 v[6:7], v[8:9], off offset:256
	v_pk_fma_f32 v[14:15], v[62:63], s[0:1], v[12:13] op_sel:[0,1,0] op_sel_hi:[1,0,1] neg_lo:[0,0,1] neg_hi:[0,0,1]
	v_pk_fma_f32 v[12:13], v[62:63], s[0:1], v[12:13] op_sel:[0,1,0] op_sel_hi:[0,0,1]
	v_mov_b32_e32 v15, v13
	s_waitcnt vmcnt(0)
	v_pk_mul_f32 v[12:13], v[6:7], s[2:3] op_sel_hi:[1,0]
	s_nop 0
	v_pk_fma_f32 v[16:17], v[6:7], s[6:7], v[12:13] op_sel:[0,0,1] op_sel_hi:[1,1,0] neg_lo:[0,0,1] neg_hi:[0,0,1]
	v_pk_fma_f32 v[6:7], v[6:7], s[6:7], v[12:13] op_sel:[0,0,1] op_sel_hi:[1,0,0]
	s_nop 0
	v_mov_b32_e32 v17, v7
	v_pk_add_f32 v[6:7], v[14:15], v[16:17]
	global_store_dwordx2 v[10:11], v[6:7], off offset:256
	global_load_dwordx2 v[6:7], v[8:9], off offset:384
	v_pk_mul_f32 v[8:9], v[60:61], s[0:1] op_sel_hi:[0,1]
	v_pk_fma_f32 v[12:13], v[56:57], s[0:1], v[8:9] op_sel:[0,1,0] op_sel_hi:[1,0,1] neg_lo:[0,0,1] neg_hi:[0,0,1]
	v_pk_fma_f32 v[8:9], v[56:57], s[0:1], v[8:9] op_sel:[0,1,0] op_sel_hi:[0,0,1]
	v_mov_b32_e32 v13, v9
	s_waitcnt vmcnt(0)
	v_pk_mul_f32 v[8:9], v[6:7], s[2:3] op_sel_hi:[1,0]
	s_nop 0
	v_pk_fma_f32 v[14:15], v[6:7], s[6:7], v[8:9] op_sel:[0,0,1] op_sel_hi:[1,1,0] neg_lo:[0,0,1] neg_hi:[0,0,1]
	v_pk_fma_f32 v[6:7], v[6:7], s[6:7], v[8:9] op_sel:[0,0,1] op_sel_hi:[1,0,0]
	v_pk_mul_f32 v[8:9], v[48:49], s[0:1] op_sel_hi:[0,1]
	v_mov_b32_e32 v15, v7
	v_pk_add_f32 v[6:7], v[12:13], v[14:15]
	global_store_dwordx2 v[10:11], v[6:7], off offset:384
	global_load_dwordx2 v[6:7], v[4:5], off
	v_pk_fma_f32 v[10:11], v[46:47], s[0:1], v[8:9] op_sel:[0,1,0] op_sel_hi:[1,0,1] neg_lo:[0,0,1] neg_hi:[0,0,1]
	v_pk_fma_f32 v[8:9], v[46:47], s[0:1], v[8:9] op_sel:[0,1,0] op_sel_hi:[0,0,1]
	v_mov_b32_e32 v11, v9
	s_waitcnt vmcnt(0)
	v_pk_mul_f32 v[2:3], v[6:7], s[2:3] op_sel_hi:[1,0]
	s_nop 0
	v_pk_fma_f32 v[8:9], v[6:7], s[6:7], v[2:3] op_sel:[0,0,1] op_sel_hi:[1,1,0] neg_lo:[0,0,1] neg_hi:[0,0,1]
	v_pk_fma_f32 v[2:3], v[6:7], s[6:7], v[2:3] op_sel:[0,0,1] op_sel_hi:[1,0,0]
	v_pk_mul_f32 v[6:7], v[44:45], s[0:1] op_sel_hi:[0,1]
	v_mov_b32_e32 v9, v3
	v_pk_add_f32 v[2:3], v[10:11], v[8:9]
	global_store_dwordx2 v[0:1], v[2:3], off
	global_load_dwordx2 v[2:3], v[4:5], off offset:128
	v_pk_fma_f32 v[8:9], v[42:43], s[0:1], v[6:7] op_sel:[0,1,0] op_sel_hi:[1,0,1] neg_lo:[0,0,1] neg_hi:[0,0,1]
	v_pk_fma_f32 v[6:7], v[42:43], s[0:1], v[6:7] op_sel:[0,1,0] op_sel_hi:[0,0,1]
	v_mov_b32_e32 v9, v7
	s_waitcnt vmcnt(0)
	v_pk_mul_f32 v[6:7], v[2:3], s[2:3] op_sel_hi:[1,0]
	s_nop 0
	v_pk_fma_f32 v[10:11], v[2:3], s[6:7], v[6:7] op_sel:[0,0,1] op_sel_hi:[1,1,0] neg_lo:[0,0,1] neg_hi:[0,0,1]
	v_pk_fma_f32 v[2:3], v[2:3], s[6:7], v[6:7] op_sel:[0,0,1] op_sel_hi:[1,0,0]
	v_mov_b32_e32 v6, v41
	v_mov_b32_e32 v11, v3
	v_pk_add_f32 v[2:3], v[8:9], v[10:11]
	global_store_dwordx2 v[0:1], v[2:3], off offset:128
	global_load_dwordx2 v[2:3], v[4:5], off offset:256
	v_pk_mul_f32 v[6:7], v[6:7], s[0:1] op_sel_hi:[0,1]
	v_pk_fma_f32 v[8:9], v[40:41], s[0:1], v[6:7] op_sel:[0,1,0] op_sel_hi:[1,0,1] neg_lo:[0,0,1] neg_hi:[0,0,1]
	v_pk_fma_f32 v[6:7], v[40:41], s[0:1], v[6:7] op_sel:[0,1,0] op_sel_hi:[0,0,1]
	v_mov_b32_e32 v9, v7
	s_waitcnt vmcnt(0)
	v_pk_mul_f32 v[6:7], v[2:3], s[2:3] op_sel_hi:[1,0]
	s_nop 0
	v_pk_fma_f32 v[10:11], v[2:3], s[6:7], v[6:7] op_sel:[0,0,1] op_sel_hi:[1,1,0] neg_lo:[0,0,1] neg_hi:[0,0,1]
	v_pk_fma_f32 v[2:3], v[2:3], s[6:7], v[6:7] op_sel:[0,0,1] op_sel_hi:[1,0,0]
	v_mov_b32_e32 v6, v58
	v_mov_b32_e32 v11, v3
	v_pk_add_f32 v[2:3], v[8:9], v[10:11]
	global_store_dwordx2 v[0:1], v[2:3], off offset:256
	global_load_dwordx2 v[2:3], v[4:5], off offset:384
	v_mul_f32_e32 v4, s1, v58
	s_mov_b32 s1, s7
	s_mov_b64 s[2:3], 0x180
	v_fma_f32 v8, -v59, s0, v4
	v_lshl_add_u64 v[4:5], v[0:1], 0, s[2:3]
	s_waitcnt vmcnt(0)
	v_mul_f32_e32 v9, s7, v3
	v_mov_b32_e32 v7, v2
	v_fma_f32 v9, v2, s6, -v9
	v_mov_b32_e32 v2, v59
	v_pk_mul_f32 v[2:3], v[2:3], s[10:11]
	v_add_f32_e32 v8, v8, v9
	v_pk_fma_f32 v[2:3], v[6:7], s[0:1], v[2:3]
	global_store_dword v[0:1], v8, off offset:384
	v_add_f32_e32 v6, v2, v3
.LBB90_7:
	global_store_dword v[4:5], v6, off offset:4
	s_endpgm
	.section	.rodata,"a",@progbits
	.p2align	6, 0x0
	.amdhsa_kernel _ZN12_GLOBAL__N_127rocblas_gemm_batched_kernelI19rocblas_complex_numIfELi16ELi16ELi64ELi64ELi4ELi64ELi4ELi4ELi64ELc84ELc78EKS2_S3_S2_EEvlllT_PT11_llS6_llS4_PT12_llPT13_lli
		.amdhsa_group_segment_fixed_size 4096
		.amdhsa_private_segment_fixed_size 0
		.amdhsa_kernarg_size 140
		.amdhsa_user_sgpr_count 2
		.amdhsa_user_sgpr_dispatch_ptr 0
		.amdhsa_user_sgpr_queue_ptr 0
		.amdhsa_user_sgpr_kernarg_segment_ptr 1
		.amdhsa_user_sgpr_dispatch_id 0
		.amdhsa_user_sgpr_kernarg_preload_length 0
		.amdhsa_user_sgpr_kernarg_preload_offset 0
		.amdhsa_user_sgpr_private_segment_size 0
		.amdhsa_uses_dynamic_stack 0
		.amdhsa_enable_private_segment 0
		.amdhsa_system_sgpr_workgroup_id_x 1
		.amdhsa_system_sgpr_workgroup_id_y 1
		.amdhsa_system_sgpr_workgroup_id_z 1
		.amdhsa_system_sgpr_workgroup_info 0
		.amdhsa_system_vgpr_workitem_id 1
		.amdhsa_next_free_vgpr 108
		.amdhsa_next_free_sgpr 28
		.amdhsa_accum_offset 108
		.amdhsa_reserve_vcc 1
		.amdhsa_float_round_mode_32 0
		.amdhsa_float_round_mode_16_64 0
		.amdhsa_float_denorm_mode_32 3
		.amdhsa_float_denorm_mode_16_64 3
		.amdhsa_dx10_clamp 1
		.amdhsa_ieee_mode 1
		.amdhsa_fp16_overflow 0
		.amdhsa_tg_split 0
		.amdhsa_exception_fp_ieee_invalid_op 0
		.amdhsa_exception_fp_denorm_src 0
		.amdhsa_exception_fp_ieee_div_zero 0
		.amdhsa_exception_fp_ieee_overflow 0
		.amdhsa_exception_fp_ieee_underflow 0
		.amdhsa_exception_fp_ieee_inexact 0
		.amdhsa_exception_int_div_zero 0
	.end_amdhsa_kernel
	.section	.text._ZN12_GLOBAL__N_127rocblas_gemm_batched_kernelI19rocblas_complex_numIfELi16ELi16ELi64ELi64ELi4ELi64ELi4ELi4ELi64ELc84ELc78EKS2_S3_S2_EEvlllT_PT11_llS6_llS4_PT12_llPT13_lli,"axG",@progbits,_ZN12_GLOBAL__N_127rocblas_gemm_batched_kernelI19rocblas_complex_numIfELi16ELi16ELi64ELi64ELi4ELi64ELi4ELi4ELi64ELc84ELc78EKS2_S3_S2_EEvlllT_PT11_llS6_llS4_PT12_llPT13_lli,comdat
.Lfunc_end90:
	.size	_ZN12_GLOBAL__N_127rocblas_gemm_batched_kernelI19rocblas_complex_numIfELi16ELi16ELi64ELi64ELi4ELi64ELi4ELi4ELi64ELc84ELc78EKS2_S3_S2_EEvlllT_PT11_llS6_llS4_PT12_llPT13_lli, .Lfunc_end90-_ZN12_GLOBAL__N_127rocblas_gemm_batched_kernelI19rocblas_complex_numIfELi16ELi16ELi64ELi64ELi4ELi64ELi4ELi4ELi64ELc84ELc78EKS2_S3_S2_EEvlllT_PT11_llS6_llS4_PT12_llPT13_lli
                                        ; -- End function
	.set _ZN12_GLOBAL__N_127rocblas_gemm_batched_kernelI19rocblas_complex_numIfELi16ELi16ELi64ELi64ELi4ELi64ELi4ELi4ELi64ELc84ELc78EKS2_S3_S2_EEvlllT_PT11_llS6_llS4_PT12_llPT13_lli.num_vgpr, 108
	.set _ZN12_GLOBAL__N_127rocblas_gemm_batched_kernelI19rocblas_complex_numIfELi16ELi16ELi64ELi64ELi4ELi64ELi4ELi4ELi64ELc84ELc78EKS2_S3_S2_EEvlllT_PT11_llS6_llS4_PT12_llPT13_lli.num_agpr, 0
	.set _ZN12_GLOBAL__N_127rocblas_gemm_batched_kernelI19rocblas_complex_numIfELi16ELi16ELi64ELi64ELi4ELi64ELi4ELi4ELi64ELc84ELc78EKS2_S3_S2_EEvlllT_PT11_llS6_llS4_PT12_llPT13_lli.numbered_sgpr, 28
	.set _ZN12_GLOBAL__N_127rocblas_gemm_batched_kernelI19rocblas_complex_numIfELi16ELi16ELi64ELi64ELi4ELi64ELi4ELi4ELi64ELc84ELc78EKS2_S3_S2_EEvlllT_PT11_llS6_llS4_PT12_llPT13_lli.num_named_barrier, 0
	.set _ZN12_GLOBAL__N_127rocblas_gemm_batched_kernelI19rocblas_complex_numIfELi16ELi16ELi64ELi64ELi4ELi64ELi4ELi4ELi64ELc84ELc78EKS2_S3_S2_EEvlllT_PT11_llS6_llS4_PT12_llPT13_lli.private_seg_size, 0
	.set _ZN12_GLOBAL__N_127rocblas_gemm_batched_kernelI19rocblas_complex_numIfELi16ELi16ELi64ELi64ELi4ELi64ELi4ELi4ELi64ELc84ELc78EKS2_S3_S2_EEvlllT_PT11_llS6_llS4_PT12_llPT13_lli.uses_vcc, 1
	.set _ZN12_GLOBAL__N_127rocblas_gemm_batched_kernelI19rocblas_complex_numIfELi16ELi16ELi64ELi64ELi4ELi64ELi4ELi4ELi64ELc84ELc78EKS2_S3_S2_EEvlllT_PT11_llS6_llS4_PT12_llPT13_lli.uses_flat_scratch, 0
	.set _ZN12_GLOBAL__N_127rocblas_gemm_batched_kernelI19rocblas_complex_numIfELi16ELi16ELi64ELi64ELi4ELi64ELi4ELi4ELi64ELc84ELc78EKS2_S3_S2_EEvlllT_PT11_llS6_llS4_PT12_llPT13_lli.has_dyn_sized_stack, 0
	.set _ZN12_GLOBAL__N_127rocblas_gemm_batched_kernelI19rocblas_complex_numIfELi16ELi16ELi64ELi64ELi4ELi64ELi4ELi4ELi64ELc84ELc78EKS2_S3_S2_EEvlllT_PT11_llS6_llS4_PT12_llPT13_lli.has_recursion, 0
	.set _ZN12_GLOBAL__N_127rocblas_gemm_batched_kernelI19rocblas_complex_numIfELi16ELi16ELi64ELi64ELi4ELi64ELi4ELi4ELi64ELc84ELc78EKS2_S3_S2_EEvlllT_PT11_llS6_llS4_PT12_llPT13_lli.has_indirect_call, 0
	.section	.AMDGPU.csdata,"",@progbits
; Kernel info:
; codeLenInByte = 5208
; TotalNumSgprs: 34
; NumVgprs: 108
; NumAgprs: 0
; TotalNumVgprs: 108
; ScratchSize: 0
; MemoryBound: 0
; FloatMode: 240
; IeeeMode: 1
; LDSByteSize: 4096 bytes/workgroup (compile time only)
; SGPRBlocks: 4
; VGPRBlocks: 13
; NumSGPRsForWavesPerEU: 34
; NumVGPRsForWavesPerEU: 108
; AccumOffset: 108
; Occupancy: 4
; WaveLimiterHint : 1
; COMPUTE_PGM_RSRC2:SCRATCH_EN: 0
; COMPUTE_PGM_RSRC2:USER_SGPR: 2
; COMPUTE_PGM_RSRC2:TRAP_HANDLER: 0
; COMPUTE_PGM_RSRC2:TGID_X_EN: 1
; COMPUTE_PGM_RSRC2:TGID_Y_EN: 1
; COMPUTE_PGM_RSRC2:TGID_Z_EN: 1
; COMPUTE_PGM_RSRC2:TIDIG_COMP_CNT: 1
; COMPUTE_PGM_RSRC3_GFX90A:ACCUM_OFFSET: 26
; COMPUTE_PGM_RSRC3_GFX90A:TG_SPLIT: 0
	.section	.text._ZN12_GLOBAL__N_127rocblas_gemm_batched_kernelI19rocblas_complex_numIfELi16ELi16ELi64ELi64ELi4ELi64ELi4ELi4ELi64ELc78ELc84EKS2_S3_S2_EEvlllT_PT11_llS6_llS4_PT12_llPT13_lli,"axG",@progbits,_ZN12_GLOBAL__N_127rocblas_gemm_batched_kernelI19rocblas_complex_numIfELi16ELi16ELi64ELi64ELi4ELi64ELi4ELi4ELi64ELc78ELc84EKS2_S3_S2_EEvlllT_PT11_llS6_llS4_PT12_llPT13_lli,comdat
	.globl	_ZN12_GLOBAL__N_127rocblas_gemm_batched_kernelI19rocblas_complex_numIfELi16ELi16ELi64ELi64ELi4ELi64ELi4ELi4ELi64ELc78ELc84EKS2_S3_S2_EEvlllT_PT11_llS6_llS4_PT12_llPT13_lli ; -- Begin function _ZN12_GLOBAL__N_127rocblas_gemm_batched_kernelI19rocblas_complex_numIfELi16ELi16ELi64ELi64ELi4ELi64ELi4ELi4ELi64ELc78ELc84EKS2_S3_S2_EEvlllT_PT11_llS6_llS4_PT12_llPT13_lli
	.p2align	8
	.type	_ZN12_GLOBAL__N_127rocblas_gemm_batched_kernelI19rocblas_complex_numIfELi16ELi16ELi64ELi64ELi4ELi64ELi4ELi4ELi64ELc78ELc84EKS2_S3_S2_EEvlllT_PT11_llS6_llS4_PT12_llPT13_lli,@function
_ZN12_GLOBAL__N_127rocblas_gemm_batched_kernelI19rocblas_complex_numIfELi16ELi16ELi64ELi64ELi4ELi64ELi4ELi4ELi64ELc78ELc84EKS2_S3_S2_EEvlllT_PT11_llS6_llS4_PT12_llPT13_lli: ; @_ZN12_GLOBAL__N_127rocblas_gemm_batched_kernelI19rocblas_complex_numIfELi16ELi16ELi64ELi64ELi4ELi64ELi4ELi4ELi64ELc78ELc84EKS2_S3_S2_EEvlllT_PT11_llS6_llS4_PT12_llPT13_lli
; %bb.0:
	s_load_dwordx16 s[8:23], s[0:1], 0x10
	s_load_dwordx2 s[6:7], s[0:1], 0x50
	s_mov_b32 s24, s3
	v_mov_b32_e32 v39, 0
	s_ashr_i32 s3, s2, 31
	s_ashr_i32 s25, s24, 31
	s_waitcnt lgkmcnt(0)
	v_cmp_lt_i64_e64 s[26:27], s[8:9], 1
	v_bfe_u32 v38, v0, 10, 10
	v_and_b32_e32 v36, 0x3ff, v0
	v_mov_b32_e32 v37, v39
	s_lshl_b64 s[2:3], s[2:3], 6
	s_lshl_b64 s[24:25], s[24:25], 6
	s_and_b64 vcc, exec, s[26:27]
	v_mov_b32_e32 v59, v39
	v_mov_b32_e32 v58, v39
	;; [unrolled: 1-line block ×32, first 2 shown]
	s_cbranch_vccnz .LBB91_3
; %bb.1:
	v_lshl_add_u32 v4, v38, 4, v36
	v_lshrrev_b32_e32 v40, 2, v4
	v_mov_b32_e32 v41, 0
	v_lshl_add_u64 v[0:1], v[40:41], 0, s[24:25]
	v_and_b32_e32 v5, 3, v36
	v_mad_u64_u32 v[0:1], s[26:27], s20, v5, v[0:1]
	v_mov_b32_e32 v2, v1
	v_mad_u64_u32 v[2:3], s[26:27], s21, v5, v[2:3]
	v_mov_b32_e32 v1, v2
	v_and_b32_e32 v2, 63, v4
	v_lshrrev_b32_e32 v7, 6, v4
	v_lshlrev_b32_e32 v4, 3, v2
	v_lshl_or_b32 v43, v7, 9, v4
	v_lshlrev_b32_e32 v4, 3, v5
	v_lshl_or_b32 v4, v40, 5, v4
	v_add_u32_e32 v45, 0x800, v4
	v_mov_b32_e32 v4, 0x800
	v_lshl_add_u32 v49, v38, 5, v4
	v_mov_b64_e32 v[4:5], s[2:3]
	s_mul_i32 s5, s17, s4
	s_mul_hi_u32 s17, s16, s4
	v_mad_u64_u32 v[4:5], s[26:27], s14, v7, v[4:5]
	s_add_i32 s17, s17, s5
	s_mul_i32 s16, s16, s4
	v_mov_b32_e32 v6, v5
	s_lshl_b64 s[16:17], s[16:17], 3
	v_mad_u64_u32 v[6:7], s[26:27], s15, v7, v[6:7]
	v_mov_b32_e32 v3, v41
	v_mov_b32_e32 v5, v6
	s_add_u32 s12, s12, s16
	v_lshl_add_u64 v[2:3], v[4:5], 0, v[2:3]
	s_addc_u32 s13, s13, s17
	v_lshl_add_u64 v[50:51], v[2:3], 3, s[12:13]
	s_lshl_b64 s[12:13], s[14:15], 5
	s_mul_i32 s5, s23, s4
	s_mul_hi_u32 s14, s22, s4
	s_add_i32 s15, s14, s5
	s_mul_i32 s14, s22, s4
	s_lshl_b64 s[14:15], s[14:15], 3
	s_add_u32 s14, s18, s14
	s_addc_u32 s15, s19, s15
	v_lshlrev_b32_e32 v47, 3, v36
	v_lshl_add_u64 v[52:53], v[0:1], 3, s[14:15]
	s_lshl_b64 s[14:15], s[20:21], 5
	s_mov_b64 s[16:17], 0
	v_mov_b64_e32 v[54:55], s[8:9]
	v_mov_b32_e32 v40, v41
	v_mov_b32_e32 v44, v41
	;; [unrolled: 1-line block ×31, first 2 shown]
.LBB91_2:                               ; =>This Inner Loop Header: Depth=1
	global_load_dwordx2 v[0:1], v[50:51], off
	s_add_u32 s16, s16, 4
	s_addc_u32 s17, s17, 0
	v_cmp_lt_i64_e32 vcc, s[16:17], v[54:55]
	v_lshl_add_u64 v[50:51], v[50:51], 0, s[12:13]
	s_and_b64 vcc, exec, vcc
	s_waitcnt vmcnt(0)
	ds_write_b64 v43, v[0:1]
	global_load_dwordx2 v[0:1], v[52:53], off
	v_lshl_add_u64 v[52:53], v[52:53], 0, s[14:15]
	s_waitcnt vmcnt(0)
	ds_write_b64 v45, v[0:1]
	s_waitcnt lgkmcnt(0)
	s_barrier
	ds_read_b128 v[0:3], v49
	ds_read_b128 v[32:35], v49 offset:16
	ds_read2_b64 v[8:11], v47 offset1:16
	ds_read2_b64 v[12:15], v47 offset0:32 offset1:48
	s_waitcnt lgkmcnt(1)
	v_mul_f32_e32 v4, v1, v9
	v_fma_f32 v4, v0, v8, -v4
	v_mul_f32_e32 v5, v0, v9
	v_add_f32_e32 v20, v102, v4
	v_mul_f32_e32 v4, v1, v11
	v_fmac_f32_e32 v5, v1, v8
	v_fma_f32 v4, v0, v10, -v4
	v_add_f32_e32 v21, v104, v5
	v_mul_f32_e32 v5, v0, v11
	v_add_f32_e32 v22, v98, v4
	s_waitcnt lgkmcnt(0)
	v_mul_f32_e32 v4, v1, v13
	v_fmac_f32_e32 v5, v1, v10
	v_fma_f32 v4, v0, v12, -v4
	v_add_f32_e32 v23, v100, v5
	v_mul_f32_e32 v5, v0, v13
	v_add_f32_e32 v57, v94, v4
	v_mul_f32_e32 v4, v1, v15
	v_fmac_f32_e32 v5, v1, v12
	v_fma_f32 v4, v0, v14, -v4
	v_mul_f32_e32 v0, v0, v15
	v_add_f32_e32 v61, v96, v5
	v_fmac_f32_e32 v0, v1, v14
	v_add_f32_e32 v1, v90, v4
	ds_read_b128 v[4:7], v49 offset:512
	ds_read_b128 v[104:107], v49 offset:1040
	v_add_f32_e32 v0, v92, v0
	s_waitcnt lgkmcnt(1)
	v_mul_f32_e32 v16, v5, v9
	v_fma_f32 v16, v4, v8, -v16
	v_mul_f32_e32 v17, v4, v9
	v_add_f32_e32 v63, v86, v16
	v_mul_f32_e32 v16, v5, v11
	v_fmac_f32_e32 v17, v5, v8
	v_fma_f32 v16, v4, v10, -v16
	v_add_f32_e32 v65, v88, v17
	v_mul_f32_e32 v17, v4, v11
	v_add_f32_e32 v67, v82, v16
	v_mul_f32_e32 v16, v5, v13
	v_fmac_f32_e32 v17, v5, v10
	v_fma_f32 v16, v4, v12, -v16
	v_add_f32_e32 v69, v84, v17
	v_mul_f32_e32 v17, v4, v13
	v_add_f32_e32 v71, v78, v16
	v_mul_f32_e32 v16, v5, v15
	v_fmac_f32_e32 v17, v5, v12
	v_fma_f32 v16, v4, v14, -v16
	v_mul_f32_e32 v4, v4, v15
	v_add_f32_e32 v73, v80, v17
	v_fmac_f32_e32 v4, v5, v14
	v_add_f32_e32 v5, v74, v16
	ds_read_b128 v[16:19], v49 offset:1024
	v_add_f32_e32 v4, v76, v4
	s_waitcnt lgkmcnt(0)
	v_mul_f32_e32 v24, v17, v9
	v_fma_f32 v24, v16, v8, -v24
	v_mul_f32_e32 v25, v16, v9
	v_add_f32_e32 v70, v70, v24
	v_mul_f32_e32 v24, v17, v11
	v_fmac_f32_e32 v25, v17, v8
	v_fma_f32 v24, v16, v10, -v24
	v_add_f32_e32 v72, v72, v25
	v_mul_f32_e32 v25, v16, v11
	v_add_f32_e32 v66, v66, v24
	v_mul_f32_e32 v24, v17, v13
	v_fmac_f32_e32 v25, v17, v10
	v_fma_f32 v24, v16, v12, -v24
	v_add_f32_e32 v68, v68, v25
	v_mul_f32_e32 v25, v16, v13
	v_add_f32_e32 v62, v62, v24
	v_mul_f32_e32 v24, v17, v15
	v_fmac_f32_e32 v25, v17, v12
	v_fma_f32 v24, v16, v14, -v24
	v_mul_f32_e32 v16, v16, v15
	v_add_f32_e32 v64, v64, v25
	v_fmac_f32_e32 v16, v17, v14
	v_add_f32_e32 v17, v56, v24
	ds_read2_b64 v[24:27], v47 offset0:64 offset1:80
	v_add_f32_e32 v16, v60, v16
	s_waitcnt lgkmcnt(0)
	v_mul_f32_e32 v28, v3, v25
	v_mul_f32_e32 v29, v2, v25
	v_fma_f32 v28, v2, v24, -v28
	v_fmac_f32_e32 v29, v3, v24
	v_add_f32_e32 v20, v20, v28
	v_add_f32_e32 v21, v21, v29
	v_mul_f32_e32 v28, v3, v27
	v_mul_f32_e32 v29, v2, v27
	v_fma_f32 v28, v2, v26, -v28
	v_fmac_f32_e32 v29, v3, v26
	v_add_f32_e32 v22, v22, v28
	v_add_f32_e32 v23, v23, v29
	ds_read2_b64 v[28:31], v47 offset0:96 offset1:112
	s_waitcnt lgkmcnt(0)
	v_mul_f32_e32 v56, v3, v29
	v_mul_f32_e32 v60, v2, v29
	v_fma_f32 v56, v2, v28, -v56
	v_fmac_f32_e32 v60, v3, v28
	v_add_f32_e32 v56, v57, v56
	v_add_f32_e32 v57, v61, v60
	v_mul_f32_e32 v60, v3, v31
	v_fma_f32 v60, v2, v30, -v60
	v_mul_f32_e32 v2, v2, v31
	v_fmac_f32_e32 v2, v3, v30
	v_add_f32_e32 v60, v1, v60
	v_add_f32_e32 v61, v0, v2
	v_mul_f32_e32 v0, v7, v25
	v_mul_f32_e32 v1, v6, v25
	v_fma_f32 v0, v6, v24, -v0
	v_fmac_f32_e32 v1, v7, v24
	v_add_f32_e32 v74, v63, v0
	v_add_f32_e32 v65, v65, v1
	v_mul_f32_e32 v0, v7, v27
	v_mul_f32_e32 v1, v6, v27
	v_fma_f32 v0, v6, v26, -v0
	;; [unrolled: 6-line block ×6, first 2 shown]
	v_fmac_f32_e32 v1, v19, v26
	ds_read2_b64 v[4:7], v47 offset0:128 offset1:144
	v_add_f32_e32 v66, v66, v0
	v_add_f32_e32 v68, v68, v1
	v_mul_f32_e32 v0, v19, v29
	v_mul_f32_e32 v1, v18, v29
	v_fma_f32 v0, v18, v28, -v0
	v_fmac_f32_e32 v1, v19, v28
	v_add_f32_e32 v77, v62, v0
	v_add_f32_e32 v64, v64, v1
	v_mul_f32_e32 v0, v19, v31
	v_mul_f32_e32 v1, v18, v31
	v_fma_f32 v0, v18, v30, -v0
	v_fmac_f32_e32 v1, v19, v30
	v_add_f32_e32 v17, v17, v0
	v_add_f32_e32 v16, v16, v1
	s_waitcnt lgkmcnt(0)
	v_mul_f32_e32 v0, v33, v5
	v_mul_f32_e32 v1, v32, v5
	v_fma_f32 v0, v32, v4, -v0
	v_fmac_f32_e32 v1, v33, v4
	v_add_f32_e32 v18, v20, v0
	v_add_f32_e32 v19, v21, v1
	v_mul_f32_e32 v0, v33, v7
	v_mul_f32_e32 v1, v32, v7
	v_fma_f32 v0, v32, v6, -v0
	v_fmac_f32_e32 v1, v33, v6
	v_add_f32_e32 v78, v22, v0
	v_add_f32_e32 v79, v23, v1
	ds_read2_b64 v[0:3], v47 offset0:160 offset1:176
	s_waitcnt lgkmcnt(0)
	v_mul_f32_e32 v20, v33, v1
	v_mul_f32_e32 v21, v32, v1
	v_fma_f32 v20, v32, v0, -v20
	v_fmac_f32_e32 v21, v33, v0
	v_add_f32_e32 v56, v56, v20
	v_add_f32_e32 v57, v57, v21
	v_mul_f32_e32 v20, v33, v3
	v_mul_f32_e32 v21, v32, v3
	v_fma_f32 v20, v32, v2, -v20
	v_fmac_f32_e32 v21, v33, v2
	v_add_f32_e32 v32, v60, v20
	v_add_f32_e32 v33, v61, v21
	ds_read_b128 v[60:63], v49 offset:528
	s_waitcnt lgkmcnt(0)
	v_mul_f32_e32 v20, v61, v5
	v_mul_f32_e32 v21, v60, v5
	v_fma_f32 v20, v60, v4, -v20
	v_fmac_f32_e32 v21, v61, v4
	v_add_f32_e32 v74, v74, v20
	v_add_f32_e32 v65, v65, v21
	v_mul_f32_e32 v20, v61, v7
	v_mul_f32_e32 v21, v60, v7
	v_fma_f32 v20, v60, v6, -v20
	v_fmac_f32_e32 v21, v61, v6
	v_add_f32_e32 v67, v67, v20
	v_add_f32_e32 v69, v69, v21
	;; [unrolled: 6-line block ×8, first 2 shown]
	ds_read2_b64 v[20:23], v47 offset0:192 offset1:208
	s_waitcnt lgkmcnt(0)
	v_mul_f32_e32 v16, v35, v21
	v_mul_f32_e32 v17, v34, v21
	v_fma_f32 v16, v34, v20, -v16
	v_fmac_f32_e32 v17, v35, v20
	v_add_f32_e32 v102, v18, v16
	v_add_f32_e32 v104, v19, v17
	v_mul_f32_e32 v16, v35, v23
	v_mul_f32_e32 v17, v34, v23
	v_fma_f32 v16, v34, v22, -v16
	v_fmac_f32_e32 v17, v35, v22
	v_add_f32_e32 v98, v78, v16
	v_add_f32_e32 v100, v79, v17
	ds_read2_b64 v[16:19], v47 offset0:224 offset1:240
	s_waitcnt lgkmcnt(0)
	v_mul_f32_e32 v76, v35, v17
	v_fma_f32 v76, v34, v16, -v76
	v_add_f32_e32 v94, v56, v76
	v_mul_f32_e32 v56, v35, v19
	v_mul_f32_e32 v78, v34, v17
	v_fma_f32 v56, v34, v18, -v56
	v_mul_f32_e32 v34, v34, v19
	v_fmac_f32_e32 v34, v35, v18
	v_add_f32_e32 v90, v32, v56
	v_add_f32_e32 v92, v33, v34
	v_mul_f32_e32 v32, v63, v21
	v_mul_f32_e32 v33, v62, v21
	v_fma_f32 v32, v62, v20, -v32
	v_fmac_f32_e32 v33, v63, v20
	v_add_f32_e32 v86, v74, v32
	v_add_f32_e32 v88, v65, v33
	v_mul_f32_e32 v32, v63, v23
	v_mul_f32_e32 v33, v62, v23
	v_fma_f32 v32, v62, v22, -v32
	v_fmac_f32_e32 v33, v63, v22
	v_add_f32_e32 v82, v67, v32
	v_add_f32_e32 v84, v69, v33
	v_mul_f32_e32 v32, v63, v17
	v_mul_f32_e32 v33, v62, v17
	v_fmac_f32_e32 v78, v35, v16
	v_fma_f32 v32, v62, v16, -v32
	v_fmac_f32_e32 v33, v63, v16
	v_add_f32_e32 v96, v57, v78
	v_add_f32_e32 v78, v71, v32
	;; [unrolled: 1-line block ×3, first 2 shown]
	v_mul_f32_e32 v32, v63, v19
	v_mul_f32_e32 v33, v62, v19
	v_fma_f32 v32, v62, v18, -v32
	v_fmac_f32_e32 v33, v63, v18
	v_add_f32_e32 v74, v60, v32
	v_add_f32_e32 v76, v61, v33
	v_mul_f32_e32 v32, v107, v21
	v_mul_f32_e32 v33, v106, v21
	v_fma_f32 v32, v106, v20, -v32
	v_fmac_f32_e32 v33, v107, v20
	v_add_f32_e32 v70, v70, v32
	v_add_f32_e32 v72, v72, v33
	;; [unrolled: 6-line block ×5, first 2 shown]
	ds_read_b128 v[32:35], v49 offset:1536
	s_waitcnt lgkmcnt(0)
	v_mul_f32_e32 v57, v33, v9
	v_mul_f32_e32 v9, v32, v9
	v_fmac_f32_e32 v9, v33, v8
	v_fma_f32 v57, v32, v8, -v57
	v_add_f32_e32 v48, v48, v9
	v_mul_f32_e32 v8, v33, v11
	v_mul_f32_e32 v9, v32, v11
	v_fma_f32 v8, v32, v10, -v8
	v_fmac_f32_e32 v9, v33, v10
	v_add_f32_e32 v42, v42, v8
	v_add_f32_e32 v44, v44, v9
	v_mul_f32_e32 v8, v33, v13
	v_mul_f32_e32 v9, v32, v13
	v_fma_f32 v8, v32, v12, -v8
	v_fmac_f32_e32 v9, v33, v12
	v_add_f32_e32 v12, v40, v8
	v_add_f32_e32 v13, v41, v9
	v_pk_mul_f32 v[8:9], v[32:33], v[14:15] op_sel:[1,1] op_sel_hi:[0,1]
	v_pk_fma_f32 v[10:11], v[32:33], v[14:15], v[8:9] neg_lo:[0,0,1] neg_hi:[0,0,1]
	v_pk_fma_f32 v[8:9], v[32:33], v[14:15], v[8:9] op_sel_hi:[1,0,1]
	v_add_f32_e32 v46, v46, v57
	v_mov_b32_e32 v11, v9
	v_pk_add_f32 v[8:9], v[58:59], v[10:11]
	v_mul_f32_e32 v10, v35, v25
	v_mul_f32_e32 v11, v34, v25
	v_fma_f32 v10, v34, v24, -v10
	v_fmac_f32_e32 v11, v35, v24
	v_add_f32_e32 v32, v46, v10
	v_add_f32_e32 v33, v48, v11
	v_mul_f32_e32 v10, v35, v27
	v_mul_f32_e32 v11, v34, v27
	v_fma_f32 v10, v34, v26, -v10
	v_fmac_f32_e32 v11, v35, v26
	v_add_f32_e32 v24, v42, v10
	v_add_f32_e32 v25, v44, v11
	;; [unrolled: 6-line block ×3, first 2 shown]
	v_pk_mul_f32 v[10:11], v[34:35], v[30:31] op_sel:[1,1] op_sel_hi:[0,1]
	v_pk_fma_f32 v[12:13], v[34:35], v[30:31], v[10:11] neg_lo:[0,0,1] neg_hi:[0,0,1]
	v_pk_fma_f32 v[10:11], v[34:35], v[30:31], v[10:11] op_sel_hi:[1,0,1]
	s_nop 0
	v_mov_b32_e32 v13, v11
	v_pk_add_f32 v[12:13], v[8:9], v[12:13]
	ds_read_b128 v[8:11], v49 offset:1552
	s_waitcnt lgkmcnt(0)
	s_barrier
	v_mul_f32_e32 v26, v9, v5
	v_mul_f32_e32 v5, v8, v5
	v_fma_f32 v26, v8, v4, -v26
	v_fmac_f32_e32 v5, v9, v4
	v_mul_f32_e32 v4, v9, v7
	v_add_f32_e32 v27, v33, v5
	v_fma_f32 v4, v8, v6, -v4
	v_mul_f32_e32 v5, v8, v7
	v_fmac_f32_e32 v5, v9, v6
	v_add_f32_e32 v6, v24, v4
	v_mul_f32_e32 v4, v9, v1
	v_mul_f32_e32 v1, v8, v1
	v_fmac_f32_e32 v1, v9, v0
	v_fma_f32 v4, v8, v0, -v4
	v_add_f32_e32 v15, v15, v1
	v_pk_mul_f32 v[0:1], v[8:9], v[2:3] op_sel:[1,1] op_sel_hi:[0,1]
	v_add_f32_e32 v7, v25, v5
	v_add_f32_e32 v14, v14, v4
	v_pk_fma_f32 v[4:5], v[8:9], v[2:3], v[0:1] neg_lo:[0,0,1] neg_hi:[0,0,1]
	v_pk_fma_f32 v[0:1], v[8:9], v[2:3], v[0:1] op_sel_hi:[1,0,1]
	v_mul_f32_e32 v2, v11, v21
	v_mul_f32_e32 v3, v10, v21
	v_add_f32_e32 v26, v32, v26
	v_fma_f32 v2, v10, v20, -v2
	v_fmac_f32_e32 v3, v11, v20
	v_add_f32_e32 v46, v26, v2
	v_add_f32_e32 v48, v27, v3
	v_mul_f32_e32 v2, v11, v23
	v_mul_f32_e32 v3, v10, v23
	v_fma_f32 v2, v10, v22, -v2
	v_fmac_f32_e32 v3, v11, v22
	v_add_f32_e32 v42, v6, v2
	v_add_f32_e32 v44, v7, v3
	v_mul_f32_e32 v2, v11, v17
	v_mul_f32_e32 v3, v10, v17
	v_fma_f32 v2, v10, v16, -v2
	v_fmac_f32_e32 v3, v11, v16
	v_mov_b32_e32 v5, v1
	v_add_f32_e32 v40, v14, v2
	v_add_f32_e32 v41, v15, v3
	v_pk_mul_f32 v[2:3], v[10:11], v[18:19] op_sel:[1,1] op_sel_hi:[0,1]
	v_pk_add_f32 v[0:1], v[12:13], v[4:5]
	v_pk_fma_f32 v[4:5], v[10:11], v[18:19], v[2:3] neg_lo:[0,0,1] neg_hi:[0,0,1]
	v_pk_fma_f32 v[2:3], v[10:11], v[18:19], v[2:3] op_sel_hi:[1,0,1]
	s_nop 0
	v_mov_b32_e32 v5, v3
	v_pk_add_f32 v[58:59], v[0:1], v[4:5]
	s_cbranch_vccnz .LBB91_2
.LBB91_3:
	s_load_dwordx4 s[20:23], s[0:1], 0x78
	s_load_dwordx8 s[12:19], s[0:1], 0x58
	v_lshl_add_u64 v[2:3], s[24:25], 0, v[38:39]
	v_lshl_add_u64 v[0:1], s[2:3], 0, v[36:37]
	s_waitcnt lgkmcnt(0)
	s_mul_i32 s1, s23, s4
	s_mul_hi_u32 s5, s22, s4
	s_mul_i32 s0, s22, s4
	s_add_i32 s1, s5, s1
	s_lshl_b64 s[0:1], s[0:1], 3
	s_add_u32 s8, s18, s0
	s_addc_u32 s9, s19, s1
	s_or_b32 s0, s6, s7
	s_bitset0_b32 s0, 31
	s_cmp_lg_u32 s0, 0
	s_mov_b32 s0, s11
	s_mov_b32 s1, s10
	s_cbranch_scc1 .LBB91_5
; %bb.4:
	v_mul_lo_u32 v6, v3, s20
	v_mul_lo_u32 v7, v2, s21
	v_mad_u64_u32 v[4:5], s[2:3], v2, s20, 0
	v_add3_u32 v5, v5, v7, v6
	v_pk_mul_f32 v[6:7], v[104:105], s[0:1] op_sel_hi:[0,1]
	v_lshl_add_u64 v[4:5], v[4:5], 3, s[8:9]
	v_lshlrev_b64 v[8:9], 3, v[0:1]
	v_pk_fma_f32 v[12:13], v[102:103], s[0:1], v[6:7] op_sel:[0,1,0] op_sel_hi:[1,0,1] neg_lo:[0,0,1] neg_hi:[0,0,1]
	v_pk_fma_f32 v[6:7], v[102:103], s[0:1], v[6:7] op_sel:[0,1,0] op_sel_hi:[0,0,1]
	v_lshl_add_u64 v[10:11], v[4:5], 0, v[8:9]
	v_mov_b32_e32 v13, v7
	v_pk_mul_f32 v[6:7], v[100:101], s[0:1] op_sel_hi:[0,1]
	global_store_dwordx2 v[10:11], v[12:13], off
	v_pk_fma_f32 v[12:13], v[98:99], s[0:1], v[6:7] op_sel:[0,1,0] op_sel_hi:[1,0,1] neg_lo:[0,0,1] neg_hi:[0,0,1]
	v_pk_fma_f32 v[6:7], v[98:99], s[0:1], v[6:7] op_sel:[0,1,0] op_sel_hi:[0,0,1]
	v_mov_b32_e32 v13, v7
	v_pk_mul_f32 v[6:7], v[96:97], s[0:1] op_sel_hi:[0,1]
	global_store_dwordx2 v[10:11], v[12:13], off offset:128
	v_pk_fma_f32 v[12:13], v[94:95], s[0:1], v[6:7] op_sel:[0,1,0] op_sel_hi:[1,0,1] neg_lo:[0,0,1] neg_hi:[0,0,1]
	v_pk_fma_f32 v[6:7], v[94:95], s[0:1], v[6:7] op_sel:[0,1,0] op_sel_hi:[0,0,1]
	v_mov_b32_e32 v13, v7
	v_pk_mul_f32 v[6:7], v[92:93], s[0:1] op_sel_hi:[0,1]
	global_store_dwordx2 v[10:11], v[12:13], off offset:256
	v_pk_fma_f32 v[12:13], v[90:91], s[0:1], v[6:7] op_sel:[0,1,0] op_sel_hi:[1,0,1] neg_lo:[0,0,1] neg_hi:[0,0,1]
	v_pk_fma_f32 v[6:7], v[90:91], s[0:1], v[6:7] op_sel:[0,1,0] op_sel_hi:[0,0,1]
	v_mov_b32_e32 v13, v7
	s_lshl_b64 s[2:3], s[20:21], 7
	v_pk_mul_f32 v[6:7], v[88:89], s[0:1] op_sel_hi:[0,1]
	global_store_dwordx2 v[10:11], v[12:13], off offset:384
	v_lshl_add_u64 v[4:5], v[4:5], 0, s[2:3]
	v_pk_fma_f32 v[12:13], v[86:87], s[0:1], v[6:7] op_sel:[0,1,0] op_sel_hi:[1,0,1] neg_lo:[0,0,1] neg_hi:[0,0,1]
	v_pk_fma_f32 v[6:7], v[86:87], s[0:1], v[6:7] op_sel:[0,1,0] op_sel_hi:[0,0,1]
	v_lshl_add_u64 v[10:11], v[4:5], 0, v[8:9]
	v_mov_b32_e32 v13, v7
	v_pk_mul_f32 v[6:7], v[84:85], s[0:1] op_sel_hi:[0,1]
	global_store_dwordx2 v[10:11], v[12:13], off
	v_pk_fma_f32 v[12:13], v[82:83], s[0:1], v[6:7] op_sel:[0,1,0] op_sel_hi:[1,0,1] neg_lo:[0,0,1] neg_hi:[0,0,1]
	v_pk_fma_f32 v[6:7], v[82:83], s[0:1], v[6:7] op_sel:[0,1,0] op_sel_hi:[0,0,1]
	v_mov_b32_e32 v13, v7
	v_pk_mul_f32 v[6:7], v[80:81], s[0:1] op_sel_hi:[0,1]
	global_store_dwordx2 v[10:11], v[12:13], off offset:128
	v_pk_fma_f32 v[12:13], v[78:79], s[0:1], v[6:7] op_sel:[0,1,0] op_sel_hi:[1,0,1] neg_lo:[0,0,1] neg_hi:[0,0,1]
	v_pk_fma_f32 v[6:7], v[78:79], s[0:1], v[6:7] op_sel:[0,1,0] op_sel_hi:[0,0,1]
	v_mov_b32_e32 v13, v7
	v_pk_mul_f32 v[6:7], v[76:77], s[0:1] op_sel_hi:[0,1]
	global_store_dwordx2 v[10:11], v[12:13], off offset:256
	;; [unrolled: 5-line block ×3, first 2 shown]
	v_lshl_add_u64 v[4:5], v[4:5], 0, s[2:3]
	v_pk_fma_f32 v[12:13], v[70:71], s[0:1], v[6:7] op_sel:[0,1,0] op_sel_hi:[1,0,1] neg_lo:[0,0,1] neg_hi:[0,0,1]
	v_pk_fma_f32 v[6:7], v[70:71], s[0:1], v[6:7] op_sel:[0,1,0] op_sel_hi:[0,0,1]
	v_lshl_add_u64 v[10:11], v[4:5], 0, v[8:9]
	v_mov_b32_e32 v13, v7
	v_pk_mul_f32 v[6:7], v[68:69], s[0:1] op_sel_hi:[0,1]
	global_store_dwordx2 v[10:11], v[12:13], off
	v_pk_fma_f32 v[12:13], v[66:67], s[0:1], v[6:7] op_sel:[0,1,0] op_sel_hi:[1,0,1] neg_lo:[0,0,1] neg_hi:[0,0,1]
	v_pk_fma_f32 v[6:7], v[66:67], s[0:1], v[6:7] op_sel:[0,1,0] op_sel_hi:[0,0,1]
	v_mov_b32_e32 v13, v7
	v_pk_mul_f32 v[6:7], v[64:65], s[0:1] op_sel_hi:[0,1]
	global_store_dwordx2 v[10:11], v[12:13], off offset:128
	v_pk_fma_f32 v[12:13], v[62:63], s[0:1], v[6:7] op_sel:[0,1,0] op_sel_hi:[1,0,1] neg_lo:[0,0,1] neg_hi:[0,0,1]
	v_pk_fma_f32 v[6:7], v[62:63], s[0:1], v[6:7] op_sel:[0,1,0] op_sel_hi:[0,0,1]
	v_mov_b32_e32 v13, v7
	v_pk_mul_f32 v[6:7], v[60:61], s[0:1] op_sel_hi:[0,1]
	global_store_dwordx2 v[10:11], v[12:13], off offset:256
	v_pk_fma_f32 v[12:13], v[56:57], s[0:1], v[6:7] op_sel:[0,1,0] op_sel_hi:[1,0,1] neg_lo:[0,0,1] neg_hi:[0,0,1]
	v_pk_fma_f32 v[6:7], v[56:57], s[0:1], v[6:7] op_sel:[0,1,0] op_sel_hi:[0,0,1]
	v_mov_b32_e32 v13, v7
	v_lshl_add_u64 v[4:5], v[4:5], 0, s[2:3]
	v_pk_mul_f32 v[6:7], v[48:49], s[0:1] op_sel_hi:[0,1]
	v_lshl_add_u64 v[8:9], v[4:5], 0, v[8:9]
	v_pk_fma_f32 v[4:5], v[46:47], s[0:1], v[6:7] op_sel:[0,1,0] op_sel_hi:[1,0,1] neg_lo:[0,0,1] neg_hi:[0,0,1]
	v_pk_fma_f32 v[6:7], v[46:47], s[0:1], v[6:7] op_sel:[0,1,0] op_sel_hi:[0,0,1]
	v_mov_b32_e32 v5, v7
	global_store_dwordx2 v[10:11], v[12:13], off offset:384
	global_store_dwordx2 v[8:9], v[4:5], off
	v_pk_mul_f32 v[4:5], v[44:45], s[0:1] op_sel_hi:[0,1]
	v_pk_fma_f32 v[6:7], v[42:43], s[0:1], v[4:5] op_sel:[0,1,0] op_sel_hi:[1,0,1] neg_lo:[0,0,1] neg_hi:[0,0,1]
	v_pk_fma_f32 v[4:5], v[42:43], s[0:1], v[4:5] op_sel:[0,1,0] op_sel_hi:[0,0,1]
	v_mov_b32_e32 v4, v41
	v_mov_b32_e32 v7, v5
	v_pk_mul_f32 v[4:5], v[4:5], s[0:1] op_sel_hi:[0,1]
	global_store_dwordx2 v[8:9], v[6:7], off offset:128
	v_pk_fma_f32 v[6:7], v[40:41], s[0:1], v[4:5] op_sel:[0,1,0] op_sel_hi:[1,0,1] neg_lo:[0,0,1] neg_hi:[0,0,1]
	v_pk_fma_f32 v[4:5], v[40:41], s[0:1], v[4:5] op_sel:[0,1,0] op_sel_hi:[0,0,1]
	v_mov_b32_e32 v7, v5
	v_mul_f32_e32 v4, s1, v58
	global_store_dwordx2 v[8:9], v[6:7], off offset:256
	v_fma_f32 v7, -v59, s0, v4
	v_pk_mul_f32 v[4:5], v[58:59], s[0:1]
	s_mov_b64 s[2:3], 0x180
	v_add_f32_e32 v6, v4, v5
	v_lshl_add_u64 v[4:5], v[8:9], 0, s[2:3]
	global_store_dword v[8:9], v7, off offset:384
	s_cbranch_execz .LBB91_6
	s_branch .LBB91_7
.LBB91_5:
                                        ; implicit-def: $vgpr6
                                        ; implicit-def: $vgpr4_vgpr5
.LBB91_6:
	s_mul_i32 s2, s17, s4
	s_mul_hi_u32 s3, s16, s4
	s_add_i32 s3, s3, s2
	s_mul_i32 s2, s16, s4
	s_lshl_b64 s[2:3], s[2:3], 3
	s_add_u32 s2, s12, s2
	v_mul_lo_u32 v6, v3, s14
	v_mul_lo_u32 v7, v2, s15
	v_mad_u64_u32 v[4:5], s[4:5], v2, s14, 0
	s_addc_u32 s3, s13, s3
	v_add3_u32 v5, v5, v7, v6
	v_lshl_add_u64 v[4:5], v[4:5], 3, s[2:3]
	v_lshlrev_b64 v[0:1], 3, v[0:1]
	v_lshl_add_u64 v[6:7], v[4:5], 0, v[0:1]
	global_load_dwordx2 v[8:9], v[6:7], off
	v_mul_lo_u32 v12, v3, s20
	v_mul_lo_u32 v13, v2, s21
	v_mad_u64_u32 v[2:3], s[2:3], v2, s20, 0
	s_mov_b32 s2, s7
	v_pk_mul_f32 v[10:11], v[104:105], s[0:1] op_sel_hi:[0,1]
	v_add3_u32 v3, v3, v13, v12
	v_pk_fma_f32 v[12:13], v[102:103], s[0:1], v[10:11] op_sel:[0,1,0] op_sel_hi:[1,0,1] neg_lo:[0,0,1] neg_hi:[0,0,1]
	v_pk_fma_f32 v[10:11], v[102:103], s[0:1], v[10:11] op_sel:[0,1,0] op_sel_hi:[0,0,1]
	v_lshl_add_u64 v[2:3], v[2:3], 3, s[8:9]
	v_mov_b32_e32 v13, v11
	v_lshl_add_u64 v[10:11], v[2:3], 0, v[0:1]
	s_lshl_b64 s[4:5], s[14:15], 7
	v_lshl_add_u64 v[4:5], v[4:5], 0, s[4:5]
	s_lshl_b64 s[8:9], s[20:21], 7
	v_lshl_add_u64 v[2:3], v[2:3], 0, s[8:9]
	s_mov_b32 s11, s6
	s_waitcnt vmcnt(0)
	v_pk_mul_f32 v[14:15], v[8:9], s[2:3] op_sel_hi:[1,0]
	s_nop 0
	v_pk_fma_f32 v[16:17], v[8:9], s[6:7], v[14:15] op_sel:[0,0,1] op_sel_hi:[1,1,0] neg_lo:[0,0,1] neg_hi:[0,0,1]
	v_pk_fma_f32 v[8:9], v[8:9], s[6:7], v[14:15] op_sel:[0,0,1] op_sel_hi:[1,0,0]
	s_nop 0
	v_mov_b32_e32 v17, v9
	v_pk_add_f32 v[8:9], v[12:13], v[16:17]
	global_store_dwordx2 v[10:11], v[8:9], off
	global_load_dwordx2 v[8:9], v[6:7], off offset:128
	v_pk_mul_f32 v[12:13], v[100:101], s[0:1] op_sel_hi:[0,1]
	v_pk_fma_f32 v[14:15], v[98:99], s[0:1], v[12:13] op_sel:[0,1,0] op_sel_hi:[1,0,1] neg_lo:[0,0,1] neg_hi:[0,0,1]
	v_pk_fma_f32 v[12:13], v[98:99], s[0:1], v[12:13] op_sel:[0,1,0] op_sel_hi:[0,0,1]
	v_mov_b32_e32 v15, v13
	s_waitcnt vmcnt(0)
	v_pk_mul_f32 v[12:13], v[8:9], s[2:3] op_sel_hi:[1,0]
	s_nop 0
	v_pk_fma_f32 v[16:17], v[8:9], s[6:7], v[12:13] op_sel:[0,0,1] op_sel_hi:[1,1,0] neg_lo:[0,0,1] neg_hi:[0,0,1]
	v_pk_fma_f32 v[8:9], v[8:9], s[6:7], v[12:13] op_sel:[0,0,1] op_sel_hi:[1,0,0]
	v_pk_mul_f32 v[12:13], v[96:97], s[0:1] op_sel_hi:[0,1]
	v_mov_b32_e32 v17, v9
	v_pk_add_f32 v[8:9], v[14:15], v[16:17]
	global_store_dwordx2 v[10:11], v[8:9], off offset:128
	global_load_dwordx2 v[8:9], v[6:7], off offset:256
	v_pk_fma_f32 v[14:15], v[94:95], s[0:1], v[12:13] op_sel:[0,1,0] op_sel_hi:[1,0,1] neg_lo:[0,0,1] neg_hi:[0,0,1]
	v_pk_fma_f32 v[12:13], v[94:95], s[0:1], v[12:13] op_sel:[0,1,0] op_sel_hi:[0,0,1]
	v_mov_b32_e32 v15, v13
	s_waitcnt vmcnt(0)
	v_pk_mul_f32 v[12:13], v[8:9], s[2:3] op_sel_hi:[1,0]
	s_nop 0
	v_pk_fma_f32 v[16:17], v[8:9], s[6:7], v[12:13] op_sel:[0,0,1] op_sel_hi:[1,1,0] neg_lo:[0,0,1] neg_hi:[0,0,1]
	v_pk_fma_f32 v[8:9], v[8:9], s[6:7], v[12:13] op_sel:[0,0,1] op_sel_hi:[1,0,0]
	s_nop 0
	v_mov_b32_e32 v17, v9
	v_pk_add_f32 v[8:9], v[14:15], v[16:17]
	global_store_dwordx2 v[10:11], v[8:9], off offset:256
	global_load_dwordx2 v[6:7], v[6:7], off offset:384
	v_pk_mul_f32 v[8:9], v[92:93], s[0:1] op_sel_hi:[0,1]
	v_pk_fma_f32 v[12:13], v[90:91], s[0:1], v[8:9] op_sel:[0,1,0] op_sel_hi:[1,0,1] neg_lo:[0,0,1] neg_hi:[0,0,1]
	v_pk_fma_f32 v[8:9], v[90:91], s[0:1], v[8:9] op_sel:[0,1,0] op_sel_hi:[0,0,1]
	v_mov_b32_e32 v13, v9
	v_lshl_add_u64 v[8:9], v[4:5], 0, v[0:1]
	v_lshl_add_u64 v[4:5], v[4:5], 0, s[4:5]
	s_waitcnt vmcnt(0)
	v_pk_mul_f32 v[14:15], v[6:7], s[2:3] op_sel_hi:[1,0]
	s_nop 0
	v_pk_fma_f32 v[16:17], v[6:7], s[6:7], v[14:15] op_sel:[0,0,1] op_sel_hi:[1,1,0] neg_lo:[0,0,1] neg_hi:[0,0,1]
	v_pk_fma_f32 v[6:7], v[6:7], s[6:7], v[14:15] op_sel:[0,0,1] op_sel_hi:[1,0,0]
	s_nop 0
	v_mov_b32_e32 v17, v7
	v_pk_add_f32 v[6:7], v[12:13], v[16:17]
	global_store_dwordx2 v[10:11], v[6:7], off offset:384
	global_load_dwordx2 v[6:7], v[8:9], off
	v_pk_mul_f32 v[10:11], v[88:89], s[0:1] op_sel_hi:[0,1]
	v_pk_fma_f32 v[12:13], v[86:87], s[0:1], v[10:11] op_sel:[0,1,0] op_sel_hi:[1,0,1] neg_lo:[0,0,1] neg_hi:[0,0,1]
	v_pk_fma_f32 v[10:11], v[86:87], s[0:1], v[10:11] op_sel:[0,1,0] op_sel_hi:[0,0,1]
	v_mov_b32_e32 v13, v11
	v_lshl_add_u64 v[10:11], v[2:3], 0, v[0:1]
	v_lshl_add_u64 v[2:3], v[2:3], 0, s[8:9]
	s_waitcnt vmcnt(0)
	v_pk_mul_f32 v[14:15], v[6:7], s[2:3] op_sel_hi:[1,0]
	s_nop 0
	v_pk_fma_f32 v[16:17], v[6:7], s[6:7], v[14:15] op_sel:[0,0,1] op_sel_hi:[1,1,0] neg_lo:[0,0,1] neg_hi:[0,0,1]
	v_pk_fma_f32 v[6:7], v[6:7], s[6:7], v[14:15] op_sel:[0,0,1] op_sel_hi:[1,0,0]
	s_nop 0
	v_mov_b32_e32 v17, v7
	v_pk_add_f32 v[6:7], v[12:13], v[16:17]
	global_store_dwordx2 v[10:11], v[6:7], off
	global_load_dwordx2 v[6:7], v[8:9], off offset:128
	v_pk_mul_f32 v[12:13], v[84:85], s[0:1] op_sel_hi:[0,1]
	v_pk_fma_f32 v[14:15], v[82:83], s[0:1], v[12:13] op_sel:[0,1,0] op_sel_hi:[1,0,1] neg_lo:[0,0,1] neg_hi:[0,0,1]
	v_pk_fma_f32 v[12:13], v[82:83], s[0:1], v[12:13] op_sel:[0,1,0] op_sel_hi:[0,0,1]
	v_mov_b32_e32 v15, v13
	s_waitcnt vmcnt(0)
	v_pk_mul_f32 v[12:13], v[6:7], s[2:3] op_sel_hi:[1,0]
	s_nop 0
	v_pk_fma_f32 v[16:17], v[6:7], s[6:7], v[12:13] op_sel:[0,0,1] op_sel_hi:[1,1,0] neg_lo:[0,0,1] neg_hi:[0,0,1]
	v_pk_fma_f32 v[6:7], v[6:7], s[6:7], v[12:13] op_sel:[0,0,1] op_sel_hi:[1,0,0]
	v_pk_mul_f32 v[12:13], v[80:81], s[0:1] op_sel_hi:[0,1]
	v_mov_b32_e32 v17, v7
	v_pk_add_f32 v[6:7], v[14:15], v[16:17]
	global_store_dwordx2 v[10:11], v[6:7], off offset:128
	global_load_dwordx2 v[6:7], v[8:9], off offset:256
	v_pk_fma_f32 v[14:15], v[78:79], s[0:1], v[12:13] op_sel:[0,1,0] op_sel_hi:[1,0,1] neg_lo:[0,0,1] neg_hi:[0,0,1]
	v_pk_fma_f32 v[12:13], v[78:79], s[0:1], v[12:13] op_sel:[0,1,0] op_sel_hi:[0,0,1]
	v_mov_b32_e32 v15, v13
	s_waitcnt vmcnt(0)
	v_pk_mul_f32 v[12:13], v[6:7], s[2:3] op_sel_hi:[1,0]
	s_nop 0
	v_pk_fma_f32 v[16:17], v[6:7], s[6:7], v[12:13] op_sel:[0,0,1] op_sel_hi:[1,1,0] neg_lo:[0,0,1] neg_hi:[0,0,1]
	v_pk_fma_f32 v[6:7], v[6:7], s[6:7], v[12:13] op_sel:[0,0,1] op_sel_hi:[1,0,0]
	s_nop 0
	v_mov_b32_e32 v17, v7
	v_pk_add_f32 v[6:7], v[14:15], v[16:17]
	global_store_dwordx2 v[10:11], v[6:7], off offset:256
	global_load_dwordx2 v[6:7], v[8:9], off offset:384
	v_pk_mul_f32 v[8:9], v[76:77], s[0:1] op_sel_hi:[0,1]
	v_pk_fma_f32 v[12:13], v[74:75], s[0:1], v[8:9] op_sel:[0,1,0] op_sel_hi:[1,0,1] neg_lo:[0,0,1] neg_hi:[0,0,1]
	v_pk_fma_f32 v[8:9], v[74:75], s[0:1], v[8:9] op_sel:[0,1,0] op_sel_hi:[0,0,1]
	v_mov_b32_e32 v13, v9
	v_lshl_add_u64 v[8:9], v[4:5], 0, v[0:1]
	v_lshl_add_u64 v[4:5], v[4:5], 0, s[4:5]
	;; [unrolled: 1-line block ×3, first 2 shown]
	s_waitcnt vmcnt(0)
	v_pk_mul_f32 v[14:15], v[6:7], s[2:3] op_sel_hi:[1,0]
	s_nop 0
	v_pk_fma_f32 v[16:17], v[6:7], s[6:7], v[14:15] op_sel:[0,0,1] op_sel_hi:[1,1,0] neg_lo:[0,0,1] neg_hi:[0,0,1]
	v_pk_fma_f32 v[6:7], v[6:7], s[6:7], v[14:15] op_sel:[0,0,1] op_sel_hi:[1,0,0]
	s_nop 0
	v_mov_b32_e32 v17, v7
	v_pk_add_f32 v[6:7], v[12:13], v[16:17]
	global_store_dwordx2 v[10:11], v[6:7], off offset:384
	global_load_dwordx2 v[6:7], v[8:9], off
	v_pk_mul_f32 v[10:11], v[72:73], s[0:1] op_sel_hi:[0,1]
	v_pk_fma_f32 v[12:13], v[70:71], s[0:1], v[10:11] op_sel:[0,1,0] op_sel_hi:[1,0,1] neg_lo:[0,0,1] neg_hi:[0,0,1]
	v_pk_fma_f32 v[10:11], v[70:71], s[0:1], v[10:11] op_sel:[0,1,0] op_sel_hi:[0,0,1]
	v_mov_b32_e32 v13, v11
	v_lshl_add_u64 v[10:11], v[2:3], 0, v[0:1]
	v_lshl_add_u64 v[2:3], v[2:3], 0, s[8:9]
	;; [unrolled: 1-line block ×3, first 2 shown]
	s_waitcnt vmcnt(0)
	v_pk_mul_f32 v[14:15], v[6:7], s[2:3] op_sel_hi:[1,0]
	s_nop 0
	v_pk_fma_f32 v[16:17], v[6:7], s[6:7], v[14:15] op_sel:[0,0,1] op_sel_hi:[1,1,0] neg_lo:[0,0,1] neg_hi:[0,0,1]
	v_pk_fma_f32 v[6:7], v[6:7], s[6:7], v[14:15] op_sel:[0,0,1] op_sel_hi:[1,0,0]
	s_nop 0
	v_mov_b32_e32 v17, v7
	v_pk_add_f32 v[6:7], v[12:13], v[16:17]
	global_store_dwordx2 v[10:11], v[6:7], off
	global_load_dwordx2 v[6:7], v[8:9], off offset:128
	v_pk_mul_f32 v[12:13], v[68:69], s[0:1] op_sel_hi:[0,1]
	v_pk_fma_f32 v[14:15], v[66:67], s[0:1], v[12:13] op_sel:[0,1,0] op_sel_hi:[1,0,1] neg_lo:[0,0,1] neg_hi:[0,0,1]
	v_pk_fma_f32 v[12:13], v[66:67], s[0:1], v[12:13] op_sel:[0,1,0] op_sel_hi:[0,0,1]
	v_mov_b32_e32 v15, v13
	s_waitcnt vmcnt(0)
	v_pk_mul_f32 v[12:13], v[6:7], s[2:3] op_sel_hi:[1,0]
	s_nop 0
	v_pk_fma_f32 v[16:17], v[6:7], s[6:7], v[12:13] op_sel:[0,0,1] op_sel_hi:[1,1,0] neg_lo:[0,0,1] neg_hi:[0,0,1]
	v_pk_fma_f32 v[6:7], v[6:7], s[6:7], v[12:13] op_sel:[0,0,1] op_sel_hi:[1,0,0]
	v_pk_mul_f32 v[12:13], v[64:65], s[0:1] op_sel_hi:[0,1]
	v_mov_b32_e32 v17, v7
	v_pk_add_f32 v[6:7], v[14:15], v[16:17]
	global_store_dwordx2 v[10:11], v[6:7], off offset:128
	global_load_dwordx2 v[6:7], v[8:9], off offset:256
	v_pk_fma_f32 v[14:15], v[62:63], s[0:1], v[12:13] op_sel:[0,1,0] op_sel_hi:[1,0,1] neg_lo:[0,0,1] neg_hi:[0,0,1]
	v_pk_fma_f32 v[12:13], v[62:63], s[0:1], v[12:13] op_sel:[0,1,0] op_sel_hi:[0,0,1]
	v_mov_b32_e32 v15, v13
	s_waitcnt vmcnt(0)
	v_pk_mul_f32 v[12:13], v[6:7], s[2:3] op_sel_hi:[1,0]
	s_nop 0
	v_pk_fma_f32 v[16:17], v[6:7], s[6:7], v[12:13] op_sel:[0,0,1] op_sel_hi:[1,1,0] neg_lo:[0,0,1] neg_hi:[0,0,1]
	v_pk_fma_f32 v[6:7], v[6:7], s[6:7], v[12:13] op_sel:[0,0,1] op_sel_hi:[1,0,0]
	s_nop 0
	v_mov_b32_e32 v17, v7
	v_pk_add_f32 v[6:7], v[14:15], v[16:17]
	global_store_dwordx2 v[10:11], v[6:7], off offset:256
	global_load_dwordx2 v[6:7], v[8:9], off offset:384
	v_pk_mul_f32 v[8:9], v[60:61], s[0:1] op_sel_hi:[0,1]
	v_pk_fma_f32 v[12:13], v[56:57], s[0:1], v[8:9] op_sel:[0,1,0] op_sel_hi:[1,0,1] neg_lo:[0,0,1] neg_hi:[0,0,1]
	v_pk_fma_f32 v[8:9], v[56:57], s[0:1], v[8:9] op_sel:[0,1,0] op_sel_hi:[0,0,1]
	v_mov_b32_e32 v13, v9
	s_waitcnt vmcnt(0)
	v_pk_mul_f32 v[8:9], v[6:7], s[2:3] op_sel_hi:[1,0]
	s_nop 0
	v_pk_fma_f32 v[14:15], v[6:7], s[6:7], v[8:9] op_sel:[0,0,1] op_sel_hi:[1,1,0] neg_lo:[0,0,1] neg_hi:[0,0,1]
	v_pk_fma_f32 v[6:7], v[6:7], s[6:7], v[8:9] op_sel:[0,0,1] op_sel_hi:[1,0,0]
	v_pk_mul_f32 v[8:9], v[48:49], s[0:1] op_sel_hi:[0,1]
	v_mov_b32_e32 v15, v7
	v_pk_add_f32 v[6:7], v[12:13], v[14:15]
	global_store_dwordx2 v[10:11], v[6:7], off offset:384
	global_load_dwordx2 v[6:7], v[4:5], off
	v_pk_fma_f32 v[10:11], v[46:47], s[0:1], v[8:9] op_sel:[0,1,0] op_sel_hi:[1,0,1] neg_lo:[0,0,1] neg_hi:[0,0,1]
	v_pk_fma_f32 v[8:9], v[46:47], s[0:1], v[8:9] op_sel:[0,1,0] op_sel_hi:[0,0,1]
	v_mov_b32_e32 v11, v9
	s_waitcnt vmcnt(0)
	v_pk_mul_f32 v[2:3], v[6:7], s[2:3] op_sel_hi:[1,0]
	s_nop 0
	v_pk_fma_f32 v[8:9], v[6:7], s[6:7], v[2:3] op_sel:[0,0,1] op_sel_hi:[1,1,0] neg_lo:[0,0,1] neg_hi:[0,0,1]
	v_pk_fma_f32 v[2:3], v[6:7], s[6:7], v[2:3] op_sel:[0,0,1] op_sel_hi:[1,0,0]
	v_pk_mul_f32 v[6:7], v[44:45], s[0:1] op_sel_hi:[0,1]
	v_mov_b32_e32 v9, v3
	v_pk_add_f32 v[2:3], v[10:11], v[8:9]
	global_store_dwordx2 v[0:1], v[2:3], off
	global_load_dwordx2 v[2:3], v[4:5], off offset:128
	v_pk_fma_f32 v[8:9], v[42:43], s[0:1], v[6:7] op_sel:[0,1,0] op_sel_hi:[1,0,1] neg_lo:[0,0,1] neg_hi:[0,0,1]
	v_pk_fma_f32 v[6:7], v[42:43], s[0:1], v[6:7] op_sel:[0,1,0] op_sel_hi:[0,0,1]
	v_mov_b32_e32 v9, v7
	s_waitcnt vmcnt(0)
	v_pk_mul_f32 v[6:7], v[2:3], s[2:3] op_sel_hi:[1,0]
	s_nop 0
	v_pk_fma_f32 v[10:11], v[2:3], s[6:7], v[6:7] op_sel:[0,0,1] op_sel_hi:[1,1,0] neg_lo:[0,0,1] neg_hi:[0,0,1]
	v_pk_fma_f32 v[2:3], v[2:3], s[6:7], v[6:7] op_sel:[0,0,1] op_sel_hi:[1,0,0]
	v_mov_b32_e32 v6, v41
	v_mov_b32_e32 v11, v3
	v_pk_add_f32 v[2:3], v[8:9], v[10:11]
	global_store_dwordx2 v[0:1], v[2:3], off offset:128
	global_load_dwordx2 v[2:3], v[4:5], off offset:256
	v_pk_mul_f32 v[6:7], v[6:7], s[0:1] op_sel_hi:[0,1]
	v_pk_fma_f32 v[8:9], v[40:41], s[0:1], v[6:7] op_sel:[0,1,0] op_sel_hi:[1,0,1] neg_lo:[0,0,1] neg_hi:[0,0,1]
	v_pk_fma_f32 v[6:7], v[40:41], s[0:1], v[6:7] op_sel:[0,1,0] op_sel_hi:[0,0,1]
	v_mov_b32_e32 v9, v7
	s_waitcnt vmcnt(0)
	v_pk_mul_f32 v[6:7], v[2:3], s[2:3] op_sel_hi:[1,0]
	s_nop 0
	v_pk_fma_f32 v[10:11], v[2:3], s[6:7], v[6:7] op_sel:[0,0,1] op_sel_hi:[1,1,0] neg_lo:[0,0,1] neg_hi:[0,0,1]
	v_pk_fma_f32 v[2:3], v[2:3], s[6:7], v[6:7] op_sel:[0,0,1] op_sel_hi:[1,0,0]
	v_mov_b32_e32 v6, v58
	v_mov_b32_e32 v11, v3
	v_pk_add_f32 v[2:3], v[8:9], v[10:11]
	global_store_dwordx2 v[0:1], v[2:3], off offset:256
	global_load_dwordx2 v[2:3], v[4:5], off offset:384
	v_mul_f32_e32 v4, s1, v58
	s_mov_b32 s1, s7
	s_mov_b64 s[2:3], 0x180
	v_fma_f32 v8, -v59, s0, v4
	v_lshl_add_u64 v[4:5], v[0:1], 0, s[2:3]
	s_waitcnt vmcnt(0)
	v_mul_f32_e32 v9, s7, v3
	v_mov_b32_e32 v7, v2
	v_fma_f32 v9, v2, s6, -v9
	v_mov_b32_e32 v2, v59
	v_pk_mul_f32 v[2:3], v[2:3], s[10:11]
	v_add_f32_e32 v8, v8, v9
	v_pk_fma_f32 v[2:3], v[6:7], s[0:1], v[2:3]
	global_store_dword v[0:1], v8, off offset:384
	v_add_f32_e32 v6, v2, v3
.LBB91_7:
	global_store_dword v[4:5], v6, off offset:4
	s_endpgm
	.section	.rodata,"a",@progbits
	.p2align	6, 0x0
	.amdhsa_kernel _ZN12_GLOBAL__N_127rocblas_gemm_batched_kernelI19rocblas_complex_numIfELi16ELi16ELi64ELi64ELi4ELi64ELi4ELi4ELi64ELc78ELc84EKS2_S3_S2_EEvlllT_PT11_llS6_llS4_PT12_llPT13_lli
		.amdhsa_group_segment_fixed_size 4096
		.amdhsa_private_segment_fixed_size 0
		.amdhsa_kernarg_size 140
		.amdhsa_user_sgpr_count 2
		.amdhsa_user_sgpr_dispatch_ptr 0
		.amdhsa_user_sgpr_queue_ptr 0
		.amdhsa_user_sgpr_kernarg_segment_ptr 1
		.amdhsa_user_sgpr_dispatch_id 0
		.amdhsa_user_sgpr_kernarg_preload_length 0
		.amdhsa_user_sgpr_kernarg_preload_offset 0
		.amdhsa_user_sgpr_private_segment_size 0
		.amdhsa_uses_dynamic_stack 0
		.amdhsa_enable_private_segment 0
		.amdhsa_system_sgpr_workgroup_id_x 1
		.amdhsa_system_sgpr_workgroup_id_y 1
		.amdhsa_system_sgpr_workgroup_id_z 1
		.amdhsa_system_sgpr_workgroup_info 0
		.amdhsa_system_vgpr_workitem_id 1
		.amdhsa_next_free_vgpr 108
		.amdhsa_next_free_sgpr 28
		.amdhsa_accum_offset 108
		.amdhsa_reserve_vcc 1
		.amdhsa_float_round_mode_32 0
		.amdhsa_float_round_mode_16_64 0
		.amdhsa_float_denorm_mode_32 3
		.amdhsa_float_denorm_mode_16_64 3
		.amdhsa_dx10_clamp 1
		.amdhsa_ieee_mode 1
		.amdhsa_fp16_overflow 0
		.amdhsa_tg_split 0
		.amdhsa_exception_fp_ieee_invalid_op 0
		.amdhsa_exception_fp_denorm_src 0
		.amdhsa_exception_fp_ieee_div_zero 0
		.amdhsa_exception_fp_ieee_overflow 0
		.amdhsa_exception_fp_ieee_underflow 0
		.amdhsa_exception_fp_ieee_inexact 0
		.amdhsa_exception_int_div_zero 0
	.end_amdhsa_kernel
	.section	.text._ZN12_GLOBAL__N_127rocblas_gemm_batched_kernelI19rocblas_complex_numIfELi16ELi16ELi64ELi64ELi4ELi64ELi4ELi4ELi64ELc78ELc84EKS2_S3_S2_EEvlllT_PT11_llS6_llS4_PT12_llPT13_lli,"axG",@progbits,_ZN12_GLOBAL__N_127rocblas_gemm_batched_kernelI19rocblas_complex_numIfELi16ELi16ELi64ELi64ELi4ELi64ELi4ELi4ELi64ELc78ELc84EKS2_S3_S2_EEvlllT_PT11_llS6_llS4_PT12_llPT13_lli,comdat
.Lfunc_end91:
	.size	_ZN12_GLOBAL__N_127rocblas_gemm_batched_kernelI19rocblas_complex_numIfELi16ELi16ELi64ELi64ELi4ELi64ELi4ELi4ELi64ELc78ELc84EKS2_S3_S2_EEvlllT_PT11_llS6_llS4_PT12_llPT13_lli, .Lfunc_end91-_ZN12_GLOBAL__N_127rocblas_gemm_batched_kernelI19rocblas_complex_numIfELi16ELi16ELi64ELi64ELi4ELi64ELi4ELi4ELi64ELc78ELc84EKS2_S3_S2_EEvlllT_PT11_llS6_llS4_PT12_llPT13_lli
                                        ; -- End function
	.set _ZN12_GLOBAL__N_127rocblas_gemm_batched_kernelI19rocblas_complex_numIfELi16ELi16ELi64ELi64ELi4ELi64ELi4ELi4ELi64ELc78ELc84EKS2_S3_S2_EEvlllT_PT11_llS6_llS4_PT12_llPT13_lli.num_vgpr, 108
	.set _ZN12_GLOBAL__N_127rocblas_gemm_batched_kernelI19rocblas_complex_numIfELi16ELi16ELi64ELi64ELi4ELi64ELi4ELi4ELi64ELc78ELc84EKS2_S3_S2_EEvlllT_PT11_llS6_llS4_PT12_llPT13_lli.num_agpr, 0
	.set _ZN12_GLOBAL__N_127rocblas_gemm_batched_kernelI19rocblas_complex_numIfELi16ELi16ELi64ELi64ELi4ELi64ELi4ELi4ELi64ELc78ELc84EKS2_S3_S2_EEvlllT_PT11_llS6_llS4_PT12_llPT13_lli.numbered_sgpr, 28
	.set _ZN12_GLOBAL__N_127rocblas_gemm_batched_kernelI19rocblas_complex_numIfELi16ELi16ELi64ELi64ELi4ELi64ELi4ELi4ELi64ELc78ELc84EKS2_S3_S2_EEvlllT_PT11_llS6_llS4_PT12_llPT13_lli.num_named_barrier, 0
	.set _ZN12_GLOBAL__N_127rocblas_gemm_batched_kernelI19rocblas_complex_numIfELi16ELi16ELi64ELi64ELi4ELi64ELi4ELi4ELi64ELc78ELc84EKS2_S3_S2_EEvlllT_PT11_llS6_llS4_PT12_llPT13_lli.private_seg_size, 0
	.set _ZN12_GLOBAL__N_127rocblas_gemm_batched_kernelI19rocblas_complex_numIfELi16ELi16ELi64ELi64ELi4ELi64ELi4ELi4ELi64ELc78ELc84EKS2_S3_S2_EEvlllT_PT11_llS6_llS4_PT12_llPT13_lli.uses_vcc, 1
	.set _ZN12_GLOBAL__N_127rocblas_gemm_batched_kernelI19rocblas_complex_numIfELi16ELi16ELi64ELi64ELi4ELi64ELi4ELi4ELi64ELc78ELc84EKS2_S3_S2_EEvlllT_PT11_llS6_llS4_PT12_llPT13_lli.uses_flat_scratch, 0
	.set _ZN12_GLOBAL__N_127rocblas_gemm_batched_kernelI19rocblas_complex_numIfELi16ELi16ELi64ELi64ELi4ELi64ELi4ELi4ELi64ELc78ELc84EKS2_S3_S2_EEvlllT_PT11_llS6_llS4_PT12_llPT13_lli.has_dyn_sized_stack, 0
	.set _ZN12_GLOBAL__N_127rocblas_gemm_batched_kernelI19rocblas_complex_numIfELi16ELi16ELi64ELi64ELi4ELi64ELi4ELi4ELi64ELc78ELc84EKS2_S3_S2_EEvlllT_PT11_llS6_llS4_PT12_llPT13_lli.has_recursion, 0
	.set _ZN12_GLOBAL__N_127rocblas_gemm_batched_kernelI19rocblas_complex_numIfELi16ELi16ELi64ELi64ELi4ELi64ELi4ELi4ELi64ELc78ELc84EKS2_S3_S2_EEvlllT_PT11_llS6_llS4_PT12_llPT13_lli.has_indirect_call, 0
	.section	.AMDGPU.csdata,"",@progbits
; Kernel info:
; codeLenInByte = 5180
; TotalNumSgprs: 34
; NumVgprs: 108
; NumAgprs: 0
; TotalNumVgprs: 108
; ScratchSize: 0
; MemoryBound: 0
; FloatMode: 240
; IeeeMode: 1
; LDSByteSize: 4096 bytes/workgroup (compile time only)
; SGPRBlocks: 4
; VGPRBlocks: 13
; NumSGPRsForWavesPerEU: 34
; NumVGPRsForWavesPerEU: 108
; AccumOffset: 108
; Occupancy: 4
; WaveLimiterHint : 1
; COMPUTE_PGM_RSRC2:SCRATCH_EN: 0
; COMPUTE_PGM_RSRC2:USER_SGPR: 2
; COMPUTE_PGM_RSRC2:TRAP_HANDLER: 0
; COMPUTE_PGM_RSRC2:TGID_X_EN: 1
; COMPUTE_PGM_RSRC2:TGID_Y_EN: 1
; COMPUTE_PGM_RSRC2:TGID_Z_EN: 1
; COMPUTE_PGM_RSRC2:TIDIG_COMP_CNT: 1
; COMPUTE_PGM_RSRC3_GFX90A:ACCUM_OFFSET: 26
; COMPUTE_PGM_RSRC3_GFX90A:TG_SPLIT: 0
	.section	.text._ZN12_GLOBAL__N_127rocblas_gemm_batched_kernelI19rocblas_complex_numIfELi16ELi16ELi64ELi64ELi4ELi64ELi4ELi4ELi64ELc84ELc84EKS2_S3_S2_EEvlllT_PT11_llS6_llS4_PT12_llPT13_lli,"axG",@progbits,_ZN12_GLOBAL__N_127rocblas_gemm_batched_kernelI19rocblas_complex_numIfELi16ELi16ELi64ELi64ELi4ELi64ELi4ELi4ELi64ELc84ELc84EKS2_S3_S2_EEvlllT_PT11_llS6_llS4_PT12_llPT13_lli,comdat
	.globl	_ZN12_GLOBAL__N_127rocblas_gemm_batched_kernelI19rocblas_complex_numIfELi16ELi16ELi64ELi64ELi4ELi64ELi4ELi4ELi64ELc84ELc84EKS2_S3_S2_EEvlllT_PT11_llS6_llS4_PT12_llPT13_lli ; -- Begin function _ZN12_GLOBAL__N_127rocblas_gemm_batched_kernelI19rocblas_complex_numIfELi16ELi16ELi64ELi64ELi4ELi64ELi4ELi4ELi64ELc84ELc84EKS2_S3_S2_EEvlllT_PT11_llS6_llS4_PT12_llPT13_lli
	.p2align	8
	.type	_ZN12_GLOBAL__N_127rocblas_gemm_batched_kernelI19rocblas_complex_numIfELi16ELi16ELi64ELi64ELi4ELi64ELi4ELi4ELi64ELc84ELc84EKS2_S3_S2_EEvlllT_PT11_llS6_llS4_PT12_llPT13_lli,@function
_ZN12_GLOBAL__N_127rocblas_gemm_batched_kernelI19rocblas_complex_numIfELi16ELi16ELi64ELi64ELi4ELi64ELi4ELi4ELi64ELc84ELc84EKS2_S3_S2_EEvlllT_PT11_llS6_llS4_PT12_llPT13_lli: ; @_ZN12_GLOBAL__N_127rocblas_gemm_batched_kernelI19rocblas_complex_numIfELi16ELi16ELi64ELi64ELi4ELi64ELi4ELi4ELi64ELc84ELc84EKS2_S3_S2_EEvlllT_PT11_llS6_llS4_PT12_llPT13_lli
; %bb.0:
	s_load_dwordx16 s[8:23], s[0:1], 0x10
	s_load_dwordx2 s[6:7], s[0:1], 0x50
	s_mov_b32 s24, s3
	v_mov_b32_e32 v39, 0
	s_ashr_i32 s3, s2, 31
	s_ashr_i32 s25, s24, 31
	s_waitcnt lgkmcnt(0)
	v_cmp_lt_i64_e64 s[26:27], s[8:9], 1
	v_bfe_u32 v38, v0, 10, 10
	v_and_b32_e32 v36, 0x3ff, v0
	v_mov_b32_e32 v37, v39
	s_lshl_b64 s[2:3], s[2:3], 6
	s_lshl_b64 s[24:25], s[24:25], 6
	s_and_b64 vcc, exec, s[26:27]
	v_mov_b32_e32 v59, v39
	v_mov_b32_e32 v58, v39
	;; [unrolled: 1-line block ×32, first 2 shown]
	s_cbranch_vccnz .LBB92_3
; %bb.1:
	v_lshl_add_u32 v4, v38, 4, v36
	v_lshrrev_b32_e32 v40, 2, v4
	v_mov_b32_e32 v41, 0
	v_lshl_add_u64 v[0:1], v[40:41], 0, s[24:25]
	v_and_b32_e32 v5, 3, v36
	v_mad_u64_u32 v[0:1], s[26:27], s20, v5, v[0:1]
	v_mov_b32_e32 v2, v1
	v_mad_u64_u32 v[2:3], s[26:27], s21, v5, v[2:3]
	v_lshlrev_b32_e32 v5, 3, v5
	v_mov_b32_e32 v1, v2
	v_and_b32_e32 v2, 63, v4
	v_mov_b32_e32 v3, v41
	v_lshl_or_b32 v5, v40, 5, v5
	v_lshrrev_b32_e32 v4, 6, v4
	v_lshlrev_b32_e32 v6, 3, v2
	v_add_u32_e32 v45, 0x800, v5
	v_mov_b32_e32 v5, 0x800
	v_lshl_add_u64 v[2:3], s[2:3], 0, v[2:3]
	v_lshl_or_b32 v43, v4, 9, v6
	v_lshl_add_u32 v49, v38, 5, v5
	v_mul_lo_u32 v5, s15, v2
	v_mul_lo_u32 v6, s14, v3
	v_mad_u64_u32 v[2:3], s[14:15], s14, v2, 0
	s_mul_i32 s5, s17, s4
	s_mul_hi_u32 s14, s16, s4
	s_add_i32 s15, s14, s5
	s_mul_i32 s14, s16, s4
	v_add3_u32 v3, v3, v6, v5
	s_lshl_b64 s[14:15], s[14:15], 3
	v_lshl_add_u64 v[2:3], v[2:3], 3, s[14:15]
	v_lshlrev_b32_e32 v40, 3, v4
	v_lshl_add_u64 v[2:3], v[2:3], 0, v[40:41]
	v_lshl_add_u64 v[50:51], s[12:13], 0, v[2:3]
	s_mul_i32 s5, s23, s4
	s_mul_hi_u32 s12, s22, s4
	s_add_i32 s13, s12, s5
	s_mul_i32 s12, s22, s4
	s_lshl_b64 s[12:13], s[12:13], 3
	s_add_u32 s12, s18, s12
	s_addc_u32 s13, s19, s13
	v_lshlrev_b32_e32 v47, 3, v36
	v_lshl_add_u64 v[52:53], v[0:1], 3, s[12:13]
	s_lshl_b64 s[12:13], s[20:21], 5
	s_mov_b64 s[14:15], 0
	v_mov_b64_e32 v[54:55], s[8:9]
	v_mov_b32_e32 v40, v41
	v_mov_b32_e32 v44, v41
	;; [unrolled: 1-line block ×31, first 2 shown]
.LBB92_2:                               ; =>This Inner Loop Header: Depth=1
	global_load_dwordx2 v[0:1], v[50:51], off
	s_add_u32 s14, s14, 4
	s_addc_u32 s15, s15, 0
	v_cmp_lt_i64_e32 vcc, s[14:15], v[54:55]
	v_lshl_add_u64 v[50:51], v[50:51], 0, 32
	s_and_b64 vcc, exec, vcc
	s_waitcnt vmcnt(0)
	ds_write_b64 v43, v[0:1]
	global_load_dwordx2 v[0:1], v[52:53], off
	v_lshl_add_u64 v[52:53], v[52:53], 0, s[12:13]
	s_waitcnt vmcnt(0)
	ds_write_b64 v45, v[0:1]
	s_waitcnt lgkmcnt(0)
	s_barrier
	ds_read_b128 v[0:3], v49
	ds_read_b128 v[32:35], v49 offset:16
	ds_read2_b64 v[8:11], v47 offset1:16
	ds_read2_b64 v[12:15], v47 offset0:32 offset1:48
	s_waitcnt lgkmcnt(1)
	v_mul_f32_e32 v4, v1, v9
	v_fma_f32 v4, v0, v8, -v4
	v_mul_f32_e32 v5, v0, v9
	v_add_f32_e32 v20, v102, v4
	v_mul_f32_e32 v4, v1, v11
	v_fmac_f32_e32 v5, v1, v8
	v_fma_f32 v4, v0, v10, -v4
	v_add_f32_e32 v21, v104, v5
	v_mul_f32_e32 v5, v0, v11
	v_add_f32_e32 v22, v98, v4
	s_waitcnt lgkmcnt(0)
	v_mul_f32_e32 v4, v1, v13
	v_fmac_f32_e32 v5, v1, v10
	v_fma_f32 v4, v0, v12, -v4
	v_add_f32_e32 v23, v100, v5
	v_mul_f32_e32 v5, v0, v13
	v_add_f32_e32 v57, v94, v4
	v_mul_f32_e32 v4, v1, v15
	v_fmac_f32_e32 v5, v1, v12
	v_fma_f32 v4, v0, v14, -v4
	v_mul_f32_e32 v0, v0, v15
	v_add_f32_e32 v61, v96, v5
	v_fmac_f32_e32 v0, v1, v14
	v_add_f32_e32 v1, v90, v4
	ds_read_b128 v[4:7], v49 offset:512
	ds_read_b128 v[104:107], v49 offset:1040
	v_add_f32_e32 v0, v92, v0
	s_waitcnt lgkmcnt(1)
	v_mul_f32_e32 v16, v5, v9
	v_fma_f32 v16, v4, v8, -v16
	v_mul_f32_e32 v17, v4, v9
	v_add_f32_e32 v63, v86, v16
	v_mul_f32_e32 v16, v5, v11
	v_fmac_f32_e32 v17, v5, v8
	v_fma_f32 v16, v4, v10, -v16
	v_add_f32_e32 v65, v88, v17
	v_mul_f32_e32 v17, v4, v11
	v_add_f32_e32 v67, v82, v16
	v_mul_f32_e32 v16, v5, v13
	v_fmac_f32_e32 v17, v5, v10
	v_fma_f32 v16, v4, v12, -v16
	v_add_f32_e32 v69, v84, v17
	v_mul_f32_e32 v17, v4, v13
	v_add_f32_e32 v71, v78, v16
	v_mul_f32_e32 v16, v5, v15
	v_fmac_f32_e32 v17, v5, v12
	v_fma_f32 v16, v4, v14, -v16
	v_mul_f32_e32 v4, v4, v15
	v_add_f32_e32 v73, v80, v17
	v_fmac_f32_e32 v4, v5, v14
	v_add_f32_e32 v5, v74, v16
	ds_read_b128 v[16:19], v49 offset:1024
	v_add_f32_e32 v4, v76, v4
	s_waitcnt lgkmcnt(0)
	v_mul_f32_e32 v24, v17, v9
	v_fma_f32 v24, v16, v8, -v24
	v_mul_f32_e32 v25, v16, v9
	v_add_f32_e32 v70, v70, v24
	v_mul_f32_e32 v24, v17, v11
	v_fmac_f32_e32 v25, v17, v8
	v_fma_f32 v24, v16, v10, -v24
	v_add_f32_e32 v72, v72, v25
	v_mul_f32_e32 v25, v16, v11
	v_add_f32_e32 v66, v66, v24
	v_mul_f32_e32 v24, v17, v13
	v_fmac_f32_e32 v25, v17, v10
	v_fma_f32 v24, v16, v12, -v24
	v_add_f32_e32 v68, v68, v25
	v_mul_f32_e32 v25, v16, v13
	v_add_f32_e32 v62, v62, v24
	v_mul_f32_e32 v24, v17, v15
	v_fmac_f32_e32 v25, v17, v12
	v_fma_f32 v24, v16, v14, -v24
	v_mul_f32_e32 v16, v16, v15
	v_add_f32_e32 v64, v64, v25
	v_fmac_f32_e32 v16, v17, v14
	v_add_f32_e32 v17, v56, v24
	ds_read2_b64 v[24:27], v47 offset0:64 offset1:80
	v_add_f32_e32 v16, v60, v16
	s_waitcnt lgkmcnt(0)
	v_mul_f32_e32 v28, v3, v25
	v_mul_f32_e32 v29, v2, v25
	v_fma_f32 v28, v2, v24, -v28
	v_fmac_f32_e32 v29, v3, v24
	v_add_f32_e32 v20, v20, v28
	v_add_f32_e32 v21, v21, v29
	v_mul_f32_e32 v28, v3, v27
	v_mul_f32_e32 v29, v2, v27
	v_fma_f32 v28, v2, v26, -v28
	v_fmac_f32_e32 v29, v3, v26
	v_add_f32_e32 v22, v22, v28
	v_add_f32_e32 v23, v23, v29
	ds_read2_b64 v[28:31], v47 offset0:96 offset1:112
	s_waitcnt lgkmcnt(0)
	v_mul_f32_e32 v56, v3, v29
	v_mul_f32_e32 v60, v2, v29
	v_fma_f32 v56, v2, v28, -v56
	v_fmac_f32_e32 v60, v3, v28
	v_add_f32_e32 v56, v57, v56
	v_add_f32_e32 v57, v61, v60
	v_mul_f32_e32 v60, v3, v31
	v_fma_f32 v60, v2, v30, -v60
	v_mul_f32_e32 v2, v2, v31
	v_fmac_f32_e32 v2, v3, v30
	v_add_f32_e32 v60, v1, v60
	v_add_f32_e32 v61, v0, v2
	v_mul_f32_e32 v0, v7, v25
	v_mul_f32_e32 v1, v6, v25
	v_fma_f32 v0, v6, v24, -v0
	v_fmac_f32_e32 v1, v7, v24
	v_add_f32_e32 v74, v63, v0
	v_add_f32_e32 v65, v65, v1
	v_mul_f32_e32 v0, v7, v27
	v_mul_f32_e32 v1, v6, v27
	v_fma_f32 v0, v6, v26, -v0
	v_fmac_f32_e32 v1, v7, v26
	v_add_f32_e32 v67, v67, v0
	v_add_f32_e32 v69, v69, v1
	v_mul_f32_e32 v0, v7, v29
	v_mul_f32_e32 v1, v6, v29
	v_fma_f32 v0, v6, v28, -v0
	v_fmac_f32_e32 v1, v7, v28
	v_add_f32_e32 v71, v71, v0
	v_add_f32_e32 v73, v73, v1
	v_mul_f32_e32 v0, v7, v31
	v_mul_f32_e32 v1, v6, v31
	v_fma_f32 v0, v6, v30, -v0
	v_fmac_f32_e32 v1, v7, v30
	v_add_f32_e32 v75, v5, v0
	v_add_f32_e32 v76, v4, v1
	v_mul_f32_e32 v0, v19, v25
	v_mul_f32_e32 v1, v18, v25
	v_fma_f32 v0, v18, v24, -v0
	v_fmac_f32_e32 v1, v19, v24
	v_add_f32_e32 v70, v70, v0
	v_add_f32_e32 v72, v72, v1
	v_mul_f32_e32 v0, v19, v27
	v_mul_f32_e32 v1, v18, v27
	v_fma_f32 v0, v18, v26, -v0
	v_fmac_f32_e32 v1, v19, v26
	ds_read2_b64 v[4:7], v47 offset0:128 offset1:144
	v_add_f32_e32 v66, v66, v0
	v_add_f32_e32 v68, v68, v1
	v_mul_f32_e32 v0, v19, v29
	v_mul_f32_e32 v1, v18, v29
	v_fma_f32 v0, v18, v28, -v0
	v_fmac_f32_e32 v1, v19, v28
	v_add_f32_e32 v77, v62, v0
	v_add_f32_e32 v64, v64, v1
	v_mul_f32_e32 v0, v19, v31
	v_mul_f32_e32 v1, v18, v31
	v_fma_f32 v0, v18, v30, -v0
	v_fmac_f32_e32 v1, v19, v30
	v_add_f32_e32 v17, v17, v0
	v_add_f32_e32 v16, v16, v1
	s_waitcnt lgkmcnt(0)
	v_mul_f32_e32 v0, v33, v5
	v_mul_f32_e32 v1, v32, v5
	v_fma_f32 v0, v32, v4, -v0
	v_fmac_f32_e32 v1, v33, v4
	v_add_f32_e32 v18, v20, v0
	v_add_f32_e32 v19, v21, v1
	v_mul_f32_e32 v0, v33, v7
	v_mul_f32_e32 v1, v32, v7
	v_fma_f32 v0, v32, v6, -v0
	v_fmac_f32_e32 v1, v33, v6
	v_add_f32_e32 v78, v22, v0
	v_add_f32_e32 v79, v23, v1
	ds_read2_b64 v[0:3], v47 offset0:160 offset1:176
	s_waitcnt lgkmcnt(0)
	v_mul_f32_e32 v20, v33, v1
	v_mul_f32_e32 v21, v32, v1
	v_fma_f32 v20, v32, v0, -v20
	v_fmac_f32_e32 v21, v33, v0
	v_add_f32_e32 v56, v56, v20
	v_add_f32_e32 v57, v57, v21
	v_mul_f32_e32 v20, v33, v3
	v_mul_f32_e32 v21, v32, v3
	v_fma_f32 v20, v32, v2, -v20
	v_fmac_f32_e32 v21, v33, v2
	v_add_f32_e32 v32, v60, v20
	v_add_f32_e32 v33, v61, v21
	ds_read_b128 v[60:63], v49 offset:528
	s_waitcnt lgkmcnt(0)
	v_mul_f32_e32 v20, v61, v5
	v_mul_f32_e32 v21, v60, v5
	v_fma_f32 v20, v60, v4, -v20
	v_fmac_f32_e32 v21, v61, v4
	v_add_f32_e32 v74, v74, v20
	v_add_f32_e32 v65, v65, v21
	v_mul_f32_e32 v20, v61, v7
	v_mul_f32_e32 v21, v60, v7
	v_fma_f32 v20, v60, v6, -v20
	v_fmac_f32_e32 v21, v61, v6
	v_add_f32_e32 v67, v67, v20
	v_add_f32_e32 v69, v69, v21
	;; [unrolled: 6-line block ×8, first 2 shown]
	ds_read2_b64 v[20:23], v47 offset0:192 offset1:208
	s_waitcnt lgkmcnt(0)
	v_mul_f32_e32 v16, v35, v21
	v_mul_f32_e32 v17, v34, v21
	v_fma_f32 v16, v34, v20, -v16
	v_fmac_f32_e32 v17, v35, v20
	v_add_f32_e32 v102, v18, v16
	v_add_f32_e32 v104, v19, v17
	v_mul_f32_e32 v16, v35, v23
	v_mul_f32_e32 v17, v34, v23
	v_fma_f32 v16, v34, v22, -v16
	v_fmac_f32_e32 v17, v35, v22
	v_add_f32_e32 v98, v78, v16
	v_add_f32_e32 v100, v79, v17
	ds_read2_b64 v[16:19], v47 offset0:224 offset1:240
	s_waitcnt lgkmcnt(0)
	v_mul_f32_e32 v76, v35, v17
	v_fma_f32 v76, v34, v16, -v76
	v_add_f32_e32 v94, v56, v76
	v_mul_f32_e32 v56, v35, v19
	v_mul_f32_e32 v78, v34, v17
	v_fma_f32 v56, v34, v18, -v56
	v_mul_f32_e32 v34, v34, v19
	v_fmac_f32_e32 v34, v35, v18
	v_add_f32_e32 v90, v32, v56
	v_add_f32_e32 v92, v33, v34
	v_mul_f32_e32 v32, v63, v21
	v_mul_f32_e32 v33, v62, v21
	v_fma_f32 v32, v62, v20, -v32
	v_fmac_f32_e32 v33, v63, v20
	v_add_f32_e32 v86, v74, v32
	v_add_f32_e32 v88, v65, v33
	v_mul_f32_e32 v32, v63, v23
	v_mul_f32_e32 v33, v62, v23
	v_fma_f32 v32, v62, v22, -v32
	v_fmac_f32_e32 v33, v63, v22
	v_add_f32_e32 v82, v67, v32
	v_add_f32_e32 v84, v69, v33
	v_mul_f32_e32 v32, v63, v17
	v_mul_f32_e32 v33, v62, v17
	v_fmac_f32_e32 v78, v35, v16
	v_fma_f32 v32, v62, v16, -v32
	v_fmac_f32_e32 v33, v63, v16
	v_add_f32_e32 v96, v57, v78
	v_add_f32_e32 v78, v71, v32
	;; [unrolled: 1-line block ×3, first 2 shown]
	v_mul_f32_e32 v32, v63, v19
	v_mul_f32_e32 v33, v62, v19
	v_fma_f32 v32, v62, v18, -v32
	v_fmac_f32_e32 v33, v63, v18
	v_add_f32_e32 v74, v60, v32
	v_add_f32_e32 v76, v61, v33
	v_mul_f32_e32 v32, v107, v21
	v_mul_f32_e32 v33, v106, v21
	v_fma_f32 v32, v106, v20, -v32
	v_fmac_f32_e32 v33, v107, v20
	v_add_f32_e32 v70, v70, v32
	v_add_f32_e32 v72, v72, v33
	;; [unrolled: 6-line block ×5, first 2 shown]
	ds_read_b128 v[32:35], v49 offset:1536
	s_waitcnt lgkmcnt(0)
	v_mul_f32_e32 v57, v33, v9
	v_mul_f32_e32 v9, v32, v9
	v_fmac_f32_e32 v9, v33, v8
	v_fma_f32 v57, v32, v8, -v57
	v_add_f32_e32 v48, v48, v9
	v_mul_f32_e32 v8, v33, v11
	v_mul_f32_e32 v9, v32, v11
	v_fma_f32 v8, v32, v10, -v8
	v_fmac_f32_e32 v9, v33, v10
	v_add_f32_e32 v42, v42, v8
	v_add_f32_e32 v44, v44, v9
	v_mul_f32_e32 v8, v33, v13
	v_mul_f32_e32 v9, v32, v13
	v_fma_f32 v8, v32, v12, -v8
	v_fmac_f32_e32 v9, v33, v12
	v_add_f32_e32 v12, v40, v8
	v_add_f32_e32 v13, v41, v9
	v_pk_mul_f32 v[8:9], v[32:33], v[14:15] op_sel:[1,1] op_sel_hi:[0,1]
	v_pk_fma_f32 v[10:11], v[32:33], v[14:15], v[8:9] neg_lo:[0,0,1] neg_hi:[0,0,1]
	v_pk_fma_f32 v[8:9], v[32:33], v[14:15], v[8:9] op_sel_hi:[1,0,1]
	v_add_f32_e32 v46, v46, v57
	v_mov_b32_e32 v11, v9
	v_pk_add_f32 v[8:9], v[58:59], v[10:11]
	v_mul_f32_e32 v10, v35, v25
	v_mul_f32_e32 v11, v34, v25
	v_fma_f32 v10, v34, v24, -v10
	v_fmac_f32_e32 v11, v35, v24
	v_add_f32_e32 v32, v46, v10
	v_add_f32_e32 v33, v48, v11
	v_mul_f32_e32 v10, v35, v27
	v_mul_f32_e32 v11, v34, v27
	v_fma_f32 v10, v34, v26, -v10
	v_fmac_f32_e32 v11, v35, v26
	v_add_f32_e32 v24, v42, v10
	v_add_f32_e32 v25, v44, v11
	;; [unrolled: 6-line block ×3, first 2 shown]
	v_pk_mul_f32 v[10:11], v[34:35], v[30:31] op_sel:[1,1] op_sel_hi:[0,1]
	v_pk_fma_f32 v[12:13], v[34:35], v[30:31], v[10:11] neg_lo:[0,0,1] neg_hi:[0,0,1]
	v_pk_fma_f32 v[10:11], v[34:35], v[30:31], v[10:11] op_sel_hi:[1,0,1]
	s_nop 0
	v_mov_b32_e32 v13, v11
	v_pk_add_f32 v[12:13], v[8:9], v[12:13]
	ds_read_b128 v[8:11], v49 offset:1552
	s_waitcnt lgkmcnt(0)
	s_barrier
	v_mul_f32_e32 v26, v9, v5
	v_mul_f32_e32 v5, v8, v5
	v_fma_f32 v26, v8, v4, -v26
	v_fmac_f32_e32 v5, v9, v4
	v_mul_f32_e32 v4, v9, v7
	v_add_f32_e32 v27, v33, v5
	v_fma_f32 v4, v8, v6, -v4
	v_mul_f32_e32 v5, v8, v7
	v_fmac_f32_e32 v5, v9, v6
	v_add_f32_e32 v6, v24, v4
	v_mul_f32_e32 v4, v9, v1
	v_mul_f32_e32 v1, v8, v1
	v_fmac_f32_e32 v1, v9, v0
	v_fma_f32 v4, v8, v0, -v4
	v_add_f32_e32 v15, v15, v1
	v_pk_mul_f32 v[0:1], v[8:9], v[2:3] op_sel:[1,1] op_sel_hi:[0,1]
	v_add_f32_e32 v7, v25, v5
	v_add_f32_e32 v14, v14, v4
	v_pk_fma_f32 v[4:5], v[8:9], v[2:3], v[0:1] neg_lo:[0,0,1] neg_hi:[0,0,1]
	v_pk_fma_f32 v[0:1], v[8:9], v[2:3], v[0:1] op_sel_hi:[1,0,1]
	v_mul_f32_e32 v2, v11, v21
	v_mul_f32_e32 v3, v10, v21
	v_add_f32_e32 v26, v32, v26
	v_fma_f32 v2, v10, v20, -v2
	v_fmac_f32_e32 v3, v11, v20
	v_add_f32_e32 v46, v26, v2
	v_add_f32_e32 v48, v27, v3
	v_mul_f32_e32 v2, v11, v23
	v_mul_f32_e32 v3, v10, v23
	v_fma_f32 v2, v10, v22, -v2
	v_fmac_f32_e32 v3, v11, v22
	v_add_f32_e32 v42, v6, v2
	v_add_f32_e32 v44, v7, v3
	v_mul_f32_e32 v2, v11, v17
	v_mul_f32_e32 v3, v10, v17
	v_fma_f32 v2, v10, v16, -v2
	v_fmac_f32_e32 v3, v11, v16
	v_mov_b32_e32 v5, v1
	v_add_f32_e32 v40, v14, v2
	v_add_f32_e32 v41, v15, v3
	v_pk_mul_f32 v[2:3], v[10:11], v[18:19] op_sel:[1,1] op_sel_hi:[0,1]
	v_pk_add_f32 v[0:1], v[12:13], v[4:5]
	v_pk_fma_f32 v[4:5], v[10:11], v[18:19], v[2:3] neg_lo:[0,0,1] neg_hi:[0,0,1]
	v_pk_fma_f32 v[2:3], v[10:11], v[18:19], v[2:3] op_sel_hi:[1,0,1]
	s_nop 0
	v_mov_b32_e32 v5, v3
	v_pk_add_f32 v[58:59], v[0:1], v[4:5]
	s_cbranch_vccnz .LBB92_2
.LBB92_3:
	s_load_dwordx4 s[20:23], s[0:1], 0x78
	s_load_dwordx8 s[12:19], s[0:1], 0x58
	v_lshl_add_u64 v[2:3], s[24:25], 0, v[38:39]
	v_lshl_add_u64 v[0:1], s[2:3], 0, v[36:37]
	s_waitcnt lgkmcnt(0)
	s_mul_i32 s1, s23, s4
	s_mul_hi_u32 s5, s22, s4
	s_mul_i32 s0, s22, s4
	s_add_i32 s1, s5, s1
	s_lshl_b64 s[0:1], s[0:1], 3
	s_add_u32 s8, s18, s0
	s_addc_u32 s9, s19, s1
	s_or_b32 s0, s6, s7
	s_bitset0_b32 s0, 31
	s_cmp_lg_u32 s0, 0
	s_mov_b32 s0, s11
	s_mov_b32 s1, s10
	s_cbranch_scc1 .LBB92_5
; %bb.4:
	v_mul_lo_u32 v6, v3, s20
	v_mul_lo_u32 v7, v2, s21
	v_mad_u64_u32 v[4:5], s[2:3], v2, s20, 0
	v_add3_u32 v5, v5, v7, v6
	v_pk_mul_f32 v[6:7], v[104:105], s[0:1] op_sel_hi:[0,1]
	v_lshl_add_u64 v[4:5], v[4:5], 3, s[8:9]
	v_lshlrev_b64 v[8:9], 3, v[0:1]
	v_pk_fma_f32 v[12:13], v[102:103], s[0:1], v[6:7] op_sel:[0,1,0] op_sel_hi:[1,0,1] neg_lo:[0,0,1] neg_hi:[0,0,1]
	v_pk_fma_f32 v[6:7], v[102:103], s[0:1], v[6:7] op_sel:[0,1,0] op_sel_hi:[0,0,1]
	v_lshl_add_u64 v[10:11], v[4:5], 0, v[8:9]
	v_mov_b32_e32 v13, v7
	v_pk_mul_f32 v[6:7], v[100:101], s[0:1] op_sel_hi:[0,1]
	global_store_dwordx2 v[10:11], v[12:13], off
	v_pk_fma_f32 v[12:13], v[98:99], s[0:1], v[6:7] op_sel:[0,1,0] op_sel_hi:[1,0,1] neg_lo:[0,0,1] neg_hi:[0,0,1]
	v_pk_fma_f32 v[6:7], v[98:99], s[0:1], v[6:7] op_sel:[0,1,0] op_sel_hi:[0,0,1]
	v_mov_b32_e32 v13, v7
	v_pk_mul_f32 v[6:7], v[96:97], s[0:1] op_sel_hi:[0,1]
	global_store_dwordx2 v[10:11], v[12:13], off offset:128
	v_pk_fma_f32 v[12:13], v[94:95], s[0:1], v[6:7] op_sel:[0,1,0] op_sel_hi:[1,0,1] neg_lo:[0,0,1] neg_hi:[0,0,1]
	v_pk_fma_f32 v[6:7], v[94:95], s[0:1], v[6:7] op_sel:[0,1,0] op_sel_hi:[0,0,1]
	v_mov_b32_e32 v13, v7
	v_pk_mul_f32 v[6:7], v[92:93], s[0:1] op_sel_hi:[0,1]
	global_store_dwordx2 v[10:11], v[12:13], off offset:256
	v_pk_fma_f32 v[12:13], v[90:91], s[0:1], v[6:7] op_sel:[0,1,0] op_sel_hi:[1,0,1] neg_lo:[0,0,1] neg_hi:[0,0,1]
	v_pk_fma_f32 v[6:7], v[90:91], s[0:1], v[6:7] op_sel:[0,1,0] op_sel_hi:[0,0,1]
	v_mov_b32_e32 v13, v7
	s_lshl_b64 s[2:3], s[20:21], 7
	v_pk_mul_f32 v[6:7], v[88:89], s[0:1] op_sel_hi:[0,1]
	global_store_dwordx2 v[10:11], v[12:13], off offset:384
	v_lshl_add_u64 v[4:5], v[4:5], 0, s[2:3]
	v_pk_fma_f32 v[12:13], v[86:87], s[0:1], v[6:7] op_sel:[0,1,0] op_sel_hi:[1,0,1] neg_lo:[0,0,1] neg_hi:[0,0,1]
	v_pk_fma_f32 v[6:7], v[86:87], s[0:1], v[6:7] op_sel:[0,1,0] op_sel_hi:[0,0,1]
	v_lshl_add_u64 v[10:11], v[4:5], 0, v[8:9]
	v_mov_b32_e32 v13, v7
	v_pk_mul_f32 v[6:7], v[84:85], s[0:1] op_sel_hi:[0,1]
	global_store_dwordx2 v[10:11], v[12:13], off
	v_pk_fma_f32 v[12:13], v[82:83], s[0:1], v[6:7] op_sel:[0,1,0] op_sel_hi:[1,0,1] neg_lo:[0,0,1] neg_hi:[0,0,1]
	v_pk_fma_f32 v[6:7], v[82:83], s[0:1], v[6:7] op_sel:[0,1,0] op_sel_hi:[0,0,1]
	v_mov_b32_e32 v13, v7
	v_pk_mul_f32 v[6:7], v[80:81], s[0:1] op_sel_hi:[0,1]
	global_store_dwordx2 v[10:11], v[12:13], off offset:128
	v_pk_fma_f32 v[12:13], v[78:79], s[0:1], v[6:7] op_sel:[0,1,0] op_sel_hi:[1,0,1] neg_lo:[0,0,1] neg_hi:[0,0,1]
	v_pk_fma_f32 v[6:7], v[78:79], s[0:1], v[6:7] op_sel:[0,1,0] op_sel_hi:[0,0,1]
	v_mov_b32_e32 v13, v7
	v_pk_mul_f32 v[6:7], v[76:77], s[0:1] op_sel_hi:[0,1]
	global_store_dwordx2 v[10:11], v[12:13], off offset:256
	;; [unrolled: 5-line block ×3, first 2 shown]
	v_lshl_add_u64 v[4:5], v[4:5], 0, s[2:3]
	v_pk_fma_f32 v[12:13], v[70:71], s[0:1], v[6:7] op_sel:[0,1,0] op_sel_hi:[1,0,1] neg_lo:[0,0,1] neg_hi:[0,0,1]
	v_pk_fma_f32 v[6:7], v[70:71], s[0:1], v[6:7] op_sel:[0,1,0] op_sel_hi:[0,0,1]
	v_lshl_add_u64 v[10:11], v[4:5], 0, v[8:9]
	v_mov_b32_e32 v13, v7
	v_pk_mul_f32 v[6:7], v[68:69], s[0:1] op_sel_hi:[0,1]
	global_store_dwordx2 v[10:11], v[12:13], off
	v_pk_fma_f32 v[12:13], v[66:67], s[0:1], v[6:7] op_sel:[0,1,0] op_sel_hi:[1,0,1] neg_lo:[0,0,1] neg_hi:[0,0,1]
	v_pk_fma_f32 v[6:7], v[66:67], s[0:1], v[6:7] op_sel:[0,1,0] op_sel_hi:[0,0,1]
	v_mov_b32_e32 v13, v7
	v_pk_mul_f32 v[6:7], v[64:65], s[0:1] op_sel_hi:[0,1]
	global_store_dwordx2 v[10:11], v[12:13], off offset:128
	v_pk_fma_f32 v[12:13], v[62:63], s[0:1], v[6:7] op_sel:[0,1,0] op_sel_hi:[1,0,1] neg_lo:[0,0,1] neg_hi:[0,0,1]
	v_pk_fma_f32 v[6:7], v[62:63], s[0:1], v[6:7] op_sel:[0,1,0] op_sel_hi:[0,0,1]
	v_mov_b32_e32 v13, v7
	v_pk_mul_f32 v[6:7], v[60:61], s[0:1] op_sel_hi:[0,1]
	global_store_dwordx2 v[10:11], v[12:13], off offset:256
	v_pk_fma_f32 v[12:13], v[56:57], s[0:1], v[6:7] op_sel:[0,1,0] op_sel_hi:[1,0,1] neg_lo:[0,0,1] neg_hi:[0,0,1]
	v_pk_fma_f32 v[6:7], v[56:57], s[0:1], v[6:7] op_sel:[0,1,0] op_sel_hi:[0,0,1]
	v_mov_b32_e32 v13, v7
	v_lshl_add_u64 v[4:5], v[4:5], 0, s[2:3]
	v_pk_mul_f32 v[6:7], v[48:49], s[0:1] op_sel_hi:[0,1]
	v_lshl_add_u64 v[8:9], v[4:5], 0, v[8:9]
	v_pk_fma_f32 v[4:5], v[46:47], s[0:1], v[6:7] op_sel:[0,1,0] op_sel_hi:[1,0,1] neg_lo:[0,0,1] neg_hi:[0,0,1]
	v_pk_fma_f32 v[6:7], v[46:47], s[0:1], v[6:7] op_sel:[0,1,0] op_sel_hi:[0,0,1]
	v_mov_b32_e32 v5, v7
	global_store_dwordx2 v[10:11], v[12:13], off offset:384
	global_store_dwordx2 v[8:9], v[4:5], off
	v_pk_mul_f32 v[4:5], v[44:45], s[0:1] op_sel_hi:[0,1]
	v_pk_fma_f32 v[6:7], v[42:43], s[0:1], v[4:5] op_sel:[0,1,0] op_sel_hi:[1,0,1] neg_lo:[0,0,1] neg_hi:[0,0,1]
	v_pk_fma_f32 v[4:5], v[42:43], s[0:1], v[4:5] op_sel:[0,1,0] op_sel_hi:[0,0,1]
	v_mov_b32_e32 v4, v41
	v_mov_b32_e32 v7, v5
	v_pk_mul_f32 v[4:5], v[4:5], s[0:1] op_sel_hi:[0,1]
	global_store_dwordx2 v[8:9], v[6:7], off offset:128
	v_pk_fma_f32 v[6:7], v[40:41], s[0:1], v[4:5] op_sel:[0,1,0] op_sel_hi:[1,0,1] neg_lo:[0,0,1] neg_hi:[0,0,1]
	v_pk_fma_f32 v[4:5], v[40:41], s[0:1], v[4:5] op_sel:[0,1,0] op_sel_hi:[0,0,1]
	v_mov_b32_e32 v7, v5
	v_mul_f32_e32 v4, s1, v58
	global_store_dwordx2 v[8:9], v[6:7], off offset:256
	v_fma_f32 v7, -v59, s0, v4
	v_pk_mul_f32 v[4:5], v[58:59], s[0:1]
	s_mov_b64 s[2:3], 0x180
	v_add_f32_e32 v6, v4, v5
	v_lshl_add_u64 v[4:5], v[8:9], 0, s[2:3]
	global_store_dword v[8:9], v7, off offset:384
	s_cbranch_execz .LBB92_6
	s_branch .LBB92_7
.LBB92_5:
                                        ; implicit-def: $vgpr6
                                        ; implicit-def: $vgpr4_vgpr5
.LBB92_6:
	s_mul_i32 s2, s17, s4
	s_mul_hi_u32 s3, s16, s4
	s_add_i32 s3, s3, s2
	s_mul_i32 s2, s16, s4
	s_lshl_b64 s[2:3], s[2:3], 3
	s_add_u32 s2, s12, s2
	v_mul_lo_u32 v6, v3, s14
	v_mul_lo_u32 v7, v2, s15
	v_mad_u64_u32 v[4:5], s[4:5], v2, s14, 0
	s_addc_u32 s3, s13, s3
	v_add3_u32 v5, v5, v7, v6
	v_lshl_add_u64 v[4:5], v[4:5], 3, s[2:3]
	v_lshlrev_b64 v[0:1], 3, v[0:1]
	v_lshl_add_u64 v[6:7], v[4:5], 0, v[0:1]
	global_load_dwordx2 v[8:9], v[6:7], off
	v_mul_lo_u32 v12, v3, s20
	v_mul_lo_u32 v13, v2, s21
	v_mad_u64_u32 v[2:3], s[2:3], v2, s20, 0
	s_mov_b32 s2, s7
	v_pk_mul_f32 v[10:11], v[104:105], s[0:1] op_sel_hi:[0,1]
	v_add3_u32 v3, v3, v13, v12
	v_pk_fma_f32 v[12:13], v[102:103], s[0:1], v[10:11] op_sel:[0,1,0] op_sel_hi:[1,0,1] neg_lo:[0,0,1] neg_hi:[0,0,1]
	v_pk_fma_f32 v[10:11], v[102:103], s[0:1], v[10:11] op_sel:[0,1,0] op_sel_hi:[0,0,1]
	v_lshl_add_u64 v[2:3], v[2:3], 3, s[8:9]
	v_mov_b32_e32 v13, v11
	v_lshl_add_u64 v[10:11], v[2:3], 0, v[0:1]
	s_lshl_b64 s[4:5], s[14:15], 7
	v_lshl_add_u64 v[4:5], v[4:5], 0, s[4:5]
	s_lshl_b64 s[8:9], s[20:21], 7
	v_lshl_add_u64 v[2:3], v[2:3], 0, s[8:9]
	s_mov_b32 s11, s6
	s_waitcnt vmcnt(0)
	v_pk_mul_f32 v[14:15], v[8:9], s[2:3] op_sel_hi:[1,0]
	s_nop 0
	v_pk_fma_f32 v[16:17], v[8:9], s[6:7], v[14:15] op_sel:[0,0,1] op_sel_hi:[1,1,0] neg_lo:[0,0,1] neg_hi:[0,0,1]
	v_pk_fma_f32 v[8:9], v[8:9], s[6:7], v[14:15] op_sel:[0,0,1] op_sel_hi:[1,0,0]
	s_nop 0
	v_mov_b32_e32 v17, v9
	v_pk_add_f32 v[8:9], v[12:13], v[16:17]
	global_store_dwordx2 v[10:11], v[8:9], off
	global_load_dwordx2 v[8:9], v[6:7], off offset:128
	v_pk_mul_f32 v[12:13], v[100:101], s[0:1] op_sel_hi:[0,1]
	v_pk_fma_f32 v[14:15], v[98:99], s[0:1], v[12:13] op_sel:[0,1,0] op_sel_hi:[1,0,1] neg_lo:[0,0,1] neg_hi:[0,0,1]
	v_pk_fma_f32 v[12:13], v[98:99], s[0:1], v[12:13] op_sel:[0,1,0] op_sel_hi:[0,0,1]
	v_mov_b32_e32 v15, v13
	s_waitcnt vmcnt(0)
	v_pk_mul_f32 v[12:13], v[8:9], s[2:3] op_sel_hi:[1,0]
	s_nop 0
	v_pk_fma_f32 v[16:17], v[8:9], s[6:7], v[12:13] op_sel:[0,0,1] op_sel_hi:[1,1,0] neg_lo:[0,0,1] neg_hi:[0,0,1]
	v_pk_fma_f32 v[8:9], v[8:9], s[6:7], v[12:13] op_sel:[0,0,1] op_sel_hi:[1,0,0]
	v_pk_mul_f32 v[12:13], v[96:97], s[0:1] op_sel_hi:[0,1]
	v_mov_b32_e32 v17, v9
	v_pk_add_f32 v[8:9], v[14:15], v[16:17]
	global_store_dwordx2 v[10:11], v[8:9], off offset:128
	global_load_dwordx2 v[8:9], v[6:7], off offset:256
	v_pk_fma_f32 v[14:15], v[94:95], s[0:1], v[12:13] op_sel:[0,1,0] op_sel_hi:[1,0,1] neg_lo:[0,0,1] neg_hi:[0,0,1]
	v_pk_fma_f32 v[12:13], v[94:95], s[0:1], v[12:13] op_sel:[0,1,0] op_sel_hi:[0,0,1]
	v_mov_b32_e32 v15, v13
	s_waitcnt vmcnt(0)
	v_pk_mul_f32 v[12:13], v[8:9], s[2:3] op_sel_hi:[1,0]
	s_nop 0
	v_pk_fma_f32 v[16:17], v[8:9], s[6:7], v[12:13] op_sel:[0,0,1] op_sel_hi:[1,1,0] neg_lo:[0,0,1] neg_hi:[0,0,1]
	v_pk_fma_f32 v[8:9], v[8:9], s[6:7], v[12:13] op_sel:[0,0,1] op_sel_hi:[1,0,0]
	s_nop 0
	v_mov_b32_e32 v17, v9
	v_pk_add_f32 v[8:9], v[14:15], v[16:17]
	global_store_dwordx2 v[10:11], v[8:9], off offset:256
	global_load_dwordx2 v[6:7], v[6:7], off offset:384
	v_pk_mul_f32 v[8:9], v[92:93], s[0:1] op_sel_hi:[0,1]
	v_pk_fma_f32 v[12:13], v[90:91], s[0:1], v[8:9] op_sel:[0,1,0] op_sel_hi:[1,0,1] neg_lo:[0,0,1] neg_hi:[0,0,1]
	v_pk_fma_f32 v[8:9], v[90:91], s[0:1], v[8:9] op_sel:[0,1,0] op_sel_hi:[0,0,1]
	v_mov_b32_e32 v13, v9
	v_lshl_add_u64 v[8:9], v[4:5], 0, v[0:1]
	v_lshl_add_u64 v[4:5], v[4:5], 0, s[4:5]
	s_waitcnt vmcnt(0)
	v_pk_mul_f32 v[14:15], v[6:7], s[2:3] op_sel_hi:[1,0]
	s_nop 0
	v_pk_fma_f32 v[16:17], v[6:7], s[6:7], v[14:15] op_sel:[0,0,1] op_sel_hi:[1,1,0] neg_lo:[0,0,1] neg_hi:[0,0,1]
	v_pk_fma_f32 v[6:7], v[6:7], s[6:7], v[14:15] op_sel:[0,0,1] op_sel_hi:[1,0,0]
	s_nop 0
	v_mov_b32_e32 v17, v7
	v_pk_add_f32 v[6:7], v[12:13], v[16:17]
	global_store_dwordx2 v[10:11], v[6:7], off offset:384
	global_load_dwordx2 v[6:7], v[8:9], off
	v_pk_mul_f32 v[10:11], v[88:89], s[0:1] op_sel_hi:[0,1]
	v_pk_fma_f32 v[12:13], v[86:87], s[0:1], v[10:11] op_sel:[0,1,0] op_sel_hi:[1,0,1] neg_lo:[0,0,1] neg_hi:[0,0,1]
	v_pk_fma_f32 v[10:11], v[86:87], s[0:1], v[10:11] op_sel:[0,1,0] op_sel_hi:[0,0,1]
	v_mov_b32_e32 v13, v11
	v_lshl_add_u64 v[10:11], v[2:3], 0, v[0:1]
	v_lshl_add_u64 v[2:3], v[2:3], 0, s[8:9]
	s_waitcnt vmcnt(0)
	v_pk_mul_f32 v[14:15], v[6:7], s[2:3] op_sel_hi:[1,0]
	s_nop 0
	v_pk_fma_f32 v[16:17], v[6:7], s[6:7], v[14:15] op_sel:[0,0,1] op_sel_hi:[1,1,0] neg_lo:[0,0,1] neg_hi:[0,0,1]
	v_pk_fma_f32 v[6:7], v[6:7], s[6:7], v[14:15] op_sel:[0,0,1] op_sel_hi:[1,0,0]
	s_nop 0
	v_mov_b32_e32 v17, v7
	v_pk_add_f32 v[6:7], v[12:13], v[16:17]
	global_store_dwordx2 v[10:11], v[6:7], off
	global_load_dwordx2 v[6:7], v[8:9], off offset:128
	v_pk_mul_f32 v[12:13], v[84:85], s[0:1] op_sel_hi:[0,1]
	v_pk_fma_f32 v[14:15], v[82:83], s[0:1], v[12:13] op_sel:[0,1,0] op_sel_hi:[1,0,1] neg_lo:[0,0,1] neg_hi:[0,0,1]
	v_pk_fma_f32 v[12:13], v[82:83], s[0:1], v[12:13] op_sel:[0,1,0] op_sel_hi:[0,0,1]
	v_mov_b32_e32 v15, v13
	s_waitcnt vmcnt(0)
	v_pk_mul_f32 v[12:13], v[6:7], s[2:3] op_sel_hi:[1,0]
	s_nop 0
	v_pk_fma_f32 v[16:17], v[6:7], s[6:7], v[12:13] op_sel:[0,0,1] op_sel_hi:[1,1,0] neg_lo:[0,0,1] neg_hi:[0,0,1]
	v_pk_fma_f32 v[6:7], v[6:7], s[6:7], v[12:13] op_sel:[0,0,1] op_sel_hi:[1,0,0]
	v_pk_mul_f32 v[12:13], v[80:81], s[0:1] op_sel_hi:[0,1]
	v_mov_b32_e32 v17, v7
	v_pk_add_f32 v[6:7], v[14:15], v[16:17]
	global_store_dwordx2 v[10:11], v[6:7], off offset:128
	global_load_dwordx2 v[6:7], v[8:9], off offset:256
	v_pk_fma_f32 v[14:15], v[78:79], s[0:1], v[12:13] op_sel:[0,1,0] op_sel_hi:[1,0,1] neg_lo:[0,0,1] neg_hi:[0,0,1]
	v_pk_fma_f32 v[12:13], v[78:79], s[0:1], v[12:13] op_sel:[0,1,0] op_sel_hi:[0,0,1]
	v_mov_b32_e32 v15, v13
	s_waitcnt vmcnt(0)
	v_pk_mul_f32 v[12:13], v[6:7], s[2:3] op_sel_hi:[1,0]
	s_nop 0
	v_pk_fma_f32 v[16:17], v[6:7], s[6:7], v[12:13] op_sel:[0,0,1] op_sel_hi:[1,1,0] neg_lo:[0,0,1] neg_hi:[0,0,1]
	v_pk_fma_f32 v[6:7], v[6:7], s[6:7], v[12:13] op_sel:[0,0,1] op_sel_hi:[1,0,0]
	s_nop 0
	v_mov_b32_e32 v17, v7
	v_pk_add_f32 v[6:7], v[14:15], v[16:17]
	global_store_dwordx2 v[10:11], v[6:7], off offset:256
	global_load_dwordx2 v[6:7], v[8:9], off offset:384
	v_pk_mul_f32 v[8:9], v[76:77], s[0:1] op_sel_hi:[0,1]
	v_pk_fma_f32 v[12:13], v[74:75], s[0:1], v[8:9] op_sel:[0,1,0] op_sel_hi:[1,0,1] neg_lo:[0,0,1] neg_hi:[0,0,1]
	v_pk_fma_f32 v[8:9], v[74:75], s[0:1], v[8:9] op_sel:[0,1,0] op_sel_hi:[0,0,1]
	v_mov_b32_e32 v13, v9
	v_lshl_add_u64 v[8:9], v[4:5], 0, v[0:1]
	v_lshl_add_u64 v[4:5], v[4:5], 0, s[4:5]
	;; [unrolled: 1-line block ×3, first 2 shown]
	s_waitcnt vmcnt(0)
	v_pk_mul_f32 v[14:15], v[6:7], s[2:3] op_sel_hi:[1,0]
	s_nop 0
	v_pk_fma_f32 v[16:17], v[6:7], s[6:7], v[14:15] op_sel:[0,0,1] op_sel_hi:[1,1,0] neg_lo:[0,0,1] neg_hi:[0,0,1]
	v_pk_fma_f32 v[6:7], v[6:7], s[6:7], v[14:15] op_sel:[0,0,1] op_sel_hi:[1,0,0]
	s_nop 0
	v_mov_b32_e32 v17, v7
	v_pk_add_f32 v[6:7], v[12:13], v[16:17]
	global_store_dwordx2 v[10:11], v[6:7], off offset:384
	global_load_dwordx2 v[6:7], v[8:9], off
	v_pk_mul_f32 v[10:11], v[72:73], s[0:1] op_sel_hi:[0,1]
	v_pk_fma_f32 v[12:13], v[70:71], s[0:1], v[10:11] op_sel:[0,1,0] op_sel_hi:[1,0,1] neg_lo:[0,0,1] neg_hi:[0,0,1]
	v_pk_fma_f32 v[10:11], v[70:71], s[0:1], v[10:11] op_sel:[0,1,0] op_sel_hi:[0,0,1]
	v_mov_b32_e32 v13, v11
	v_lshl_add_u64 v[10:11], v[2:3], 0, v[0:1]
	v_lshl_add_u64 v[2:3], v[2:3], 0, s[8:9]
	;; [unrolled: 1-line block ×3, first 2 shown]
	s_waitcnt vmcnt(0)
	v_pk_mul_f32 v[14:15], v[6:7], s[2:3] op_sel_hi:[1,0]
	s_nop 0
	v_pk_fma_f32 v[16:17], v[6:7], s[6:7], v[14:15] op_sel:[0,0,1] op_sel_hi:[1,1,0] neg_lo:[0,0,1] neg_hi:[0,0,1]
	v_pk_fma_f32 v[6:7], v[6:7], s[6:7], v[14:15] op_sel:[0,0,1] op_sel_hi:[1,0,0]
	s_nop 0
	v_mov_b32_e32 v17, v7
	v_pk_add_f32 v[6:7], v[12:13], v[16:17]
	global_store_dwordx2 v[10:11], v[6:7], off
	global_load_dwordx2 v[6:7], v[8:9], off offset:128
	v_pk_mul_f32 v[12:13], v[68:69], s[0:1] op_sel_hi:[0,1]
	v_pk_fma_f32 v[14:15], v[66:67], s[0:1], v[12:13] op_sel:[0,1,0] op_sel_hi:[1,0,1] neg_lo:[0,0,1] neg_hi:[0,0,1]
	v_pk_fma_f32 v[12:13], v[66:67], s[0:1], v[12:13] op_sel:[0,1,0] op_sel_hi:[0,0,1]
	v_mov_b32_e32 v15, v13
	s_waitcnt vmcnt(0)
	v_pk_mul_f32 v[12:13], v[6:7], s[2:3] op_sel_hi:[1,0]
	s_nop 0
	v_pk_fma_f32 v[16:17], v[6:7], s[6:7], v[12:13] op_sel:[0,0,1] op_sel_hi:[1,1,0] neg_lo:[0,0,1] neg_hi:[0,0,1]
	v_pk_fma_f32 v[6:7], v[6:7], s[6:7], v[12:13] op_sel:[0,0,1] op_sel_hi:[1,0,0]
	v_pk_mul_f32 v[12:13], v[64:65], s[0:1] op_sel_hi:[0,1]
	v_mov_b32_e32 v17, v7
	v_pk_add_f32 v[6:7], v[14:15], v[16:17]
	global_store_dwordx2 v[10:11], v[6:7], off offset:128
	global_load_dwordx2 v[6:7], v[8:9], off offset:256
	v_pk_fma_f32 v[14:15], v[62:63], s[0:1], v[12:13] op_sel:[0,1,0] op_sel_hi:[1,0,1] neg_lo:[0,0,1] neg_hi:[0,0,1]
	v_pk_fma_f32 v[12:13], v[62:63], s[0:1], v[12:13] op_sel:[0,1,0] op_sel_hi:[0,0,1]
	v_mov_b32_e32 v15, v13
	s_waitcnt vmcnt(0)
	v_pk_mul_f32 v[12:13], v[6:7], s[2:3] op_sel_hi:[1,0]
	s_nop 0
	v_pk_fma_f32 v[16:17], v[6:7], s[6:7], v[12:13] op_sel:[0,0,1] op_sel_hi:[1,1,0] neg_lo:[0,0,1] neg_hi:[0,0,1]
	v_pk_fma_f32 v[6:7], v[6:7], s[6:7], v[12:13] op_sel:[0,0,1] op_sel_hi:[1,0,0]
	s_nop 0
	v_mov_b32_e32 v17, v7
	v_pk_add_f32 v[6:7], v[14:15], v[16:17]
	global_store_dwordx2 v[10:11], v[6:7], off offset:256
	global_load_dwordx2 v[6:7], v[8:9], off offset:384
	v_pk_mul_f32 v[8:9], v[60:61], s[0:1] op_sel_hi:[0,1]
	v_pk_fma_f32 v[12:13], v[56:57], s[0:1], v[8:9] op_sel:[0,1,0] op_sel_hi:[1,0,1] neg_lo:[0,0,1] neg_hi:[0,0,1]
	v_pk_fma_f32 v[8:9], v[56:57], s[0:1], v[8:9] op_sel:[0,1,0] op_sel_hi:[0,0,1]
	v_mov_b32_e32 v13, v9
	s_waitcnt vmcnt(0)
	v_pk_mul_f32 v[8:9], v[6:7], s[2:3] op_sel_hi:[1,0]
	s_nop 0
	v_pk_fma_f32 v[14:15], v[6:7], s[6:7], v[8:9] op_sel:[0,0,1] op_sel_hi:[1,1,0] neg_lo:[0,0,1] neg_hi:[0,0,1]
	v_pk_fma_f32 v[6:7], v[6:7], s[6:7], v[8:9] op_sel:[0,0,1] op_sel_hi:[1,0,0]
	v_pk_mul_f32 v[8:9], v[48:49], s[0:1] op_sel_hi:[0,1]
	v_mov_b32_e32 v15, v7
	v_pk_add_f32 v[6:7], v[12:13], v[14:15]
	global_store_dwordx2 v[10:11], v[6:7], off offset:384
	global_load_dwordx2 v[6:7], v[4:5], off
	v_pk_fma_f32 v[10:11], v[46:47], s[0:1], v[8:9] op_sel:[0,1,0] op_sel_hi:[1,0,1] neg_lo:[0,0,1] neg_hi:[0,0,1]
	v_pk_fma_f32 v[8:9], v[46:47], s[0:1], v[8:9] op_sel:[0,1,0] op_sel_hi:[0,0,1]
	v_mov_b32_e32 v11, v9
	s_waitcnt vmcnt(0)
	v_pk_mul_f32 v[2:3], v[6:7], s[2:3] op_sel_hi:[1,0]
	s_nop 0
	v_pk_fma_f32 v[8:9], v[6:7], s[6:7], v[2:3] op_sel:[0,0,1] op_sel_hi:[1,1,0] neg_lo:[0,0,1] neg_hi:[0,0,1]
	v_pk_fma_f32 v[2:3], v[6:7], s[6:7], v[2:3] op_sel:[0,0,1] op_sel_hi:[1,0,0]
	v_pk_mul_f32 v[6:7], v[44:45], s[0:1] op_sel_hi:[0,1]
	v_mov_b32_e32 v9, v3
	v_pk_add_f32 v[2:3], v[10:11], v[8:9]
	global_store_dwordx2 v[0:1], v[2:3], off
	global_load_dwordx2 v[2:3], v[4:5], off offset:128
	v_pk_fma_f32 v[8:9], v[42:43], s[0:1], v[6:7] op_sel:[0,1,0] op_sel_hi:[1,0,1] neg_lo:[0,0,1] neg_hi:[0,0,1]
	v_pk_fma_f32 v[6:7], v[42:43], s[0:1], v[6:7] op_sel:[0,1,0] op_sel_hi:[0,0,1]
	v_mov_b32_e32 v9, v7
	s_waitcnt vmcnt(0)
	v_pk_mul_f32 v[6:7], v[2:3], s[2:3] op_sel_hi:[1,0]
	s_nop 0
	v_pk_fma_f32 v[10:11], v[2:3], s[6:7], v[6:7] op_sel:[0,0,1] op_sel_hi:[1,1,0] neg_lo:[0,0,1] neg_hi:[0,0,1]
	v_pk_fma_f32 v[2:3], v[2:3], s[6:7], v[6:7] op_sel:[0,0,1] op_sel_hi:[1,0,0]
	v_mov_b32_e32 v6, v41
	v_mov_b32_e32 v11, v3
	v_pk_add_f32 v[2:3], v[8:9], v[10:11]
	global_store_dwordx2 v[0:1], v[2:3], off offset:128
	global_load_dwordx2 v[2:3], v[4:5], off offset:256
	v_pk_mul_f32 v[6:7], v[6:7], s[0:1] op_sel_hi:[0,1]
	v_pk_fma_f32 v[8:9], v[40:41], s[0:1], v[6:7] op_sel:[0,1,0] op_sel_hi:[1,0,1] neg_lo:[0,0,1] neg_hi:[0,0,1]
	v_pk_fma_f32 v[6:7], v[40:41], s[0:1], v[6:7] op_sel:[0,1,0] op_sel_hi:[0,0,1]
	v_mov_b32_e32 v9, v7
	s_waitcnt vmcnt(0)
	v_pk_mul_f32 v[6:7], v[2:3], s[2:3] op_sel_hi:[1,0]
	s_nop 0
	v_pk_fma_f32 v[10:11], v[2:3], s[6:7], v[6:7] op_sel:[0,0,1] op_sel_hi:[1,1,0] neg_lo:[0,0,1] neg_hi:[0,0,1]
	v_pk_fma_f32 v[2:3], v[2:3], s[6:7], v[6:7] op_sel:[0,0,1] op_sel_hi:[1,0,0]
	v_mov_b32_e32 v6, v58
	v_mov_b32_e32 v11, v3
	v_pk_add_f32 v[2:3], v[8:9], v[10:11]
	global_store_dwordx2 v[0:1], v[2:3], off offset:256
	global_load_dwordx2 v[2:3], v[4:5], off offset:384
	v_mul_f32_e32 v4, s1, v58
	s_mov_b32 s1, s7
	s_mov_b64 s[2:3], 0x180
	v_fma_f32 v8, -v59, s0, v4
	v_lshl_add_u64 v[4:5], v[0:1], 0, s[2:3]
	s_waitcnt vmcnt(0)
	v_mul_f32_e32 v9, s7, v3
	v_mov_b32_e32 v7, v2
	v_fma_f32 v9, v2, s6, -v9
	v_mov_b32_e32 v2, v59
	v_pk_mul_f32 v[2:3], v[2:3], s[10:11]
	v_add_f32_e32 v8, v8, v9
	v_pk_fma_f32 v[2:3], v[6:7], s[0:1], v[2:3]
	global_store_dword v[0:1], v8, off offset:384
	v_add_f32_e32 v6, v2, v3
.LBB92_7:
	global_store_dword v[4:5], v6, off offset:4
	s_endpgm
	.section	.rodata,"a",@progbits
	.p2align	6, 0x0
	.amdhsa_kernel _ZN12_GLOBAL__N_127rocblas_gemm_batched_kernelI19rocblas_complex_numIfELi16ELi16ELi64ELi64ELi4ELi64ELi4ELi4ELi64ELc84ELc84EKS2_S3_S2_EEvlllT_PT11_llS6_llS4_PT12_llPT13_lli
		.amdhsa_group_segment_fixed_size 4096
		.amdhsa_private_segment_fixed_size 0
		.amdhsa_kernarg_size 140
		.amdhsa_user_sgpr_count 2
		.amdhsa_user_sgpr_dispatch_ptr 0
		.amdhsa_user_sgpr_queue_ptr 0
		.amdhsa_user_sgpr_kernarg_segment_ptr 1
		.amdhsa_user_sgpr_dispatch_id 0
		.amdhsa_user_sgpr_kernarg_preload_length 0
		.amdhsa_user_sgpr_kernarg_preload_offset 0
		.amdhsa_user_sgpr_private_segment_size 0
		.amdhsa_uses_dynamic_stack 0
		.amdhsa_enable_private_segment 0
		.amdhsa_system_sgpr_workgroup_id_x 1
		.amdhsa_system_sgpr_workgroup_id_y 1
		.amdhsa_system_sgpr_workgroup_id_z 1
		.amdhsa_system_sgpr_workgroup_info 0
		.amdhsa_system_vgpr_workitem_id 1
		.amdhsa_next_free_vgpr 108
		.amdhsa_next_free_sgpr 28
		.amdhsa_accum_offset 108
		.amdhsa_reserve_vcc 1
		.amdhsa_float_round_mode_32 0
		.amdhsa_float_round_mode_16_64 0
		.amdhsa_float_denorm_mode_32 3
		.amdhsa_float_denorm_mode_16_64 3
		.amdhsa_dx10_clamp 1
		.amdhsa_ieee_mode 1
		.amdhsa_fp16_overflow 0
		.amdhsa_tg_split 0
		.amdhsa_exception_fp_ieee_invalid_op 0
		.amdhsa_exception_fp_denorm_src 0
		.amdhsa_exception_fp_ieee_div_zero 0
		.amdhsa_exception_fp_ieee_overflow 0
		.amdhsa_exception_fp_ieee_underflow 0
		.amdhsa_exception_fp_ieee_inexact 0
		.amdhsa_exception_int_div_zero 0
	.end_amdhsa_kernel
	.section	.text._ZN12_GLOBAL__N_127rocblas_gemm_batched_kernelI19rocblas_complex_numIfELi16ELi16ELi64ELi64ELi4ELi64ELi4ELi4ELi64ELc84ELc84EKS2_S3_S2_EEvlllT_PT11_llS6_llS4_PT12_llPT13_lli,"axG",@progbits,_ZN12_GLOBAL__N_127rocblas_gemm_batched_kernelI19rocblas_complex_numIfELi16ELi16ELi64ELi64ELi4ELi64ELi4ELi4ELi64ELc84ELc84EKS2_S3_S2_EEvlllT_PT11_llS6_llS4_PT12_llPT13_lli,comdat
.Lfunc_end92:
	.size	_ZN12_GLOBAL__N_127rocblas_gemm_batched_kernelI19rocblas_complex_numIfELi16ELi16ELi64ELi64ELi4ELi64ELi4ELi4ELi64ELc84ELc84EKS2_S3_S2_EEvlllT_PT11_llS6_llS4_PT12_llPT13_lli, .Lfunc_end92-_ZN12_GLOBAL__N_127rocblas_gemm_batched_kernelI19rocblas_complex_numIfELi16ELi16ELi64ELi64ELi4ELi64ELi4ELi4ELi64ELc84ELc84EKS2_S3_S2_EEvlllT_PT11_llS6_llS4_PT12_llPT13_lli
                                        ; -- End function
	.set _ZN12_GLOBAL__N_127rocblas_gemm_batched_kernelI19rocblas_complex_numIfELi16ELi16ELi64ELi64ELi4ELi64ELi4ELi4ELi64ELc84ELc84EKS2_S3_S2_EEvlllT_PT11_llS6_llS4_PT12_llPT13_lli.num_vgpr, 108
	.set _ZN12_GLOBAL__N_127rocblas_gemm_batched_kernelI19rocblas_complex_numIfELi16ELi16ELi64ELi64ELi4ELi64ELi4ELi4ELi64ELc84ELc84EKS2_S3_S2_EEvlllT_PT11_llS6_llS4_PT12_llPT13_lli.num_agpr, 0
	.set _ZN12_GLOBAL__N_127rocblas_gemm_batched_kernelI19rocblas_complex_numIfELi16ELi16ELi64ELi64ELi4ELi64ELi4ELi4ELi64ELc84ELc84EKS2_S3_S2_EEvlllT_PT11_llS6_llS4_PT12_llPT13_lli.numbered_sgpr, 28
	.set _ZN12_GLOBAL__N_127rocblas_gemm_batched_kernelI19rocblas_complex_numIfELi16ELi16ELi64ELi64ELi4ELi64ELi4ELi4ELi64ELc84ELc84EKS2_S3_S2_EEvlllT_PT11_llS6_llS4_PT12_llPT13_lli.num_named_barrier, 0
	.set _ZN12_GLOBAL__N_127rocblas_gemm_batched_kernelI19rocblas_complex_numIfELi16ELi16ELi64ELi64ELi4ELi64ELi4ELi4ELi64ELc84ELc84EKS2_S3_S2_EEvlllT_PT11_llS6_llS4_PT12_llPT13_lli.private_seg_size, 0
	.set _ZN12_GLOBAL__N_127rocblas_gemm_batched_kernelI19rocblas_complex_numIfELi16ELi16ELi64ELi64ELi4ELi64ELi4ELi4ELi64ELc84ELc84EKS2_S3_S2_EEvlllT_PT11_llS6_llS4_PT12_llPT13_lli.uses_vcc, 1
	.set _ZN12_GLOBAL__N_127rocblas_gemm_batched_kernelI19rocblas_complex_numIfELi16ELi16ELi64ELi64ELi4ELi64ELi4ELi4ELi64ELc84ELc84EKS2_S3_S2_EEvlllT_PT11_llS6_llS4_PT12_llPT13_lli.uses_flat_scratch, 0
	.set _ZN12_GLOBAL__N_127rocblas_gemm_batched_kernelI19rocblas_complex_numIfELi16ELi16ELi64ELi64ELi4ELi64ELi4ELi4ELi64ELc84ELc84EKS2_S3_S2_EEvlllT_PT11_llS6_llS4_PT12_llPT13_lli.has_dyn_sized_stack, 0
	.set _ZN12_GLOBAL__N_127rocblas_gemm_batched_kernelI19rocblas_complex_numIfELi16ELi16ELi64ELi64ELi4ELi64ELi4ELi4ELi64ELc84ELc84EKS2_S3_S2_EEvlllT_PT11_llS6_llS4_PT12_llPT13_lli.has_recursion, 0
	.set _ZN12_GLOBAL__N_127rocblas_gemm_batched_kernelI19rocblas_complex_numIfELi16ELi16ELi64ELi64ELi4ELi64ELi4ELi4ELi64ELc84ELc84EKS2_S3_S2_EEvlllT_PT11_llS6_llS4_PT12_llPT13_lli.has_indirect_call, 0
	.section	.AMDGPU.csdata,"",@progbits
; Kernel info:
; codeLenInByte = 5192
; TotalNumSgprs: 34
; NumVgprs: 108
; NumAgprs: 0
; TotalNumVgprs: 108
; ScratchSize: 0
; MemoryBound: 0
; FloatMode: 240
; IeeeMode: 1
; LDSByteSize: 4096 bytes/workgroup (compile time only)
; SGPRBlocks: 4
; VGPRBlocks: 13
; NumSGPRsForWavesPerEU: 34
; NumVGPRsForWavesPerEU: 108
; AccumOffset: 108
; Occupancy: 4
; WaveLimiterHint : 1
; COMPUTE_PGM_RSRC2:SCRATCH_EN: 0
; COMPUTE_PGM_RSRC2:USER_SGPR: 2
; COMPUTE_PGM_RSRC2:TRAP_HANDLER: 0
; COMPUTE_PGM_RSRC2:TGID_X_EN: 1
; COMPUTE_PGM_RSRC2:TGID_Y_EN: 1
; COMPUTE_PGM_RSRC2:TGID_Z_EN: 1
; COMPUTE_PGM_RSRC2:TIDIG_COMP_CNT: 1
; COMPUTE_PGM_RSRC3_GFX90A:ACCUM_OFFSET: 26
; COMPUTE_PGM_RSRC3_GFX90A:TG_SPLIT: 0
	.section	.text._ZN12_GLOBAL__N_127rocblas_gemm_batched_kernelI19rocblas_complex_numIfELi16ELi16ELi64ELi64ELi4ELi64ELi4ELi4ELi64ELc67ELc67EKS2_S3_S2_EEvlllT_PT11_llS6_llS4_PT12_llPT13_lli,"axG",@progbits,_ZN12_GLOBAL__N_127rocblas_gemm_batched_kernelI19rocblas_complex_numIfELi16ELi16ELi64ELi64ELi4ELi64ELi4ELi4ELi64ELc67ELc67EKS2_S3_S2_EEvlllT_PT11_llS6_llS4_PT12_llPT13_lli,comdat
	.globl	_ZN12_GLOBAL__N_127rocblas_gemm_batched_kernelI19rocblas_complex_numIfELi16ELi16ELi64ELi64ELi4ELi64ELi4ELi4ELi64ELc67ELc67EKS2_S3_S2_EEvlllT_PT11_llS6_llS4_PT12_llPT13_lli ; -- Begin function _ZN12_GLOBAL__N_127rocblas_gemm_batched_kernelI19rocblas_complex_numIfELi16ELi16ELi64ELi64ELi4ELi64ELi4ELi4ELi64ELc67ELc67EKS2_S3_S2_EEvlllT_PT11_llS6_llS4_PT12_llPT13_lli
	.p2align	8
	.type	_ZN12_GLOBAL__N_127rocblas_gemm_batched_kernelI19rocblas_complex_numIfELi16ELi16ELi64ELi64ELi4ELi64ELi4ELi4ELi64ELc67ELc67EKS2_S3_S2_EEvlllT_PT11_llS6_llS4_PT12_llPT13_lli,@function
_ZN12_GLOBAL__N_127rocblas_gemm_batched_kernelI19rocblas_complex_numIfELi16ELi16ELi64ELi64ELi4ELi64ELi4ELi4ELi64ELc67ELc67EKS2_S3_S2_EEvlllT_PT11_llS6_llS4_PT12_llPT13_lli: ; @_ZN12_GLOBAL__N_127rocblas_gemm_batched_kernelI19rocblas_complex_numIfELi16ELi16ELi64ELi64ELi4ELi64ELi4ELi4ELi64ELc67ELc67EKS2_S3_S2_EEvlllT_PT11_llS6_llS4_PT12_llPT13_lli
; %bb.0:
	s_load_dwordx16 s[8:23], s[0:1], 0x10
	s_load_dwordx2 s[6:7], s[0:1], 0x50
	s_mov_b32 s24, s3
	v_mov_b32_e32 v39, 0
	s_ashr_i32 s3, s2, 31
	s_ashr_i32 s25, s24, 31
	s_waitcnt lgkmcnt(0)
	v_cmp_lt_i64_e64 s[26:27], s[8:9], 1
	v_bfe_u32 v38, v0, 10, 10
	v_and_b32_e32 v36, 0x3ff, v0
	v_mov_b32_e32 v37, v39
	s_lshl_b64 s[2:3], s[2:3], 6
	s_lshl_b64 s[24:25], s[24:25], 6
	s_and_b64 vcc, exec, s[26:27]
	v_mov_b32_e32 v59, v39
	v_mov_b32_e32 v58, v39
	;; [unrolled: 1-line block ×32, first 2 shown]
	s_cbranch_vccnz .LBB93_3
; %bb.1:
	v_lshl_add_u32 v4, v38, 4, v36
	v_lshrrev_b32_e32 v40, 2, v4
	v_mov_b32_e32 v41, 0
	v_lshl_add_u64 v[0:1], v[40:41], 0, s[24:25]
	v_and_b32_e32 v5, 3, v36
	v_mad_u64_u32 v[0:1], s[26:27], s20, v5, v[0:1]
	v_mov_b32_e32 v2, v1
	v_mad_u64_u32 v[2:3], s[26:27], s21, v5, v[2:3]
	v_lshlrev_b32_e32 v5, 3, v5
	v_mov_b32_e32 v1, v2
	v_and_b32_e32 v2, 63, v4
	v_mov_b32_e32 v3, v41
	v_lshl_or_b32 v5, v40, 5, v5
	v_lshrrev_b32_e32 v4, 6, v4
	v_lshlrev_b32_e32 v6, 3, v2
	v_add_u32_e32 v45, 0x800, v5
	v_mov_b32_e32 v5, 0x800
	v_lshl_add_u64 v[2:3], s[2:3], 0, v[2:3]
	v_lshl_or_b32 v43, v4, 9, v6
	v_lshl_add_u32 v49, v38, 5, v5
	v_mul_lo_u32 v5, s15, v2
	v_mul_lo_u32 v6, s14, v3
	v_mad_u64_u32 v[2:3], s[14:15], s14, v2, 0
	s_mul_i32 s5, s17, s4
	s_mul_hi_u32 s14, s16, s4
	s_add_i32 s15, s14, s5
	s_mul_i32 s14, s16, s4
	v_add3_u32 v3, v3, v6, v5
	s_lshl_b64 s[14:15], s[14:15], 3
	v_lshl_add_u64 v[2:3], v[2:3], 3, s[14:15]
	v_lshlrev_b32_e32 v40, 3, v4
	v_lshl_add_u64 v[2:3], v[2:3], 0, v[40:41]
	v_lshl_add_u64 v[50:51], s[12:13], 0, v[2:3]
	s_mul_i32 s5, s23, s4
	s_mul_hi_u32 s12, s22, s4
	s_add_i32 s13, s12, s5
	s_mul_i32 s12, s22, s4
	s_lshl_b64 s[12:13], s[12:13], 3
	s_add_u32 s12, s18, s12
	s_addc_u32 s13, s19, s13
	v_lshl_add_u64 v[0:1], v[0:1], 3, s[12:13]
	v_lshlrev_b32_e32 v47, 3, v36
	v_lshl_add_u64 v[52:53], v[0:1], 0, 4
	s_lshl_b64 s[12:13], s[20:21], 5
	s_mov_b64 s[14:15], 0
	v_mov_b64_e32 v[54:55], s[8:9]
	v_mov_b32_e32 v40, v41
	v_mov_b32_e32 v44, v41
	;; [unrolled: 1-line block ×31, first 2 shown]
.LBB93_2:                               ; =>This Inner Loop Header: Depth=1
	global_load_dwordx2 v[0:1], v[50:51], off
	s_add_u32 s14, s14, 4
	s_addc_u32 s15, s15, 0
	v_cmp_lt_i64_e32 vcc, s[14:15], v[54:55]
	v_lshl_add_u64 v[50:51], v[50:51], 0, 32
	s_and_b64 vcc, exec, vcc
	s_waitcnt vmcnt(0)
	v_xor_b32_e32 v1, 0x80000000, v1
	ds_write_b64 v43, v[0:1]
	global_load_dwordx2 v[0:1], v[52:53], off offset:-4
	v_lshl_add_u64 v[52:53], v[52:53], 0, s[12:13]
	s_waitcnt vmcnt(0)
	v_xor_b32_e32 v1, 0x80000000, v1
	ds_write_b64 v45, v[0:1]
	s_waitcnt lgkmcnt(0)
	s_barrier
	ds_read_b128 v[0:3], v49
	ds_read_b128 v[32:35], v49 offset:16
	ds_read2_b64 v[8:11], v47 offset1:16
	ds_read2_b64 v[12:15], v47 offset0:32 offset1:48
	s_waitcnt lgkmcnt(1)
	v_mul_f32_e32 v4, v1, v9
	v_fma_f32 v4, v0, v8, -v4
	v_mul_f32_e32 v5, v0, v9
	v_add_f32_e32 v20, v102, v4
	v_mul_f32_e32 v4, v1, v11
	v_fmac_f32_e32 v5, v1, v8
	v_fma_f32 v4, v0, v10, -v4
	v_add_f32_e32 v21, v104, v5
	v_mul_f32_e32 v5, v0, v11
	v_add_f32_e32 v22, v98, v4
	s_waitcnt lgkmcnt(0)
	v_mul_f32_e32 v4, v1, v13
	v_fmac_f32_e32 v5, v1, v10
	v_fma_f32 v4, v0, v12, -v4
	v_add_f32_e32 v23, v100, v5
	v_mul_f32_e32 v5, v0, v13
	v_add_f32_e32 v57, v94, v4
	v_mul_f32_e32 v4, v1, v15
	v_fmac_f32_e32 v5, v1, v12
	v_fma_f32 v4, v0, v14, -v4
	v_mul_f32_e32 v0, v0, v15
	v_add_f32_e32 v61, v96, v5
	v_fmac_f32_e32 v0, v1, v14
	v_add_f32_e32 v1, v90, v4
	ds_read_b128 v[4:7], v49 offset:512
	ds_read_b128 v[104:107], v49 offset:1040
	v_add_f32_e32 v0, v92, v0
	s_waitcnt lgkmcnt(1)
	v_mul_f32_e32 v16, v5, v9
	v_fma_f32 v16, v4, v8, -v16
	v_mul_f32_e32 v17, v4, v9
	v_add_f32_e32 v63, v86, v16
	v_mul_f32_e32 v16, v5, v11
	v_fmac_f32_e32 v17, v5, v8
	v_fma_f32 v16, v4, v10, -v16
	v_add_f32_e32 v65, v88, v17
	v_mul_f32_e32 v17, v4, v11
	v_add_f32_e32 v67, v82, v16
	v_mul_f32_e32 v16, v5, v13
	v_fmac_f32_e32 v17, v5, v10
	v_fma_f32 v16, v4, v12, -v16
	v_add_f32_e32 v69, v84, v17
	v_mul_f32_e32 v17, v4, v13
	v_add_f32_e32 v71, v78, v16
	v_mul_f32_e32 v16, v5, v15
	v_fmac_f32_e32 v17, v5, v12
	v_fma_f32 v16, v4, v14, -v16
	v_mul_f32_e32 v4, v4, v15
	v_add_f32_e32 v73, v80, v17
	v_fmac_f32_e32 v4, v5, v14
	v_add_f32_e32 v5, v74, v16
	ds_read_b128 v[16:19], v49 offset:1024
	v_add_f32_e32 v4, v76, v4
	s_waitcnt lgkmcnt(0)
	v_mul_f32_e32 v24, v17, v9
	v_fma_f32 v24, v16, v8, -v24
	v_mul_f32_e32 v25, v16, v9
	v_add_f32_e32 v70, v70, v24
	v_mul_f32_e32 v24, v17, v11
	v_fmac_f32_e32 v25, v17, v8
	v_fma_f32 v24, v16, v10, -v24
	v_add_f32_e32 v72, v72, v25
	v_mul_f32_e32 v25, v16, v11
	v_add_f32_e32 v66, v66, v24
	v_mul_f32_e32 v24, v17, v13
	v_fmac_f32_e32 v25, v17, v10
	v_fma_f32 v24, v16, v12, -v24
	v_add_f32_e32 v68, v68, v25
	v_mul_f32_e32 v25, v16, v13
	v_add_f32_e32 v62, v62, v24
	v_mul_f32_e32 v24, v17, v15
	v_fmac_f32_e32 v25, v17, v12
	v_fma_f32 v24, v16, v14, -v24
	v_mul_f32_e32 v16, v16, v15
	v_add_f32_e32 v64, v64, v25
	v_fmac_f32_e32 v16, v17, v14
	v_add_f32_e32 v17, v56, v24
	ds_read2_b64 v[24:27], v47 offset0:64 offset1:80
	v_add_f32_e32 v16, v60, v16
	s_waitcnt lgkmcnt(0)
	v_mul_f32_e32 v28, v3, v25
	v_mul_f32_e32 v29, v2, v25
	v_fma_f32 v28, v2, v24, -v28
	v_fmac_f32_e32 v29, v3, v24
	v_add_f32_e32 v20, v20, v28
	v_add_f32_e32 v21, v21, v29
	v_mul_f32_e32 v28, v3, v27
	v_mul_f32_e32 v29, v2, v27
	v_fma_f32 v28, v2, v26, -v28
	v_fmac_f32_e32 v29, v3, v26
	v_add_f32_e32 v22, v22, v28
	v_add_f32_e32 v23, v23, v29
	ds_read2_b64 v[28:31], v47 offset0:96 offset1:112
	s_waitcnt lgkmcnt(0)
	v_mul_f32_e32 v56, v3, v29
	v_mul_f32_e32 v60, v2, v29
	v_fma_f32 v56, v2, v28, -v56
	v_fmac_f32_e32 v60, v3, v28
	v_add_f32_e32 v56, v57, v56
	v_add_f32_e32 v57, v61, v60
	v_mul_f32_e32 v60, v3, v31
	v_fma_f32 v60, v2, v30, -v60
	v_mul_f32_e32 v2, v2, v31
	v_fmac_f32_e32 v2, v3, v30
	v_add_f32_e32 v60, v1, v60
	v_add_f32_e32 v61, v0, v2
	v_mul_f32_e32 v0, v7, v25
	v_mul_f32_e32 v1, v6, v25
	v_fma_f32 v0, v6, v24, -v0
	v_fmac_f32_e32 v1, v7, v24
	v_add_f32_e32 v74, v63, v0
	v_add_f32_e32 v65, v65, v1
	v_mul_f32_e32 v0, v7, v27
	v_mul_f32_e32 v1, v6, v27
	v_fma_f32 v0, v6, v26, -v0
	;; [unrolled: 6-line block ×6, first 2 shown]
	v_fmac_f32_e32 v1, v19, v26
	ds_read2_b64 v[4:7], v47 offset0:128 offset1:144
	v_add_f32_e32 v66, v66, v0
	v_add_f32_e32 v68, v68, v1
	v_mul_f32_e32 v0, v19, v29
	v_mul_f32_e32 v1, v18, v29
	v_fma_f32 v0, v18, v28, -v0
	v_fmac_f32_e32 v1, v19, v28
	v_add_f32_e32 v77, v62, v0
	v_add_f32_e32 v64, v64, v1
	v_mul_f32_e32 v0, v19, v31
	v_mul_f32_e32 v1, v18, v31
	v_fma_f32 v0, v18, v30, -v0
	v_fmac_f32_e32 v1, v19, v30
	v_add_f32_e32 v17, v17, v0
	v_add_f32_e32 v16, v16, v1
	s_waitcnt lgkmcnt(0)
	v_mul_f32_e32 v0, v33, v5
	v_mul_f32_e32 v1, v32, v5
	v_fma_f32 v0, v32, v4, -v0
	v_fmac_f32_e32 v1, v33, v4
	v_add_f32_e32 v18, v20, v0
	v_add_f32_e32 v19, v21, v1
	v_mul_f32_e32 v0, v33, v7
	v_mul_f32_e32 v1, v32, v7
	v_fma_f32 v0, v32, v6, -v0
	v_fmac_f32_e32 v1, v33, v6
	v_add_f32_e32 v78, v22, v0
	v_add_f32_e32 v79, v23, v1
	ds_read2_b64 v[0:3], v47 offset0:160 offset1:176
	s_waitcnt lgkmcnt(0)
	v_mul_f32_e32 v20, v33, v1
	v_mul_f32_e32 v21, v32, v1
	v_fma_f32 v20, v32, v0, -v20
	v_fmac_f32_e32 v21, v33, v0
	v_add_f32_e32 v56, v56, v20
	v_add_f32_e32 v57, v57, v21
	v_mul_f32_e32 v20, v33, v3
	v_mul_f32_e32 v21, v32, v3
	v_fma_f32 v20, v32, v2, -v20
	v_fmac_f32_e32 v21, v33, v2
	v_add_f32_e32 v32, v60, v20
	v_add_f32_e32 v33, v61, v21
	ds_read_b128 v[60:63], v49 offset:528
	s_waitcnt lgkmcnt(0)
	v_mul_f32_e32 v20, v61, v5
	v_mul_f32_e32 v21, v60, v5
	v_fma_f32 v20, v60, v4, -v20
	v_fmac_f32_e32 v21, v61, v4
	v_add_f32_e32 v74, v74, v20
	v_add_f32_e32 v65, v65, v21
	v_mul_f32_e32 v20, v61, v7
	v_mul_f32_e32 v21, v60, v7
	v_fma_f32 v20, v60, v6, -v20
	v_fmac_f32_e32 v21, v61, v6
	v_add_f32_e32 v67, v67, v20
	v_add_f32_e32 v69, v69, v21
	;; [unrolled: 6-line block ×8, first 2 shown]
	ds_read2_b64 v[20:23], v47 offset0:192 offset1:208
	s_waitcnt lgkmcnt(0)
	v_mul_f32_e32 v16, v35, v21
	v_mul_f32_e32 v17, v34, v21
	v_fma_f32 v16, v34, v20, -v16
	v_fmac_f32_e32 v17, v35, v20
	v_add_f32_e32 v102, v18, v16
	v_add_f32_e32 v104, v19, v17
	v_mul_f32_e32 v16, v35, v23
	v_mul_f32_e32 v17, v34, v23
	v_fma_f32 v16, v34, v22, -v16
	v_fmac_f32_e32 v17, v35, v22
	v_add_f32_e32 v98, v78, v16
	v_add_f32_e32 v100, v79, v17
	ds_read2_b64 v[16:19], v47 offset0:224 offset1:240
	s_waitcnt lgkmcnt(0)
	v_mul_f32_e32 v76, v35, v17
	v_fma_f32 v76, v34, v16, -v76
	v_add_f32_e32 v94, v56, v76
	v_mul_f32_e32 v56, v35, v19
	v_mul_f32_e32 v78, v34, v17
	v_fma_f32 v56, v34, v18, -v56
	v_mul_f32_e32 v34, v34, v19
	v_fmac_f32_e32 v34, v35, v18
	v_add_f32_e32 v90, v32, v56
	v_add_f32_e32 v92, v33, v34
	v_mul_f32_e32 v32, v63, v21
	v_mul_f32_e32 v33, v62, v21
	v_fma_f32 v32, v62, v20, -v32
	v_fmac_f32_e32 v33, v63, v20
	v_add_f32_e32 v86, v74, v32
	v_add_f32_e32 v88, v65, v33
	v_mul_f32_e32 v32, v63, v23
	v_mul_f32_e32 v33, v62, v23
	v_fma_f32 v32, v62, v22, -v32
	v_fmac_f32_e32 v33, v63, v22
	v_add_f32_e32 v82, v67, v32
	v_add_f32_e32 v84, v69, v33
	v_mul_f32_e32 v32, v63, v17
	v_mul_f32_e32 v33, v62, v17
	v_fmac_f32_e32 v78, v35, v16
	v_fma_f32 v32, v62, v16, -v32
	v_fmac_f32_e32 v33, v63, v16
	v_add_f32_e32 v96, v57, v78
	v_add_f32_e32 v78, v71, v32
	;; [unrolled: 1-line block ×3, first 2 shown]
	v_mul_f32_e32 v32, v63, v19
	v_mul_f32_e32 v33, v62, v19
	v_fma_f32 v32, v62, v18, -v32
	v_fmac_f32_e32 v33, v63, v18
	v_add_f32_e32 v74, v60, v32
	v_add_f32_e32 v76, v61, v33
	v_mul_f32_e32 v32, v107, v21
	v_mul_f32_e32 v33, v106, v21
	v_fma_f32 v32, v106, v20, -v32
	v_fmac_f32_e32 v33, v107, v20
	v_add_f32_e32 v70, v70, v32
	v_add_f32_e32 v72, v72, v33
	;; [unrolled: 6-line block ×5, first 2 shown]
	ds_read_b128 v[32:35], v49 offset:1536
	s_waitcnt lgkmcnt(0)
	v_mul_f32_e32 v57, v33, v9
	v_mul_f32_e32 v9, v32, v9
	v_fmac_f32_e32 v9, v33, v8
	v_fma_f32 v57, v32, v8, -v57
	v_add_f32_e32 v48, v48, v9
	v_mul_f32_e32 v8, v33, v11
	v_mul_f32_e32 v9, v32, v11
	v_fma_f32 v8, v32, v10, -v8
	v_fmac_f32_e32 v9, v33, v10
	v_add_f32_e32 v42, v42, v8
	v_add_f32_e32 v44, v44, v9
	v_mul_f32_e32 v8, v33, v13
	v_mul_f32_e32 v9, v32, v13
	v_fma_f32 v8, v32, v12, -v8
	v_fmac_f32_e32 v9, v33, v12
	v_add_f32_e32 v12, v40, v8
	v_add_f32_e32 v13, v41, v9
	v_pk_mul_f32 v[8:9], v[32:33], v[14:15] op_sel:[1,1] op_sel_hi:[0,1]
	v_pk_fma_f32 v[10:11], v[32:33], v[14:15], v[8:9] neg_lo:[0,0,1] neg_hi:[0,0,1]
	v_pk_fma_f32 v[8:9], v[32:33], v[14:15], v[8:9] op_sel_hi:[1,0,1]
	v_add_f32_e32 v46, v46, v57
	v_mov_b32_e32 v11, v9
	v_pk_add_f32 v[8:9], v[58:59], v[10:11]
	v_mul_f32_e32 v10, v35, v25
	v_mul_f32_e32 v11, v34, v25
	v_fma_f32 v10, v34, v24, -v10
	v_fmac_f32_e32 v11, v35, v24
	v_add_f32_e32 v32, v46, v10
	v_add_f32_e32 v33, v48, v11
	v_mul_f32_e32 v10, v35, v27
	v_mul_f32_e32 v11, v34, v27
	v_fma_f32 v10, v34, v26, -v10
	v_fmac_f32_e32 v11, v35, v26
	v_add_f32_e32 v24, v42, v10
	v_add_f32_e32 v25, v44, v11
	;; [unrolled: 6-line block ×3, first 2 shown]
	v_pk_mul_f32 v[10:11], v[34:35], v[30:31] op_sel:[1,1] op_sel_hi:[0,1]
	v_pk_fma_f32 v[12:13], v[34:35], v[30:31], v[10:11] neg_lo:[0,0,1] neg_hi:[0,0,1]
	v_pk_fma_f32 v[10:11], v[34:35], v[30:31], v[10:11] op_sel_hi:[1,0,1]
	s_nop 0
	v_mov_b32_e32 v13, v11
	v_pk_add_f32 v[12:13], v[8:9], v[12:13]
	ds_read_b128 v[8:11], v49 offset:1552
	s_waitcnt lgkmcnt(0)
	s_barrier
	v_mul_f32_e32 v26, v9, v5
	v_mul_f32_e32 v5, v8, v5
	v_fma_f32 v26, v8, v4, -v26
	v_fmac_f32_e32 v5, v9, v4
	v_mul_f32_e32 v4, v9, v7
	v_add_f32_e32 v27, v33, v5
	v_fma_f32 v4, v8, v6, -v4
	v_mul_f32_e32 v5, v8, v7
	v_fmac_f32_e32 v5, v9, v6
	v_add_f32_e32 v6, v24, v4
	v_mul_f32_e32 v4, v9, v1
	v_mul_f32_e32 v1, v8, v1
	v_fmac_f32_e32 v1, v9, v0
	v_fma_f32 v4, v8, v0, -v4
	v_add_f32_e32 v15, v15, v1
	v_pk_mul_f32 v[0:1], v[8:9], v[2:3] op_sel:[1,1] op_sel_hi:[0,1]
	v_add_f32_e32 v7, v25, v5
	v_add_f32_e32 v14, v14, v4
	v_pk_fma_f32 v[4:5], v[8:9], v[2:3], v[0:1] neg_lo:[0,0,1] neg_hi:[0,0,1]
	v_pk_fma_f32 v[0:1], v[8:9], v[2:3], v[0:1] op_sel_hi:[1,0,1]
	v_mul_f32_e32 v2, v11, v21
	v_mul_f32_e32 v3, v10, v21
	v_add_f32_e32 v26, v32, v26
	v_fma_f32 v2, v10, v20, -v2
	v_fmac_f32_e32 v3, v11, v20
	v_add_f32_e32 v46, v26, v2
	v_add_f32_e32 v48, v27, v3
	v_mul_f32_e32 v2, v11, v23
	v_mul_f32_e32 v3, v10, v23
	v_fma_f32 v2, v10, v22, -v2
	v_fmac_f32_e32 v3, v11, v22
	v_add_f32_e32 v42, v6, v2
	v_add_f32_e32 v44, v7, v3
	v_mul_f32_e32 v2, v11, v17
	v_mul_f32_e32 v3, v10, v17
	v_fma_f32 v2, v10, v16, -v2
	v_fmac_f32_e32 v3, v11, v16
	v_mov_b32_e32 v5, v1
	v_add_f32_e32 v40, v14, v2
	v_add_f32_e32 v41, v15, v3
	v_pk_mul_f32 v[2:3], v[10:11], v[18:19] op_sel:[1,1] op_sel_hi:[0,1]
	v_pk_add_f32 v[0:1], v[12:13], v[4:5]
	v_pk_fma_f32 v[4:5], v[10:11], v[18:19], v[2:3] neg_lo:[0,0,1] neg_hi:[0,0,1]
	v_pk_fma_f32 v[2:3], v[10:11], v[18:19], v[2:3] op_sel_hi:[1,0,1]
	s_nop 0
	v_mov_b32_e32 v5, v3
	v_pk_add_f32 v[58:59], v[0:1], v[4:5]
	s_cbranch_vccnz .LBB93_2
.LBB93_3:
	s_load_dwordx4 s[20:23], s[0:1], 0x78
	s_load_dwordx8 s[12:19], s[0:1], 0x58
	v_lshl_add_u64 v[2:3], s[24:25], 0, v[38:39]
	v_lshl_add_u64 v[0:1], s[2:3], 0, v[36:37]
	s_waitcnt lgkmcnt(0)
	s_mul_i32 s1, s23, s4
	s_mul_hi_u32 s5, s22, s4
	s_mul_i32 s0, s22, s4
	s_add_i32 s1, s5, s1
	s_lshl_b64 s[0:1], s[0:1], 3
	s_add_u32 s8, s18, s0
	s_addc_u32 s9, s19, s1
	s_or_b32 s0, s6, s7
	s_bitset0_b32 s0, 31
	s_cmp_lg_u32 s0, 0
	s_mov_b32 s0, s11
	s_mov_b32 s1, s10
	s_cbranch_scc1 .LBB93_5
; %bb.4:
	v_mul_lo_u32 v6, v3, s20
	v_mul_lo_u32 v7, v2, s21
	v_mad_u64_u32 v[4:5], s[2:3], v2, s20, 0
	v_add3_u32 v5, v5, v7, v6
	v_pk_mul_f32 v[6:7], v[104:105], s[0:1] op_sel_hi:[0,1]
	v_lshl_add_u64 v[4:5], v[4:5], 3, s[8:9]
	v_lshlrev_b64 v[8:9], 3, v[0:1]
	v_pk_fma_f32 v[12:13], v[102:103], s[0:1], v[6:7] op_sel:[0,1,0] op_sel_hi:[1,0,1] neg_lo:[0,0,1] neg_hi:[0,0,1]
	v_pk_fma_f32 v[6:7], v[102:103], s[0:1], v[6:7] op_sel:[0,1,0] op_sel_hi:[0,0,1]
	v_lshl_add_u64 v[10:11], v[4:5], 0, v[8:9]
	v_mov_b32_e32 v13, v7
	v_pk_mul_f32 v[6:7], v[100:101], s[0:1] op_sel_hi:[0,1]
	global_store_dwordx2 v[10:11], v[12:13], off
	v_pk_fma_f32 v[12:13], v[98:99], s[0:1], v[6:7] op_sel:[0,1,0] op_sel_hi:[1,0,1] neg_lo:[0,0,1] neg_hi:[0,0,1]
	v_pk_fma_f32 v[6:7], v[98:99], s[0:1], v[6:7] op_sel:[0,1,0] op_sel_hi:[0,0,1]
	v_mov_b32_e32 v13, v7
	v_pk_mul_f32 v[6:7], v[96:97], s[0:1] op_sel_hi:[0,1]
	global_store_dwordx2 v[10:11], v[12:13], off offset:128
	v_pk_fma_f32 v[12:13], v[94:95], s[0:1], v[6:7] op_sel:[0,1,0] op_sel_hi:[1,0,1] neg_lo:[0,0,1] neg_hi:[0,0,1]
	v_pk_fma_f32 v[6:7], v[94:95], s[0:1], v[6:7] op_sel:[0,1,0] op_sel_hi:[0,0,1]
	v_mov_b32_e32 v13, v7
	v_pk_mul_f32 v[6:7], v[92:93], s[0:1] op_sel_hi:[0,1]
	global_store_dwordx2 v[10:11], v[12:13], off offset:256
	v_pk_fma_f32 v[12:13], v[90:91], s[0:1], v[6:7] op_sel:[0,1,0] op_sel_hi:[1,0,1] neg_lo:[0,0,1] neg_hi:[0,0,1]
	v_pk_fma_f32 v[6:7], v[90:91], s[0:1], v[6:7] op_sel:[0,1,0] op_sel_hi:[0,0,1]
	v_mov_b32_e32 v13, v7
	s_lshl_b64 s[2:3], s[20:21], 7
	v_pk_mul_f32 v[6:7], v[88:89], s[0:1] op_sel_hi:[0,1]
	global_store_dwordx2 v[10:11], v[12:13], off offset:384
	v_lshl_add_u64 v[4:5], v[4:5], 0, s[2:3]
	v_pk_fma_f32 v[12:13], v[86:87], s[0:1], v[6:7] op_sel:[0,1,0] op_sel_hi:[1,0,1] neg_lo:[0,0,1] neg_hi:[0,0,1]
	v_pk_fma_f32 v[6:7], v[86:87], s[0:1], v[6:7] op_sel:[0,1,0] op_sel_hi:[0,0,1]
	v_lshl_add_u64 v[10:11], v[4:5], 0, v[8:9]
	v_mov_b32_e32 v13, v7
	v_pk_mul_f32 v[6:7], v[84:85], s[0:1] op_sel_hi:[0,1]
	global_store_dwordx2 v[10:11], v[12:13], off
	v_pk_fma_f32 v[12:13], v[82:83], s[0:1], v[6:7] op_sel:[0,1,0] op_sel_hi:[1,0,1] neg_lo:[0,0,1] neg_hi:[0,0,1]
	v_pk_fma_f32 v[6:7], v[82:83], s[0:1], v[6:7] op_sel:[0,1,0] op_sel_hi:[0,0,1]
	v_mov_b32_e32 v13, v7
	v_pk_mul_f32 v[6:7], v[80:81], s[0:1] op_sel_hi:[0,1]
	global_store_dwordx2 v[10:11], v[12:13], off offset:128
	v_pk_fma_f32 v[12:13], v[78:79], s[0:1], v[6:7] op_sel:[0,1,0] op_sel_hi:[1,0,1] neg_lo:[0,0,1] neg_hi:[0,0,1]
	v_pk_fma_f32 v[6:7], v[78:79], s[0:1], v[6:7] op_sel:[0,1,0] op_sel_hi:[0,0,1]
	v_mov_b32_e32 v13, v7
	v_pk_mul_f32 v[6:7], v[76:77], s[0:1] op_sel_hi:[0,1]
	global_store_dwordx2 v[10:11], v[12:13], off offset:256
	;; [unrolled: 5-line block ×3, first 2 shown]
	v_lshl_add_u64 v[4:5], v[4:5], 0, s[2:3]
	v_pk_fma_f32 v[12:13], v[70:71], s[0:1], v[6:7] op_sel:[0,1,0] op_sel_hi:[1,0,1] neg_lo:[0,0,1] neg_hi:[0,0,1]
	v_pk_fma_f32 v[6:7], v[70:71], s[0:1], v[6:7] op_sel:[0,1,0] op_sel_hi:[0,0,1]
	v_lshl_add_u64 v[10:11], v[4:5], 0, v[8:9]
	v_mov_b32_e32 v13, v7
	v_pk_mul_f32 v[6:7], v[68:69], s[0:1] op_sel_hi:[0,1]
	global_store_dwordx2 v[10:11], v[12:13], off
	v_pk_fma_f32 v[12:13], v[66:67], s[0:1], v[6:7] op_sel:[0,1,0] op_sel_hi:[1,0,1] neg_lo:[0,0,1] neg_hi:[0,0,1]
	v_pk_fma_f32 v[6:7], v[66:67], s[0:1], v[6:7] op_sel:[0,1,0] op_sel_hi:[0,0,1]
	v_mov_b32_e32 v13, v7
	v_pk_mul_f32 v[6:7], v[64:65], s[0:1] op_sel_hi:[0,1]
	global_store_dwordx2 v[10:11], v[12:13], off offset:128
	v_pk_fma_f32 v[12:13], v[62:63], s[0:1], v[6:7] op_sel:[0,1,0] op_sel_hi:[1,0,1] neg_lo:[0,0,1] neg_hi:[0,0,1]
	v_pk_fma_f32 v[6:7], v[62:63], s[0:1], v[6:7] op_sel:[0,1,0] op_sel_hi:[0,0,1]
	v_mov_b32_e32 v13, v7
	v_pk_mul_f32 v[6:7], v[60:61], s[0:1] op_sel_hi:[0,1]
	global_store_dwordx2 v[10:11], v[12:13], off offset:256
	v_pk_fma_f32 v[12:13], v[56:57], s[0:1], v[6:7] op_sel:[0,1,0] op_sel_hi:[1,0,1] neg_lo:[0,0,1] neg_hi:[0,0,1]
	v_pk_fma_f32 v[6:7], v[56:57], s[0:1], v[6:7] op_sel:[0,1,0] op_sel_hi:[0,0,1]
	v_mov_b32_e32 v13, v7
	v_lshl_add_u64 v[4:5], v[4:5], 0, s[2:3]
	v_pk_mul_f32 v[6:7], v[48:49], s[0:1] op_sel_hi:[0,1]
	v_lshl_add_u64 v[8:9], v[4:5], 0, v[8:9]
	v_pk_fma_f32 v[4:5], v[46:47], s[0:1], v[6:7] op_sel:[0,1,0] op_sel_hi:[1,0,1] neg_lo:[0,0,1] neg_hi:[0,0,1]
	v_pk_fma_f32 v[6:7], v[46:47], s[0:1], v[6:7] op_sel:[0,1,0] op_sel_hi:[0,0,1]
	v_mov_b32_e32 v5, v7
	global_store_dwordx2 v[10:11], v[12:13], off offset:384
	global_store_dwordx2 v[8:9], v[4:5], off
	v_pk_mul_f32 v[4:5], v[44:45], s[0:1] op_sel_hi:[0,1]
	v_pk_fma_f32 v[6:7], v[42:43], s[0:1], v[4:5] op_sel:[0,1,0] op_sel_hi:[1,0,1] neg_lo:[0,0,1] neg_hi:[0,0,1]
	v_pk_fma_f32 v[4:5], v[42:43], s[0:1], v[4:5] op_sel:[0,1,0] op_sel_hi:[0,0,1]
	v_mov_b32_e32 v4, v41
	v_mov_b32_e32 v7, v5
	v_pk_mul_f32 v[4:5], v[4:5], s[0:1] op_sel_hi:[0,1]
	global_store_dwordx2 v[8:9], v[6:7], off offset:128
	v_pk_fma_f32 v[6:7], v[40:41], s[0:1], v[4:5] op_sel:[0,1,0] op_sel_hi:[1,0,1] neg_lo:[0,0,1] neg_hi:[0,0,1]
	v_pk_fma_f32 v[4:5], v[40:41], s[0:1], v[4:5] op_sel:[0,1,0] op_sel_hi:[0,0,1]
	v_mov_b32_e32 v7, v5
	v_mul_f32_e32 v4, s1, v58
	global_store_dwordx2 v[8:9], v[6:7], off offset:256
	v_fma_f32 v7, -v59, s0, v4
	v_pk_mul_f32 v[4:5], v[58:59], s[0:1]
	s_mov_b64 s[2:3], 0x180
	v_add_f32_e32 v6, v4, v5
	v_lshl_add_u64 v[4:5], v[8:9], 0, s[2:3]
	global_store_dword v[8:9], v7, off offset:384
	s_cbranch_execz .LBB93_6
	s_branch .LBB93_7
.LBB93_5:
                                        ; implicit-def: $vgpr6
                                        ; implicit-def: $vgpr4_vgpr5
.LBB93_6:
	s_mul_i32 s2, s17, s4
	s_mul_hi_u32 s3, s16, s4
	s_add_i32 s3, s3, s2
	s_mul_i32 s2, s16, s4
	s_lshl_b64 s[2:3], s[2:3], 3
	s_add_u32 s2, s12, s2
	v_mul_lo_u32 v6, v3, s14
	v_mul_lo_u32 v7, v2, s15
	v_mad_u64_u32 v[4:5], s[4:5], v2, s14, 0
	s_addc_u32 s3, s13, s3
	v_add3_u32 v5, v5, v7, v6
	v_lshl_add_u64 v[4:5], v[4:5], 3, s[2:3]
	v_lshlrev_b64 v[0:1], 3, v[0:1]
	v_lshl_add_u64 v[6:7], v[4:5], 0, v[0:1]
	global_load_dwordx2 v[8:9], v[6:7], off
	v_mul_lo_u32 v12, v3, s20
	v_mul_lo_u32 v13, v2, s21
	v_mad_u64_u32 v[2:3], s[2:3], v2, s20, 0
	s_mov_b32 s2, s7
	v_pk_mul_f32 v[10:11], v[104:105], s[0:1] op_sel_hi:[0,1]
	v_add3_u32 v3, v3, v13, v12
	v_pk_fma_f32 v[12:13], v[102:103], s[0:1], v[10:11] op_sel:[0,1,0] op_sel_hi:[1,0,1] neg_lo:[0,0,1] neg_hi:[0,0,1]
	v_pk_fma_f32 v[10:11], v[102:103], s[0:1], v[10:11] op_sel:[0,1,0] op_sel_hi:[0,0,1]
	v_lshl_add_u64 v[2:3], v[2:3], 3, s[8:9]
	v_mov_b32_e32 v13, v11
	v_lshl_add_u64 v[10:11], v[2:3], 0, v[0:1]
	s_lshl_b64 s[4:5], s[14:15], 7
	v_lshl_add_u64 v[4:5], v[4:5], 0, s[4:5]
	s_lshl_b64 s[8:9], s[20:21], 7
	v_lshl_add_u64 v[2:3], v[2:3], 0, s[8:9]
	s_mov_b32 s11, s6
	s_waitcnt vmcnt(0)
	v_pk_mul_f32 v[14:15], v[8:9], s[2:3] op_sel_hi:[1,0]
	s_nop 0
	v_pk_fma_f32 v[16:17], v[8:9], s[6:7], v[14:15] op_sel:[0,0,1] op_sel_hi:[1,1,0] neg_lo:[0,0,1] neg_hi:[0,0,1]
	v_pk_fma_f32 v[8:9], v[8:9], s[6:7], v[14:15] op_sel:[0,0,1] op_sel_hi:[1,0,0]
	s_nop 0
	v_mov_b32_e32 v17, v9
	v_pk_add_f32 v[8:9], v[12:13], v[16:17]
	global_store_dwordx2 v[10:11], v[8:9], off
	global_load_dwordx2 v[8:9], v[6:7], off offset:128
	v_pk_mul_f32 v[12:13], v[100:101], s[0:1] op_sel_hi:[0,1]
	v_pk_fma_f32 v[14:15], v[98:99], s[0:1], v[12:13] op_sel:[0,1,0] op_sel_hi:[1,0,1] neg_lo:[0,0,1] neg_hi:[0,0,1]
	v_pk_fma_f32 v[12:13], v[98:99], s[0:1], v[12:13] op_sel:[0,1,0] op_sel_hi:[0,0,1]
	v_mov_b32_e32 v15, v13
	s_waitcnt vmcnt(0)
	v_pk_mul_f32 v[12:13], v[8:9], s[2:3] op_sel_hi:[1,0]
	s_nop 0
	v_pk_fma_f32 v[16:17], v[8:9], s[6:7], v[12:13] op_sel:[0,0,1] op_sel_hi:[1,1,0] neg_lo:[0,0,1] neg_hi:[0,0,1]
	v_pk_fma_f32 v[8:9], v[8:9], s[6:7], v[12:13] op_sel:[0,0,1] op_sel_hi:[1,0,0]
	v_pk_mul_f32 v[12:13], v[96:97], s[0:1] op_sel_hi:[0,1]
	v_mov_b32_e32 v17, v9
	v_pk_add_f32 v[8:9], v[14:15], v[16:17]
	global_store_dwordx2 v[10:11], v[8:9], off offset:128
	global_load_dwordx2 v[8:9], v[6:7], off offset:256
	v_pk_fma_f32 v[14:15], v[94:95], s[0:1], v[12:13] op_sel:[0,1,0] op_sel_hi:[1,0,1] neg_lo:[0,0,1] neg_hi:[0,0,1]
	v_pk_fma_f32 v[12:13], v[94:95], s[0:1], v[12:13] op_sel:[0,1,0] op_sel_hi:[0,0,1]
	v_mov_b32_e32 v15, v13
	s_waitcnt vmcnt(0)
	v_pk_mul_f32 v[12:13], v[8:9], s[2:3] op_sel_hi:[1,0]
	s_nop 0
	v_pk_fma_f32 v[16:17], v[8:9], s[6:7], v[12:13] op_sel:[0,0,1] op_sel_hi:[1,1,0] neg_lo:[0,0,1] neg_hi:[0,0,1]
	v_pk_fma_f32 v[8:9], v[8:9], s[6:7], v[12:13] op_sel:[0,0,1] op_sel_hi:[1,0,0]
	s_nop 0
	v_mov_b32_e32 v17, v9
	v_pk_add_f32 v[8:9], v[14:15], v[16:17]
	global_store_dwordx2 v[10:11], v[8:9], off offset:256
	global_load_dwordx2 v[6:7], v[6:7], off offset:384
	v_pk_mul_f32 v[8:9], v[92:93], s[0:1] op_sel_hi:[0,1]
	v_pk_fma_f32 v[12:13], v[90:91], s[0:1], v[8:9] op_sel:[0,1,0] op_sel_hi:[1,0,1] neg_lo:[0,0,1] neg_hi:[0,0,1]
	v_pk_fma_f32 v[8:9], v[90:91], s[0:1], v[8:9] op_sel:[0,1,0] op_sel_hi:[0,0,1]
	v_mov_b32_e32 v13, v9
	v_lshl_add_u64 v[8:9], v[4:5], 0, v[0:1]
	v_lshl_add_u64 v[4:5], v[4:5], 0, s[4:5]
	s_waitcnt vmcnt(0)
	v_pk_mul_f32 v[14:15], v[6:7], s[2:3] op_sel_hi:[1,0]
	s_nop 0
	v_pk_fma_f32 v[16:17], v[6:7], s[6:7], v[14:15] op_sel:[0,0,1] op_sel_hi:[1,1,0] neg_lo:[0,0,1] neg_hi:[0,0,1]
	v_pk_fma_f32 v[6:7], v[6:7], s[6:7], v[14:15] op_sel:[0,0,1] op_sel_hi:[1,0,0]
	s_nop 0
	v_mov_b32_e32 v17, v7
	v_pk_add_f32 v[6:7], v[12:13], v[16:17]
	global_store_dwordx2 v[10:11], v[6:7], off offset:384
	global_load_dwordx2 v[6:7], v[8:9], off
	v_pk_mul_f32 v[10:11], v[88:89], s[0:1] op_sel_hi:[0,1]
	v_pk_fma_f32 v[12:13], v[86:87], s[0:1], v[10:11] op_sel:[0,1,0] op_sel_hi:[1,0,1] neg_lo:[0,0,1] neg_hi:[0,0,1]
	v_pk_fma_f32 v[10:11], v[86:87], s[0:1], v[10:11] op_sel:[0,1,0] op_sel_hi:[0,0,1]
	v_mov_b32_e32 v13, v11
	v_lshl_add_u64 v[10:11], v[2:3], 0, v[0:1]
	v_lshl_add_u64 v[2:3], v[2:3], 0, s[8:9]
	s_waitcnt vmcnt(0)
	v_pk_mul_f32 v[14:15], v[6:7], s[2:3] op_sel_hi:[1,0]
	s_nop 0
	v_pk_fma_f32 v[16:17], v[6:7], s[6:7], v[14:15] op_sel:[0,0,1] op_sel_hi:[1,1,0] neg_lo:[0,0,1] neg_hi:[0,0,1]
	v_pk_fma_f32 v[6:7], v[6:7], s[6:7], v[14:15] op_sel:[0,0,1] op_sel_hi:[1,0,0]
	s_nop 0
	v_mov_b32_e32 v17, v7
	v_pk_add_f32 v[6:7], v[12:13], v[16:17]
	global_store_dwordx2 v[10:11], v[6:7], off
	global_load_dwordx2 v[6:7], v[8:9], off offset:128
	v_pk_mul_f32 v[12:13], v[84:85], s[0:1] op_sel_hi:[0,1]
	v_pk_fma_f32 v[14:15], v[82:83], s[0:1], v[12:13] op_sel:[0,1,0] op_sel_hi:[1,0,1] neg_lo:[0,0,1] neg_hi:[0,0,1]
	v_pk_fma_f32 v[12:13], v[82:83], s[0:1], v[12:13] op_sel:[0,1,0] op_sel_hi:[0,0,1]
	v_mov_b32_e32 v15, v13
	s_waitcnt vmcnt(0)
	v_pk_mul_f32 v[12:13], v[6:7], s[2:3] op_sel_hi:[1,0]
	s_nop 0
	v_pk_fma_f32 v[16:17], v[6:7], s[6:7], v[12:13] op_sel:[0,0,1] op_sel_hi:[1,1,0] neg_lo:[0,0,1] neg_hi:[0,0,1]
	v_pk_fma_f32 v[6:7], v[6:7], s[6:7], v[12:13] op_sel:[0,0,1] op_sel_hi:[1,0,0]
	v_pk_mul_f32 v[12:13], v[80:81], s[0:1] op_sel_hi:[0,1]
	v_mov_b32_e32 v17, v7
	v_pk_add_f32 v[6:7], v[14:15], v[16:17]
	global_store_dwordx2 v[10:11], v[6:7], off offset:128
	global_load_dwordx2 v[6:7], v[8:9], off offset:256
	v_pk_fma_f32 v[14:15], v[78:79], s[0:1], v[12:13] op_sel:[0,1,0] op_sel_hi:[1,0,1] neg_lo:[0,0,1] neg_hi:[0,0,1]
	v_pk_fma_f32 v[12:13], v[78:79], s[0:1], v[12:13] op_sel:[0,1,0] op_sel_hi:[0,0,1]
	v_mov_b32_e32 v15, v13
	s_waitcnt vmcnt(0)
	v_pk_mul_f32 v[12:13], v[6:7], s[2:3] op_sel_hi:[1,0]
	s_nop 0
	v_pk_fma_f32 v[16:17], v[6:7], s[6:7], v[12:13] op_sel:[0,0,1] op_sel_hi:[1,1,0] neg_lo:[0,0,1] neg_hi:[0,0,1]
	v_pk_fma_f32 v[6:7], v[6:7], s[6:7], v[12:13] op_sel:[0,0,1] op_sel_hi:[1,0,0]
	s_nop 0
	v_mov_b32_e32 v17, v7
	v_pk_add_f32 v[6:7], v[14:15], v[16:17]
	global_store_dwordx2 v[10:11], v[6:7], off offset:256
	global_load_dwordx2 v[6:7], v[8:9], off offset:384
	v_pk_mul_f32 v[8:9], v[76:77], s[0:1] op_sel_hi:[0,1]
	v_pk_fma_f32 v[12:13], v[74:75], s[0:1], v[8:9] op_sel:[0,1,0] op_sel_hi:[1,0,1] neg_lo:[0,0,1] neg_hi:[0,0,1]
	v_pk_fma_f32 v[8:9], v[74:75], s[0:1], v[8:9] op_sel:[0,1,0] op_sel_hi:[0,0,1]
	v_mov_b32_e32 v13, v9
	v_lshl_add_u64 v[8:9], v[4:5], 0, v[0:1]
	v_lshl_add_u64 v[4:5], v[4:5], 0, s[4:5]
	;; [unrolled: 1-line block ×3, first 2 shown]
	s_waitcnt vmcnt(0)
	v_pk_mul_f32 v[14:15], v[6:7], s[2:3] op_sel_hi:[1,0]
	s_nop 0
	v_pk_fma_f32 v[16:17], v[6:7], s[6:7], v[14:15] op_sel:[0,0,1] op_sel_hi:[1,1,0] neg_lo:[0,0,1] neg_hi:[0,0,1]
	v_pk_fma_f32 v[6:7], v[6:7], s[6:7], v[14:15] op_sel:[0,0,1] op_sel_hi:[1,0,0]
	s_nop 0
	v_mov_b32_e32 v17, v7
	v_pk_add_f32 v[6:7], v[12:13], v[16:17]
	global_store_dwordx2 v[10:11], v[6:7], off offset:384
	global_load_dwordx2 v[6:7], v[8:9], off
	v_pk_mul_f32 v[10:11], v[72:73], s[0:1] op_sel_hi:[0,1]
	v_pk_fma_f32 v[12:13], v[70:71], s[0:1], v[10:11] op_sel:[0,1,0] op_sel_hi:[1,0,1] neg_lo:[0,0,1] neg_hi:[0,0,1]
	v_pk_fma_f32 v[10:11], v[70:71], s[0:1], v[10:11] op_sel:[0,1,0] op_sel_hi:[0,0,1]
	v_mov_b32_e32 v13, v11
	v_lshl_add_u64 v[10:11], v[2:3], 0, v[0:1]
	v_lshl_add_u64 v[2:3], v[2:3], 0, s[8:9]
	;; [unrolled: 1-line block ×3, first 2 shown]
	s_waitcnt vmcnt(0)
	v_pk_mul_f32 v[14:15], v[6:7], s[2:3] op_sel_hi:[1,0]
	s_nop 0
	v_pk_fma_f32 v[16:17], v[6:7], s[6:7], v[14:15] op_sel:[0,0,1] op_sel_hi:[1,1,0] neg_lo:[0,0,1] neg_hi:[0,0,1]
	v_pk_fma_f32 v[6:7], v[6:7], s[6:7], v[14:15] op_sel:[0,0,1] op_sel_hi:[1,0,0]
	s_nop 0
	v_mov_b32_e32 v17, v7
	v_pk_add_f32 v[6:7], v[12:13], v[16:17]
	global_store_dwordx2 v[10:11], v[6:7], off
	global_load_dwordx2 v[6:7], v[8:9], off offset:128
	v_pk_mul_f32 v[12:13], v[68:69], s[0:1] op_sel_hi:[0,1]
	v_pk_fma_f32 v[14:15], v[66:67], s[0:1], v[12:13] op_sel:[0,1,0] op_sel_hi:[1,0,1] neg_lo:[0,0,1] neg_hi:[0,0,1]
	v_pk_fma_f32 v[12:13], v[66:67], s[0:1], v[12:13] op_sel:[0,1,0] op_sel_hi:[0,0,1]
	v_mov_b32_e32 v15, v13
	s_waitcnt vmcnt(0)
	v_pk_mul_f32 v[12:13], v[6:7], s[2:3] op_sel_hi:[1,0]
	s_nop 0
	v_pk_fma_f32 v[16:17], v[6:7], s[6:7], v[12:13] op_sel:[0,0,1] op_sel_hi:[1,1,0] neg_lo:[0,0,1] neg_hi:[0,0,1]
	v_pk_fma_f32 v[6:7], v[6:7], s[6:7], v[12:13] op_sel:[0,0,1] op_sel_hi:[1,0,0]
	v_pk_mul_f32 v[12:13], v[64:65], s[0:1] op_sel_hi:[0,1]
	v_mov_b32_e32 v17, v7
	v_pk_add_f32 v[6:7], v[14:15], v[16:17]
	global_store_dwordx2 v[10:11], v[6:7], off offset:128
	global_load_dwordx2 v[6:7], v[8:9], off offset:256
	v_pk_fma_f32 v[14:15], v[62:63], s[0:1], v[12:13] op_sel:[0,1,0] op_sel_hi:[1,0,1] neg_lo:[0,0,1] neg_hi:[0,0,1]
	v_pk_fma_f32 v[12:13], v[62:63], s[0:1], v[12:13] op_sel:[0,1,0] op_sel_hi:[0,0,1]
	v_mov_b32_e32 v15, v13
	s_waitcnt vmcnt(0)
	v_pk_mul_f32 v[12:13], v[6:7], s[2:3] op_sel_hi:[1,0]
	s_nop 0
	v_pk_fma_f32 v[16:17], v[6:7], s[6:7], v[12:13] op_sel:[0,0,1] op_sel_hi:[1,1,0] neg_lo:[0,0,1] neg_hi:[0,0,1]
	v_pk_fma_f32 v[6:7], v[6:7], s[6:7], v[12:13] op_sel:[0,0,1] op_sel_hi:[1,0,0]
	s_nop 0
	v_mov_b32_e32 v17, v7
	v_pk_add_f32 v[6:7], v[14:15], v[16:17]
	global_store_dwordx2 v[10:11], v[6:7], off offset:256
	global_load_dwordx2 v[6:7], v[8:9], off offset:384
	v_pk_mul_f32 v[8:9], v[60:61], s[0:1] op_sel_hi:[0,1]
	v_pk_fma_f32 v[12:13], v[56:57], s[0:1], v[8:9] op_sel:[0,1,0] op_sel_hi:[1,0,1] neg_lo:[0,0,1] neg_hi:[0,0,1]
	v_pk_fma_f32 v[8:9], v[56:57], s[0:1], v[8:9] op_sel:[0,1,0] op_sel_hi:[0,0,1]
	v_mov_b32_e32 v13, v9
	s_waitcnt vmcnt(0)
	v_pk_mul_f32 v[8:9], v[6:7], s[2:3] op_sel_hi:[1,0]
	s_nop 0
	v_pk_fma_f32 v[14:15], v[6:7], s[6:7], v[8:9] op_sel:[0,0,1] op_sel_hi:[1,1,0] neg_lo:[0,0,1] neg_hi:[0,0,1]
	v_pk_fma_f32 v[6:7], v[6:7], s[6:7], v[8:9] op_sel:[0,0,1] op_sel_hi:[1,0,0]
	v_pk_mul_f32 v[8:9], v[48:49], s[0:1] op_sel_hi:[0,1]
	v_mov_b32_e32 v15, v7
	v_pk_add_f32 v[6:7], v[12:13], v[14:15]
	global_store_dwordx2 v[10:11], v[6:7], off offset:384
	global_load_dwordx2 v[6:7], v[4:5], off
	v_pk_fma_f32 v[10:11], v[46:47], s[0:1], v[8:9] op_sel:[0,1,0] op_sel_hi:[1,0,1] neg_lo:[0,0,1] neg_hi:[0,0,1]
	v_pk_fma_f32 v[8:9], v[46:47], s[0:1], v[8:9] op_sel:[0,1,0] op_sel_hi:[0,0,1]
	v_mov_b32_e32 v11, v9
	s_waitcnt vmcnt(0)
	v_pk_mul_f32 v[2:3], v[6:7], s[2:3] op_sel_hi:[1,0]
	s_nop 0
	v_pk_fma_f32 v[8:9], v[6:7], s[6:7], v[2:3] op_sel:[0,0,1] op_sel_hi:[1,1,0] neg_lo:[0,0,1] neg_hi:[0,0,1]
	v_pk_fma_f32 v[2:3], v[6:7], s[6:7], v[2:3] op_sel:[0,0,1] op_sel_hi:[1,0,0]
	v_pk_mul_f32 v[6:7], v[44:45], s[0:1] op_sel_hi:[0,1]
	v_mov_b32_e32 v9, v3
	v_pk_add_f32 v[2:3], v[10:11], v[8:9]
	global_store_dwordx2 v[0:1], v[2:3], off
	global_load_dwordx2 v[2:3], v[4:5], off offset:128
	v_pk_fma_f32 v[8:9], v[42:43], s[0:1], v[6:7] op_sel:[0,1,0] op_sel_hi:[1,0,1] neg_lo:[0,0,1] neg_hi:[0,0,1]
	v_pk_fma_f32 v[6:7], v[42:43], s[0:1], v[6:7] op_sel:[0,1,0] op_sel_hi:[0,0,1]
	v_mov_b32_e32 v9, v7
	s_waitcnt vmcnt(0)
	v_pk_mul_f32 v[6:7], v[2:3], s[2:3] op_sel_hi:[1,0]
	s_nop 0
	v_pk_fma_f32 v[10:11], v[2:3], s[6:7], v[6:7] op_sel:[0,0,1] op_sel_hi:[1,1,0] neg_lo:[0,0,1] neg_hi:[0,0,1]
	v_pk_fma_f32 v[2:3], v[2:3], s[6:7], v[6:7] op_sel:[0,0,1] op_sel_hi:[1,0,0]
	v_mov_b32_e32 v6, v41
	v_mov_b32_e32 v11, v3
	v_pk_add_f32 v[2:3], v[8:9], v[10:11]
	global_store_dwordx2 v[0:1], v[2:3], off offset:128
	global_load_dwordx2 v[2:3], v[4:5], off offset:256
	v_pk_mul_f32 v[6:7], v[6:7], s[0:1] op_sel_hi:[0,1]
	v_pk_fma_f32 v[8:9], v[40:41], s[0:1], v[6:7] op_sel:[0,1,0] op_sel_hi:[1,0,1] neg_lo:[0,0,1] neg_hi:[0,0,1]
	v_pk_fma_f32 v[6:7], v[40:41], s[0:1], v[6:7] op_sel:[0,1,0] op_sel_hi:[0,0,1]
	v_mov_b32_e32 v9, v7
	s_waitcnt vmcnt(0)
	v_pk_mul_f32 v[6:7], v[2:3], s[2:3] op_sel_hi:[1,0]
	s_nop 0
	v_pk_fma_f32 v[10:11], v[2:3], s[6:7], v[6:7] op_sel:[0,0,1] op_sel_hi:[1,1,0] neg_lo:[0,0,1] neg_hi:[0,0,1]
	v_pk_fma_f32 v[2:3], v[2:3], s[6:7], v[6:7] op_sel:[0,0,1] op_sel_hi:[1,0,0]
	v_mov_b32_e32 v6, v58
	v_mov_b32_e32 v11, v3
	v_pk_add_f32 v[2:3], v[8:9], v[10:11]
	global_store_dwordx2 v[0:1], v[2:3], off offset:256
	global_load_dwordx2 v[2:3], v[4:5], off offset:384
	v_mul_f32_e32 v4, s1, v58
	s_mov_b32 s1, s7
	s_mov_b64 s[2:3], 0x180
	v_fma_f32 v8, -v59, s0, v4
	v_lshl_add_u64 v[4:5], v[0:1], 0, s[2:3]
	s_waitcnt vmcnt(0)
	v_mul_f32_e32 v9, s7, v3
	v_mov_b32_e32 v7, v2
	v_fma_f32 v9, v2, s6, -v9
	v_mov_b32_e32 v2, v59
	v_pk_mul_f32 v[2:3], v[2:3], s[10:11]
	v_add_f32_e32 v8, v8, v9
	v_pk_fma_f32 v[2:3], v[6:7], s[0:1], v[2:3]
	global_store_dword v[0:1], v8, off offset:384
	v_add_f32_e32 v6, v2, v3
.LBB93_7:
	global_store_dword v[4:5], v6, off offset:4
	s_endpgm
	.section	.rodata,"a",@progbits
	.p2align	6, 0x0
	.amdhsa_kernel _ZN12_GLOBAL__N_127rocblas_gemm_batched_kernelI19rocblas_complex_numIfELi16ELi16ELi64ELi64ELi4ELi64ELi4ELi4ELi64ELc67ELc67EKS2_S3_S2_EEvlllT_PT11_llS6_llS4_PT12_llPT13_lli
		.amdhsa_group_segment_fixed_size 4096
		.amdhsa_private_segment_fixed_size 0
		.amdhsa_kernarg_size 140
		.amdhsa_user_sgpr_count 2
		.amdhsa_user_sgpr_dispatch_ptr 0
		.amdhsa_user_sgpr_queue_ptr 0
		.amdhsa_user_sgpr_kernarg_segment_ptr 1
		.amdhsa_user_sgpr_dispatch_id 0
		.amdhsa_user_sgpr_kernarg_preload_length 0
		.amdhsa_user_sgpr_kernarg_preload_offset 0
		.amdhsa_user_sgpr_private_segment_size 0
		.amdhsa_uses_dynamic_stack 0
		.amdhsa_enable_private_segment 0
		.amdhsa_system_sgpr_workgroup_id_x 1
		.amdhsa_system_sgpr_workgroup_id_y 1
		.amdhsa_system_sgpr_workgroup_id_z 1
		.amdhsa_system_sgpr_workgroup_info 0
		.amdhsa_system_vgpr_workitem_id 1
		.amdhsa_next_free_vgpr 108
		.amdhsa_next_free_sgpr 28
		.amdhsa_accum_offset 108
		.amdhsa_reserve_vcc 1
		.amdhsa_float_round_mode_32 0
		.amdhsa_float_round_mode_16_64 0
		.amdhsa_float_denorm_mode_32 3
		.amdhsa_float_denorm_mode_16_64 3
		.amdhsa_dx10_clamp 1
		.amdhsa_ieee_mode 1
		.amdhsa_fp16_overflow 0
		.amdhsa_tg_split 0
		.amdhsa_exception_fp_ieee_invalid_op 0
		.amdhsa_exception_fp_denorm_src 0
		.amdhsa_exception_fp_ieee_div_zero 0
		.amdhsa_exception_fp_ieee_overflow 0
		.amdhsa_exception_fp_ieee_underflow 0
		.amdhsa_exception_fp_ieee_inexact 0
		.amdhsa_exception_int_div_zero 0
	.end_amdhsa_kernel
	.section	.text._ZN12_GLOBAL__N_127rocblas_gemm_batched_kernelI19rocblas_complex_numIfELi16ELi16ELi64ELi64ELi4ELi64ELi4ELi4ELi64ELc67ELc67EKS2_S3_S2_EEvlllT_PT11_llS6_llS4_PT12_llPT13_lli,"axG",@progbits,_ZN12_GLOBAL__N_127rocblas_gemm_batched_kernelI19rocblas_complex_numIfELi16ELi16ELi64ELi64ELi4ELi64ELi4ELi4ELi64ELc67ELc67EKS2_S3_S2_EEvlllT_PT11_llS6_llS4_PT12_llPT13_lli,comdat
.Lfunc_end93:
	.size	_ZN12_GLOBAL__N_127rocblas_gemm_batched_kernelI19rocblas_complex_numIfELi16ELi16ELi64ELi64ELi4ELi64ELi4ELi4ELi64ELc67ELc67EKS2_S3_S2_EEvlllT_PT11_llS6_llS4_PT12_llPT13_lli, .Lfunc_end93-_ZN12_GLOBAL__N_127rocblas_gemm_batched_kernelI19rocblas_complex_numIfELi16ELi16ELi64ELi64ELi4ELi64ELi4ELi4ELi64ELc67ELc67EKS2_S3_S2_EEvlllT_PT11_llS6_llS4_PT12_llPT13_lli
                                        ; -- End function
	.set _ZN12_GLOBAL__N_127rocblas_gemm_batched_kernelI19rocblas_complex_numIfELi16ELi16ELi64ELi64ELi4ELi64ELi4ELi4ELi64ELc67ELc67EKS2_S3_S2_EEvlllT_PT11_llS6_llS4_PT12_llPT13_lli.num_vgpr, 108
	.set _ZN12_GLOBAL__N_127rocblas_gemm_batched_kernelI19rocblas_complex_numIfELi16ELi16ELi64ELi64ELi4ELi64ELi4ELi4ELi64ELc67ELc67EKS2_S3_S2_EEvlllT_PT11_llS6_llS4_PT12_llPT13_lli.num_agpr, 0
	.set _ZN12_GLOBAL__N_127rocblas_gemm_batched_kernelI19rocblas_complex_numIfELi16ELi16ELi64ELi64ELi4ELi64ELi4ELi4ELi64ELc67ELc67EKS2_S3_S2_EEvlllT_PT11_llS6_llS4_PT12_llPT13_lli.numbered_sgpr, 28
	.set _ZN12_GLOBAL__N_127rocblas_gemm_batched_kernelI19rocblas_complex_numIfELi16ELi16ELi64ELi64ELi4ELi64ELi4ELi4ELi64ELc67ELc67EKS2_S3_S2_EEvlllT_PT11_llS6_llS4_PT12_llPT13_lli.num_named_barrier, 0
	.set _ZN12_GLOBAL__N_127rocblas_gemm_batched_kernelI19rocblas_complex_numIfELi16ELi16ELi64ELi64ELi4ELi64ELi4ELi4ELi64ELc67ELc67EKS2_S3_S2_EEvlllT_PT11_llS6_llS4_PT12_llPT13_lli.private_seg_size, 0
	.set _ZN12_GLOBAL__N_127rocblas_gemm_batched_kernelI19rocblas_complex_numIfELi16ELi16ELi64ELi64ELi4ELi64ELi4ELi4ELi64ELc67ELc67EKS2_S3_S2_EEvlllT_PT11_llS6_llS4_PT12_llPT13_lli.uses_vcc, 1
	.set _ZN12_GLOBAL__N_127rocblas_gemm_batched_kernelI19rocblas_complex_numIfELi16ELi16ELi64ELi64ELi4ELi64ELi4ELi4ELi64ELc67ELc67EKS2_S3_S2_EEvlllT_PT11_llS6_llS4_PT12_llPT13_lli.uses_flat_scratch, 0
	.set _ZN12_GLOBAL__N_127rocblas_gemm_batched_kernelI19rocblas_complex_numIfELi16ELi16ELi64ELi64ELi4ELi64ELi4ELi4ELi64ELc67ELc67EKS2_S3_S2_EEvlllT_PT11_llS6_llS4_PT12_llPT13_lli.has_dyn_sized_stack, 0
	.set _ZN12_GLOBAL__N_127rocblas_gemm_batched_kernelI19rocblas_complex_numIfELi16ELi16ELi64ELi64ELi4ELi64ELi4ELi4ELi64ELc67ELc67EKS2_S3_S2_EEvlllT_PT11_llS6_llS4_PT12_llPT13_lli.has_recursion, 0
	.set _ZN12_GLOBAL__N_127rocblas_gemm_batched_kernelI19rocblas_complex_numIfELi16ELi16ELi64ELi64ELi4ELi64ELi4ELi4ELi64ELc67ELc67EKS2_S3_S2_EEvlllT_PT11_llS6_llS4_PT12_llPT13_lli.has_indirect_call, 0
	.section	.AMDGPU.csdata,"",@progbits
; Kernel info:
; codeLenInByte = 5216
; TotalNumSgprs: 34
; NumVgprs: 108
; NumAgprs: 0
; TotalNumVgprs: 108
; ScratchSize: 0
; MemoryBound: 0
; FloatMode: 240
; IeeeMode: 1
; LDSByteSize: 4096 bytes/workgroup (compile time only)
; SGPRBlocks: 4
; VGPRBlocks: 13
; NumSGPRsForWavesPerEU: 34
; NumVGPRsForWavesPerEU: 108
; AccumOffset: 108
; Occupancy: 4
; WaveLimiterHint : 1
; COMPUTE_PGM_RSRC2:SCRATCH_EN: 0
; COMPUTE_PGM_RSRC2:USER_SGPR: 2
; COMPUTE_PGM_RSRC2:TRAP_HANDLER: 0
; COMPUTE_PGM_RSRC2:TGID_X_EN: 1
; COMPUTE_PGM_RSRC2:TGID_Y_EN: 1
; COMPUTE_PGM_RSRC2:TGID_Z_EN: 1
; COMPUTE_PGM_RSRC2:TIDIG_COMP_CNT: 1
; COMPUTE_PGM_RSRC3_GFX90A:ACCUM_OFFSET: 26
; COMPUTE_PGM_RSRC3_GFX90A:TG_SPLIT: 0
	.section	.text._ZN12_GLOBAL__N_127rocblas_gemm_batched_kernelI19rocblas_complex_numIfELi16ELi16ELi64ELi64ELi4ELi64ELi4ELi4ELi64ELc67ELc78EKS2_S3_S2_EEvlllT_PT11_llS6_llS4_PT12_llPT13_lli,"axG",@progbits,_ZN12_GLOBAL__N_127rocblas_gemm_batched_kernelI19rocblas_complex_numIfELi16ELi16ELi64ELi64ELi4ELi64ELi4ELi4ELi64ELc67ELc78EKS2_S3_S2_EEvlllT_PT11_llS6_llS4_PT12_llPT13_lli,comdat
	.globl	_ZN12_GLOBAL__N_127rocblas_gemm_batched_kernelI19rocblas_complex_numIfELi16ELi16ELi64ELi64ELi4ELi64ELi4ELi4ELi64ELc67ELc78EKS2_S3_S2_EEvlllT_PT11_llS6_llS4_PT12_llPT13_lli ; -- Begin function _ZN12_GLOBAL__N_127rocblas_gemm_batched_kernelI19rocblas_complex_numIfELi16ELi16ELi64ELi64ELi4ELi64ELi4ELi4ELi64ELc67ELc78EKS2_S3_S2_EEvlllT_PT11_llS6_llS4_PT12_llPT13_lli
	.p2align	8
	.type	_ZN12_GLOBAL__N_127rocblas_gemm_batched_kernelI19rocblas_complex_numIfELi16ELi16ELi64ELi64ELi4ELi64ELi4ELi4ELi64ELc67ELc78EKS2_S3_S2_EEvlllT_PT11_llS6_llS4_PT12_llPT13_lli,@function
_ZN12_GLOBAL__N_127rocblas_gemm_batched_kernelI19rocblas_complex_numIfELi16ELi16ELi64ELi64ELi4ELi64ELi4ELi4ELi64ELc67ELc78EKS2_S3_S2_EEvlllT_PT11_llS6_llS4_PT12_llPT13_lli: ; @_ZN12_GLOBAL__N_127rocblas_gemm_batched_kernelI19rocblas_complex_numIfELi16ELi16ELi64ELi64ELi4ELi64ELi4ELi4ELi64ELc67ELc78EKS2_S3_S2_EEvlllT_PT11_llS6_llS4_PT12_llPT13_lli
; %bb.0:
	s_load_dwordx16 s[8:23], s[0:1], 0x10
	s_load_dwordx2 s[6:7], s[0:1], 0x50
	s_mov_b32 s24, s3
	v_mov_b32_e32 v39, 0
	s_ashr_i32 s3, s2, 31
	s_ashr_i32 s25, s24, 31
	s_waitcnt lgkmcnt(0)
	v_cmp_lt_i64_e64 s[26:27], s[8:9], 1
	v_bfe_u32 v38, v0, 10, 10
	v_and_b32_e32 v36, 0x3ff, v0
	v_mov_b32_e32 v37, v39
	s_lshl_b64 s[2:3], s[2:3], 6
	s_lshl_b64 s[24:25], s[24:25], 6
	s_and_b64 vcc, exec, s[26:27]
	v_mov_b32_e32 v59, v39
	v_mov_b32_e32 v58, v39
	;; [unrolled: 1-line block ×32, first 2 shown]
	s_cbranch_vccnz .LBB94_3
; %bb.1:
	v_lshl_add_u32 v4, v38, 4, v36
	v_and_b32_e32 v2, 63, v4
	v_lshrrev_b32_e32 v40, 2, v4
	v_and_b32_e32 v5, 3, v36
	v_lshrrev_b32_e32 v6, 6, v4
	v_lshlrev_b32_e32 v4, 3, v2
	v_mov_b32_e32 v41, 0
	v_lshl_or_b32 v43, v6, 9, v4
	v_lshlrev_b32_e32 v4, 3, v5
	v_mov_b32_e32 v3, v41
	v_lshl_or_b32 v5, v40, 5, v4
	v_add_u32_e32 v45, 0x800, v5
	v_mov_b32_e32 v5, 0x800
	v_lshl_add_u64 v[2:3], s[2:3], 0, v[2:3]
	v_lshl_add_u32 v49, v38, 5, v5
	v_mul_lo_u32 v5, s15, v2
	v_mul_lo_u32 v7, s14, v3
	v_mad_u64_u32 v[2:3], s[14:15], s14, v2, 0
	s_mul_i32 s5, s17, s4
	s_mul_hi_u32 s14, s16, s4
	s_add_i32 s15, s14, s5
	s_mul_i32 s14, s16, s4
	v_add3_u32 v3, v3, v7, v5
	s_lshl_b64 s[14:15], s[14:15], 3
	v_lshl_add_u64 v[0:1], v[40:41], 0, s[24:25]
	v_lshl_add_u64 v[2:3], v[2:3], 3, s[14:15]
	v_lshlrev_b32_e32 v40, 3, v6
	v_lshl_add_u64 v[2:3], v[2:3], 0, v[40:41]
	v_lshl_add_u64 v[2:3], s[12:13], 0, v[2:3]
	;; [unrolled: 1-line block ×3, first 2 shown]
	v_mul_lo_u32 v2, s21, v0
	v_mul_lo_u32 v3, s20, v1
	v_mad_u64_u32 v[0:1], s[12:13], s20, v0, 0
	s_mul_i32 s5, s23, s4
	s_mul_hi_u32 s12, s22, s4
	s_add_i32 s13, s12, s5
	s_mul_i32 s12, s22, s4
	v_add3_u32 v1, v1, v3, v2
	s_lshl_b64 s[12:13], s[12:13], 3
	v_lshl_add_u64 v[0:1], v[0:1], 3, s[12:13]
	v_mov_b32_e32 v5, v41
	v_lshl_add_u64 v[0:1], v[0:1], 0, v[4:5]
	v_lshlrev_b32_e32 v47, 3, v36
	v_lshl_add_u64 v[52:53], s[18:19], 0, v[0:1]
	s_mov_b64 s[12:13], 0
	v_mov_b64_e32 v[54:55], s[8:9]
	v_mov_b32_e32 v40, v41
	v_mov_b32_e32 v44, v41
	;; [unrolled: 1-line block ×31, first 2 shown]
.LBB94_2:                               ; =>This Inner Loop Header: Depth=1
	global_load_dwordx2 v[0:1], v[50:51], off offset:-4
	s_add_u32 s12, s12, 4
	s_addc_u32 s13, s13, 0
	v_cmp_lt_i64_e32 vcc, s[12:13], v[54:55]
	v_lshl_add_u64 v[50:51], v[50:51], 0, 32
	s_and_b64 vcc, exec, vcc
	s_waitcnt vmcnt(0)
	v_xor_b32_e32 v1, 0x80000000, v1
	ds_write_b64 v43, v[0:1]
	global_load_dwordx2 v[0:1], v[52:53], off
	v_lshl_add_u64 v[52:53], v[52:53], 0, 32
	s_waitcnt vmcnt(0)
	ds_write_b64 v45, v[0:1]
	s_waitcnt lgkmcnt(0)
	s_barrier
	ds_read_b128 v[0:3], v49
	ds_read_b128 v[32:35], v49 offset:16
	ds_read2_b64 v[8:11], v47 offset1:16
	ds_read2_b64 v[12:15], v47 offset0:32 offset1:48
	s_waitcnt lgkmcnt(1)
	v_mul_f32_e32 v4, v1, v9
	v_fma_f32 v4, v0, v8, -v4
	v_mul_f32_e32 v5, v0, v9
	v_add_f32_e32 v20, v102, v4
	v_mul_f32_e32 v4, v1, v11
	v_fmac_f32_e32 v5, v1, v8
	v_fma_f32 v4, v0, v10, -v4
	v_add_f32_e32 v21, v104, v5
	v_mul_f32_e32 v5, v0, v11
	v_add_f32_e32 v22, v98, v4
	s_waitcnt lgkmcnt(0)
	v_mul_f32_e32 v4, v1, v13
	v_fmac_f32_e32 v5, v1, v10
	v_fma_f32 v4, v0, v12, -v4
	v_add_f32_e32 v23, v100, v5
	v_mul_f32_e32 v5, v0, v13
	v_add_f32_e32 v57, v94, v4
	v_mul_f32_e32 v4, v1, v15
	v_fmac_f32_e32 v5, v1, v12
	v_fma_f32 v4, v0, v14, -v4
	v_mul_f32_e32 v0, v0, v15
	v_add_f32_e32 v61, v96, v5
	v_fmac_f32_e32 v0, v1, v14
	v_add_f32_e32 v1, v90, v4
	ds_read_b128 v[4:7], v49 offset:512
	ds_read_b128 v[104:107], v49 offset:1040
	v_add_f32_e32 v0, v92, v0
	s_waitcnt lgkmcnt(1)
	v_mul_f32_e32 v16, v5, v9
	v_fma_f32 v16, v4, v8, -v16
	v_mul_f32_e32 v17, v4, v9
	v_add_f32_e32 v63, v86, v16
	v_mul_f32_e32 v16, v5, v11
	v_fmac_f32_e32 v17, v5, v8
	v_fma_f32 v16, v4, v10, -v16
	v_add_f32_e32 v65, v88, v17
	v_mul_f32_e32 v17, v4, v11
	v_add_f32_e32 v67, v82, v16
	v_mul_f32_e32 v16, v5, v13
	v_fmac_f32_e32 v17, v5, v10
	v_fma_f32 v16, v4, v12, -v16
	v_add_f32_e32 v69, v84, v17
	v_mul_f32_e32 v17, v4, v13
	v_add_f32_e32 v71, v78, v16
	v_mul_f32_e32 v16, v5, v15
	v_fmac_f32_e32 v17, v5, v12
	v_fma_f32 v16, v4, v14, -v16
	v_mul_f32_e32 v4, v4, v15
	v_add_f32_e32 v73, v80, v17
	v_fmac_f32_e32 v4, v5, v14
	v_add_f32_e32 v5, v74, v16
	ds_read_b128 v[16:19], v49 offset:1024
	v_add_f32_e32 v4, v76, v4
	s_waitcnt lgkmcnt(0)
	v_mul_f32_e32 v24, v17, v9
	v_fma_f32 v24, v16, v8, -v24
	v_mul_f32_e32 v25, v16, v9
	v_add_f32_e32 v70, v70, v24
	v_mul_f32_e32 v24, v17, v11
	v_fmac_f32_e32 v25, v17, v8
	v_fma_f32 v24, v16, v10, -v24
	v_add_f32_e32 v72, v72, v25
	v_mul_f32_e32 v25, v16, v11
	v_add_f32_e32 v66, v66, v24
	v_mul_f32_e32 v24, v17, v13
	v_fmac_f32_e32 v25, v17, v10
	v_fma_f32 v24, v16, v12, -v24
	v_add_f32_e32 v68, v68, v25
	v_mul_f32_e32 v25, v16, v13
	v_add_f32_e32 v62, v62, v24
	v_mul_f32_e32 v24, v17, v15
	v_fmac_f32_e32 v25, v17, v12
	v_fma_f32 v24, v16, v14, -v24
	v_mul_f32_e32 v16, v16, v15
	v_add_f32_e32 v64, v64, v25
	v_fmac_f32_e32 v16, v17, v14
	v_add_f32_e32 v17, v56, v24
	ds_read2_b64 v[24:27], v47 offset0:64 offset1:80
	v_add_f32_e32 v16, v60, v16
	s_waitcnt lgkmcnt(0)
	v_mul_f32_e32 v28, v3, v25
	v_mul_f32_e32 v29, v2, v25
	v_fma_f32 v28, v2, v24, -v28
	v_fmac_f32_e32 v29, v3, v24
	v_add_f32_e32 v20, v20, v28
	v_add_f32_e32 v21, v21, v29
	v_mul_f32_e32 v28, v3, v27
	v_mul_f32_e32 v29, v2, v27
	v_fma_f32 v28, v2, v26, -v28
	v_fmac_f32_e32 v29, v3, v26
	v_add_f32_e32 v22, v22, v28
	v_add_f32_e32 v23, v23, v29
	ds_read2_b64 v[28:31], v47 offset0:96 offset1:112
	s_waitcnt lgkmcnt(0)
	v_mul_f32_e32 v56, v3, v29
	v_mul_f32_e32 v60, v2, v29
	v_fma_f32 v56, v2, v28, -v56
	v_fmac_f32_e32 v60, v3, v28
	v_add_f32_e32 v56, v57, v56
	v_add_f32_e32 v57, v61, v60
	v_mul_f32_e32 v60, v3, v31
	v_fma_f32 v60, v2, v30, -v60
	v_mul_f32_e32 v2, v2, v31
	v_fmac_f32_e32 v2, v3, v30
	v_add_f32_e32 v60, v1, v60
	v_add_f32_e32 v61, v0, v2
	v_mul_f32_e32 v0, v7, v25
	v_mul_f32_e32 v1, v6, v25
	v_fma_f32 v0, v6, v24, -v0
	v_fmac_f32_e32 v1, v7, v24
	v_add_f32_e32 v74, v63, v0
	v_add_f32_e32 v65, v65, v1
	v_mul_f32_e32 v0, v7, v27
	v_mul_f32_e32 v1, v6, v27
	v_fma_f32 v0, v6, v26, -v0
	;; [unrolled: 6-line block ×6, first 2 shown]
	v_fmac_f32_e32 v1, v19, v26
	ds_read2_b64 v[4:7], v47 offset0:128 offset1:144
	v_add_f32_e32 v66, v66, v0
	v_add_f32_e32 v68, v68, v1
	v_mul_f32_e32 v0, v19, v29
	v_mul_f32_e32 v1, v18, v29
	v_fma_f32 v0, v18, v28, -v0
	v_fmac_f32_e32 v1, v19, v28
	v_add_f32_e32 v77, v62, v0
	v_add_f32_e32 v64, v64, v1
	v_mul_f32_e32 v0, v19, v31
	v_mul_f32_e32 v1, v18, v31
	v_fma_f32 v0, v18, v30, -v0
	v_fmac_f32_e32 v1, v19, v30
	v_add_f32_e32 v17, v17, v0
	v_add_f32_e32 v16, v16, v1
	s_waitcnt lgkmcnt(0)
	v_mul_f32_e32 v0, v33, v5
	v_mul_f32_e32 v1, v32, v5
	v_fma_f32 v0, v32, v4, -v0
	v_fmac_f32_e32 v1, v33, v4
	v_add_f32_e32 v18, v20, v0
	v_add_f32_e32 v19, v21, v1
	v_mul_f32_e32 v0, v33, v7
	v_mul_f32_e32 v1, v32, v7
	v_fma_f32 v0, v32, v6, -v0
	v_fmac_f32_e32 v1, v33, v6
	v_add_f32_e32 v78, v22, v0
	v_add_f32_e32 v79, v23, v1
	ds_read2_b64 v[0:3], v47 offset0:160 offset1:176
	s_waitcnt lgkmcnt(0)
	v_mul_f32_e32 v20, v33, v1
	v_mul_f32_e32 v21, v32, v1
	v_fma_f32 v20, v32, v0, -v20
	v_fmac_f32_e32 v21, v33, v0
	v_add_f32_e32 v56, v56, v20
	v_add_f32_e32 v57, v57, v21
	v_mul_f32_e32 v20, v33, v3
	v_mul_f32_e32 v21, v32, v3
	v_fma_f32 v20, v32, v2, -v20
	v_fmac_f32_e32 v21, v33, v2
	v_add_f32_e32 v32, v60, v20
	v_add_f32_e32 v33, v61, v21
	ds_read_b128 v[60:63], v49 offset:528
	s_waitcnt lgkmcnt(0)
	v_mul_f32_e32 v20, v61, v5
	v_mul_f32_e32 v21, v60, v5
	v_fma_f32 v20, v60, v4, -v20
	v_fmac_f32_e32 v21, v61, v4
	v_add_f32_e32 v74, v74, v20
	v_add_f32_e32 v65, v65, v21
	v_mul_f32_e32 v20, v61, v7
	v_mul_f32_e32 v21, v60, v7
	v_fma_f32 v20, v60, v6, -v20
	v_fmac_f32_e32 v21, v61, v6
	v_add_f32_e32 v67, v67, v20
	v_add_f32_e32 v69, v69, v21
	;; [unrolled: 6-line block ×8, first 2 shown]
	ds_read2_b64 v[20:23], v47 offset0:192 offset1:208
	s_waitcnt lgkmcnt(0)
	v_mul_f32_e32 v16, v35, v21
	v_mul_f32_e32 v17, v34, v21
	v_fma_f32 v16, v34, v20, -v16
	v_fmac_f32_e32 v17, v35, v20
	v_add_f32_e32 v102, v18, v16
	v_add_f32_e32 v104, v19, v17
	v_mul_f32_e32 v16, v35, v23
	v_mul_f32_e32 v17, v34, v23
	v_fma_f32 v16, v34, v22, -v16
	v_fmac_f32_e32 v17, v35, v22
	v_add_f32_e32 v98, v78, v16
	v_add_f32_e32 v100, v79, v17
	ds_read2_b64 v[16:19], v47 offset0:224 offset1:240
	s_waitcnt lgkmcnt(0)
	v_mul_f32_e32 v76, v35, v17
	v_fma_f32 v76, v34, v16, -v76
	v_add_f32_e32 v94, v56, v76
	v_mul_f32_e32 v56, v35, v19
	v_mul_f32_e32 v78, v34, v17
	v_fma_f32 v56, v34, v18, -v56
	v_mul_f32_e32 v34, v34, v19
	v_fmac_f32_e32 v34, v35, v18
	v_add_f32_e32 v90, v32, v56
	v_add_f32_e32 v92, v33, v34
	v_mul_f32_e32 v32, v63, v21
	v_mul_f32_e32 v33, v62, v21
	v_fma_f32 v32, v62, v20, -v32
	v_fmac_f32_e32 v33, v63, v20
	v_add_f32_e32 v86, v74, v32
	v_add_f32_e32 v88, v65, v33
	v_mul_f32_e32 v32, v63, v23
	v_mul_f32_e32 v33, v62, v23
	v_fma_f32 v32, v62, v22, -v32
	v_fmac_f32_e32 v33, v63, v22
	v_add_f32_e32 v82, v67, v32
	v_add_f32_e32 v84, v69, v33
	v_mul_f32_e32 v32, v63, v17
	v_mul_f32_e32 v33, v62, v17
	v_fmac_f32_e32 v78, v35, v16
	v_fma_f32 v32, v62, v16, -v32
	v_fmac_f32_e32 v33, v63, v16
	v_add_f32_e32 v96, v57, v78
	v_add_f32_e32 v78, v71, v32
	;; [unrolled: 1-line block ×3, first 2 shown]
	v_mul_f32_e32 v32, v63, v19
	v_mul_f32_e32 v33, v62, v19
	v_fma_f32 v32, v62, v18, -v32
	v_fmac_f32_e32 v33, v63, v18
	v_add_f32_e32 v74, v60, v32
	v_add_f32_e32 v76, v61, v33
	v_mul_f32_e32 v32, v107, v21
	v_mul_f32_e32 v33, v106, v21
	v_fma_f32 v32, v106, v20, -v32
	v_fmac_f32_e32 v33, v107, v20
	v_add_f32_e32 v70, v70, v32
	v_add_f32_e32 v72, v72, v33
	;; [unrolled: 6-line block ×5, first 2 shown]
	ds_read_b128 v[32:35], v49 offset:1536
	s_waitcnt lgkmcnt(0)
	v_mul_f32_e32 v57, v33, v9
	v_mul_f32_e32 v9, v32, v9
	v_fmac_f32_e32 v9, v33, v8
	v_fma_f32 v57, v32, v8, -v57
	v_add_f32_e32 v48, v48, v9
	v_mul_f32_e32 v8, v33, v11
	v_mul_f32_e32 v9, v32, v11
	v_fma_f32 v8, v32, v10, -v8
	v_fmac_f32_e32 v9, v33, v10
	v_add_f32_e32 v42, v42, v8
	v_add_f32_e32 v44, v44, v9
	v_mul_f32_e32 v8, v33, v13
	v_mul_f32_e32 v9, v32, v13
	v_fma_f32 v8, v32, v12, -v8
	v_fmac_f32_e32 v9, v33, v12
	v_add_f32_e32 v12, v40, v8
	v_add_f32_e32 v13, v41, v9
	v_pk_mul_f32 v[8:9], v[32:33], v[14:15] op_sel:[1,1] op_sel_hi:[0,1]
	v_pk_fma_f32 v[10:11], v[32:33], v[14:15], v[8:9] neg_lo:[0,0,1] neg_hi:[0,0,1]
	v_pk_fma_f32 v[8:9], v[32:33], v[14:15], v[8:9] op_sel_hi:[1,0,1]
	v_add_f32_e32 v46, v46, v57
	v_mov_b32_e32 v11, v9
	v_pk_add_f32 v[8:9], v[58:59], v[10:11]
	v_mul_f32_e32 v10, v35, v25
	v_mul_f32_e32 v11, v34, v25
	v_fma_f32 v10, v34, v24, -v10
	v_fmac_f32_e32 v11, v35, v24
	v_add_f32_e32 v32, v46, v10
	v_add_f32_e32 v33, v48, v11
	v_mul_f32_e32 v10, v35, v27
	v_mul_f32_e32 v11, v34, v27
	v_fma_f32 v10, v34, v26, -v10
	v_fmac_f32_e32 v11, v35, v26
	v_add_f32_e32 v24, v42, v10
	v_add_f32_e32 v25, v44, v11
	;; [unrolled: 6-line block ×3, first 2 shown]
	v_pk_mul_f32 v[10:11], v[34:35], v[30:31] op_sel:[1,1] op_sel_hi:[0,1]
	v_pk_fma_f32 v[12:13], v[34:35], v[30:31], v[10:11] neg_lo:[0,0,1] neg_hi:[0,0,1]
	v_pk_fma_f32 v[10:11], v[34:35], v[30:31], v[10:11] op_sel_hi:[1,0,1]
	s_nop 0
	v_mov_b32_e32 v13, v11
	v_pk_add_f32 v[12:13], v[8:9], v[12:13]
	ds_read_b128 v[8:11], v49 offset:1552
	s_waitcnt lgkmcnt(0)
	s_barrier
	v_mul_f32_e32 v26, v9, v5
	v_mul_f32_e32 v5, v8, v5
	v_fma_f32 v26, v8, v4, -v26
	v_fmac_f32_e32 v5, v9, v4
	v_mul_f32_e32 v4, v9, v7
	v_add_f32_e32 v27, v33, v5
	v_fma_f32 v4, v8, v6, -v4
	v_mul_f32_e32 v5, v8, v7
	v_fmac_f32_e32 v5, v9, v6
	v_add_f32_e32 v6, v24, v4
	v_mul_f32_e32 v4, v9, v1
	v_mul_f32_e32 v1, v8, v1
	v_fmac_f32_e32 v1, v9, v0
	v_fma_f32 v4, v8, v0, -v4
	v_add_f32_e32 v15, v15, v1
	v_pk_mul_f32 v[0:1], v[8:9], v[2:3] op_sel:[1,1] op_sel_hi:[0,1]
	v_add_f32_e32 v7, v25, v5
	v_add_f32_e32 v14, v14, v4
	v_pk_fma_f32 v[4:5], v[8:9], v[2:3], v[0:1] neg_lo:[0,0,1] neg_hi:[0,0,1]
	v_pk_fma_f32 v[0:1], v[8:9], v[2:3], v[0:1] op_sel_hi:[1,0,1]
	v_mul_f32_e32 v2, v11, v21
	v_mul_f32_e32 v3, v10, v21
	v_add_f32_e32 v26, v32, v26
	v_fma_f32 v2, v10, v20, -v2
	v_fmac_f32_e32 v3, v11, v20
	v_add_f32_e32 v46, v26, v2
	v_add_f32_e32 v48, v27, v3
	v_mul_f32_e32 v2, v11, v23
	v_mul_f32_e32 v3, v10, v23
	v_fma_f32 v2, v10, v22, -v2
	v_fmac_f32_e32 v3, v11, v22
	v_add_f32_e32 v42, v6, v2
	v_add_f32_e32 v44, v7, v3
	v_mul_f32_e32 v2, v11, v17
	v_mul_f32_e32 v3, v10, v17
	v_fma_f32 v2, v10, v16, -v2
	v_fmac_f32_e32 v3, v11, v16
	v_mov_b32_e32 v5, v1
	v_add_f32_e32 v40, v14, v2
	v_add_f32_e32 v41, v15, v3
	v_pk_mul_f32 v[2:3], v[10:11], v[18:19] op_sel:[1,1] op_sel_hi:[0,1]
	v_pk_add_f32 v[0:1], v[12:13], v[4:5]
	v_pk_fma_f32 v[4:5], v[10:11], v[18:19], v[2:3] neg_lo:[0,0,1] neg_hi:[0,0,1]
	v_pk_fma_f32 v[2:3], v[10:11], v[18:19], v[2:3] op_sel_hi:[1,0,1]
	s_nop 0
	v_mov_b32_e32 v5, v3
	v_pk_add_f32 v[58:59], v[0:1], v[4:5]
	s_cbranch_vccnz .LBB94_2
.LBB94_3:
	s_load_dwordx4 s[20:23], s[0:1], 0x78
	s_load_dwordx8 s[12:19], s[0:1], 0x58
	v_lshl_add_u64 v[2:3], s[24:25], 0, v[38:39]
	v_lshl_add_u64 v[0:1], s[2:3], 0, v[36:37]
	s_waitcnt lgkmcnt(0)
	s_mul_i32 s1, s23, s4
	s_mul_hi_u32 s5, s22, s4
	s_mul_i32 s0, s22, s4
	s_add_i32 s1, s5, s1
	s_lshl_b64 s[0:1], s[0:1], 3
	s_add_u32 s8, s18, s0
	s_addc_u32 s9, s19, s1
	s_or_b32 s0, s6, s7
	s_bitset0_b32 s0, 31
	s_cmp_lg_u32 s0, 0
	s_mov_b32 s0, s11
	s_mov_b32 s1, s10
	s_cbranch_scc1 .LBB94_5
; %bb.4:
	v_mul_lo_u32 v6, v3, s20
	v_mul_lo_u32 v7, v2, s21
	v_mad_u64_u32 v[4:5], s[2:3], v2, s20, 0
	v_add3_u32 v5, v5, v7, v6
	v_pk_mul_f32 v[6:7], v[104:105], s[0:1] op_sel_hi:[0,1]
	v_lshl_add_u64 v[4:5], v[4:5], 3, s[8:9]
	v_lshlrev_b64 v[8:9], 3, v[0:1]
	v_pk_fma_f32 v[12:13], v[102:103], s[0:1], v[6:7] op_sel:[0,1,0] op_sel_hi:[1,0,1] neg_lo:[0,0,1] neg_hi:[0,0,1]
	v_pk_fma_f32 v[6:7], v[102:103], s[0:1], v[6:7] op_sel:[0,1,0] op_sel_hi:[0,0,1]
	v_lshl_add_u64 v[10:11], v[4:5], 0, v[8:9]
	v_mov_b32_e32 v13, v7
	v_pk_mul_f32 v[6:7], v[100:101], s[0:1] op_sel_hi:[0,1]
	global_store_dwordx2 v[10:11], v[12:13], off
	v_pk_fma_f32 v[12:13], v[98:99], s[0:1], v[6:7] op_sel:[0,1,0] op_sel_hi:[1,0,1] neg_lo:[0,0,1] neg_hi:[0,0,1]
	v_pk_fma_f32 v[6:7], v[98:99], s[0:1], v[6:7] op_sel:[0,1,0] op_sel_hi:[0,0,1]
	v_mov_b32_e32 v13, v7
	v_pk_mul_f32 v[6:7], v[96:97], s[0:1] op_sel_hi:[0,1]
	global_store_dwordx2 v[10:11], v[12:13], off offset:128
	v_pk_fma_f32 v[12:13], v[94:95], s[0:1], v[6:7] op_sel:[0,1,0] op_sel_hi:[1,0,1] neg_lo:[0,0,1] neg_hi:[0,0,1]
	v_pk_fma_f32 v[6:7], v[94:95], s[0:1], v[6:7] op_sel:[0,1,0] op_sel_hi:[0,0,1]
	v_mov_b32_e32 v13, v7
	v_pk_mul_f32 v[6:7], v[92:93], s[0:1] op_sel_hi:[0,1]
	global_store_dwordx2 v[10:11], v[12:13], off offset:256
	v_pk_fma_f32 v[12:13], v[90:91], s[0:1], v[6:7] op_sel:[0,1,0] op_sel_hi:[1,0,1] neg_lo:[0,0,1] neg_hi:[0,0,1]
	v_pk_fma_f32 v[6:7], v[90:91], s[0:1], v[6:7] op_sel:[0,1,0] op_sel_hi:[0,0,1]
	v_mov_b32_e32 v13, v7
	s_lshl_b64 s[2:3], s[20:21], 7
	v_pk_mul_f32 v[6:7], v[88:89], s[0:1] op_sel_hi:[0,1]
	global_store_dwordx2 v[10:11], v[12:13], off offset:384
	v_lshl_add_u64 v[4:5], v[4:5], 0, s[2:3]
	v_pk_fma_f32 v[12:13], v[86:87], s[0:1], v[6:7] op_sel:[0,1,0] op_sel_hi:[1,0,1] neg_lo:[0,0,1] neg_hi:[0,0,1]
	v_pk_fma_f32 v[6:7], v[86:87], s[0:1], v[6:7] op_sel:[0,1,0] op_sel_hi:[0,0,1]
	v_lshl_add_u64 v[10:11], v[4:5], 0, v[8:9]
	v_mov_b32_e32 v13, v7
	v_pk_mul_f32 v[6:7], v[84:85], s[0:1] op_sel_hi:[0,1]
	global_store_dwordx2 v[10:11], v[12:13], off
	v_pk_fma_f32 v[12:13], v[82:83], s[0:1], v[6:7] op_sel:[0,1,0] op_sel_hi:[1,0,1] neg_lo:[0,0,1] neg_hi:[0,0,1]
	v_pk_fma_f32 v[6:7], v[82:83], s[0:1], v[6:7] op_sel:[0,1,0] op_sel_hi:[0,0,1]
	v_mov_b32_e32 v13, v7
	v_pk_mul_f32 v[6:7], v[80:81], s[0:1] op_sel_hi:[0,1]
	global_store_dwordx2 v[10:11], v[12:13], off offset:128
	v_pk_fma_f32 v[12:13], v[78:79], s[0:1], v[6:7] op_sel:[0,1,0] op_sel_hi:[1,0,1] neg_lo:[0,0,1] neg_hi:[0,0,1]
	v_pk_fma_f32 v[6:7], v[78:79], s[0:1], v[6:7] op_sel:[0,1,0] op_sel_hi:[0,0,1]
	v_mov_b32_e32 v13, v7
	v_pk_mul_f32 v[6:7], v[76:77], s[0:1] op_sel_hi:[0,1]
	global_store_dwordx2 v[10:11], v[12:13], off offset:256
	;; [unrolled: 5-line block ×3, first 2 shown]
	v_lshl_add_u64 v[4:5], v[4:5], 0, s[2:3]
	v_pk_fma_f32 v[12:13], v[70:71], s[0:1], v[6:7] op_sel:[0,1,0] op_sel_hi:[1,0,1] neg_lo:[0,0,1] neg_hi:[0,0,1]
	v_pk_fma_f32 v[6:7], v[70:71], s[0:1], v[6:7] op_sel:[0,1,0] op_sel_hi:[0,0,1]
	v_lshl_add_u64 v[10:11], v[4:5], 0, v[8:9]
	v_mov_b32_e32 v13, v7
	v_pk_mul_f32 v[6:7], v[68:69], s[0:1] op_sel_hi:[0,1]
	global_store_dwordx2 v[10:11], v[12:13], off
	v_pk_fma_f32 v[12:13], v[66:67], s[0:1], v[6:7] op_sel:[0,1,0] op_sel_hi:[1,0,1] neg_lo:[0,0,1] neg_hi:[0,0,1]
	v_pk_fma_f32 v[6:7], v[66:67], s[0:1], v[6:7] op_sel:[0,1,0] op_sel_hi:[0,0,1]
	v_mov_b32_e32 v13, v7
	v_pk_mul_f32 v[6:7], v[64:65], s[0:1] op_sel_hi:[0,1]
	global_store_dwordx2 v[10:11], v[12:13], off offset:128
	v_pk_fma_f32 v[12:13], v[62:63], s[0:1], v[6:7] op_sel:[0,1,0] op_sel_hi:[1,0,1] neg_lo:[0,0,1] neg_hi:[0,0,1]
	v_pk_fma_f32 v[6:7], v[62:63], s[0:1], v[6:7] op_sel:[0,1,0] op_sel_hi:[0,0,1]
	v_mov_b32_e32 v13, v7
	v_pk_mul_f32 v[6:7], v[60:61], s[0:1] op_sel_hi:[0,1]
	global_store_dwordx2 v[10:11], v[12:13], off offset:256
	v_pk_fma_f32 v[12:13], v[56:57], s[0:1], v[6:7] op_sel:[0,1,0] op_sel_hi:[1,0,1] neg_lo:[0,0,1] neg_hi:[0,0,1]
	v_pk_fma_f32 v[6:7], v[56:57], s[0:1], v[6:7] op_sel:[0,1,0] op_sel_hi:[0,0,1]
	v_mov_b32_e32 v13, v7
	v_lshl_add_u64 v[4:5], v[4:5], 0, s[2:3]
	v_pk_mul_f32 v[6:7], v[48:49], s[0:1] op_sel_hi:[0,1]
	v_lshl_add_u64 v[8:9], v[4:5], 0, v[8:9]
	v_pk_fma_f32 v[4:5], v[46:47], s[0:1], v[6:7] op_sel:[0,1,0] op_sel_hi:[1,0,1] neg_lo:[0,0,1] neg_hi:[0,0,1]
	v_pk_fma_f32 v[6:7], v[46:47], s[0:1], v[6:7] op_sel:[0,1,0] op_sel_hi:[0,0,1]
	v_mov_b32_e32 v5, v7
	global_store_dwordx2 v[10:11], v[12:13], off offset:384
	global_store_dwordx2 v[8:9], v[4:5], off
	v_pk_mul_f32 v[4:5], v[44:45], s[0:1] op_sel_hi:[0,1]
	v_pk_fma_f32 v[6:7], v[42:43], s[0:1], v[4:5] op_sel:[0,1,0] op_sel_hi:[1,0,1] neg_lo:[0,0,1] neg_hi:[0,0,1]
	v_pk_fma_f32 v[4:5], v[42:43], s[0:1], v[4:5] op_sel:[0,1,0] op_sel_hi:[0,0,1]
	v_mov_b32_e32 v4, v41
	v_mov_b32_e32 v7, v5
	v_pk_mul_f32 v[4:5], v[4:5], s[0:1] op_sel_hi:[0,1]
	global_store_dwordx2 v[8:9], v[6:7], off offset:128
	v_pk_fma_f32 v[6:7], v[40:41], s[0:1], v[4:5] op_sel:[0,1,0] op_sel_hi:[1,0,1] neg_lo:[0,0,1] neg_hi:[0,0,1]
	v_pk_fma_f32 v[4:5], v[40:41], s[0:1], v[4:5] op_sel:[0,1,0] op_sel_hi:[0,0,1]
	v_mov_b32_e32 v7, v5
	v_mul_f32_e32 v4, s1, v58
	global_store_dwordx2 v[8:9], v[6:7], off offset:256
	v_fma_f32 v7, -v59, s0, v4
	v_pk_mul_f32 v[4:5], v[58:59], s[0:1]
	s_mov_b64 s[2:3], 0x180
	v_add_f32_e32 v6, v4, v5
	v_lshl_add_u64 v[4:5], v[8:9], 0, s[2:3]
	global_store_dword v[8:9], v7, off offset:384
	s_cbranch_execz .LBB94_6
	s_branch .LBB94_7
.LBB94_5:
                                        ; implicit-def: $vgpr6
                                        ; implicit-def: $vgpr4_vgpr5
.LBB94_6:
	s_mul_i32 s2, s17, s4
	s_mul_hi_u32 s3, s16, s4
	s_add_i32 s3, s3, s2
	s_mul_i32 s2, s16, s4
	s_lshl_b64 s[2:3], s[2:3], 3
	s_add_u32 s2, s12, s2
	v_mul_lo_u32 v6, v3, s14
	v_mul_lo_u32 v7, v2, s15
	v_mad_u64_u32 v[4:5], s[4:5], v2, s14, 0
	s_addc_u32 s3, s13, s3
	v_add3_u32 v5, v5, v7, v6
	v_lshl_add_u64 v[4:5], v[4:5], 3, s[2:3]
	v_lshlrev_b64 v[0:1], 3, v[0:1]
	v_lshl_add_u64 v[6:7], v[4:5], 0, v[0:1]
	global_load_dwordx2 v[8:9], v[6:7], off
	v_mul_lo_u32 v12, v3, s20
	v_mul_lo_u32 v13, v2, s21
	v_mad_u64_u32 v[2:3], s[2:3], v2, s20, 0
	s_mov_b32 s2, s7
	v_pk_mul_f32 v[10:11], v[104:105], s[0:1] op_sel_hi:[0,1]
	v_add3_u32 v3, v3, v13, v12
	v_pk_fma_f32 v[12:13], v[102:103], s[0:1], v[10:11] op_sel:[0,1,0] op_sel_hi:[1,0,1] neg_lo:[0,0,1] neg_hi:[0,0,1]
	v_pk_fma_f32 v[10:11], v[102:103], s[0:1], v[10:11] op_sel:[0,1,0] op_sel_hi:[0,0,1]
	v_lshl_add_u64 v[2:3], v[2:3], 3, s[8:9]
	v_mov_b32_e32 v13, v11
	v_lshl_add_u64 v[10:11], v[2:3], 0, v[0:1]
	s_lshl_b64 s[4:5], s[14:15], 7
	v_lshl_add_u64 v[4:5], v[4:5], 0, s[4:5]
	s_lshl_b64 s[8:9], s[20:21], 7
	v_lshl_add_u64 v[2:3], v[2:3], 0, s[8:9]
	s_mov_b32 s11, s6
	s_waitcnt vmcnt(0)
	v_pk_mul_f32 v[14:15], v[8:9], s[2:3] op_sel_hi:[1,0]
	s_nop 0
	v_pk_fma_f32 v[16:17], v[8:9], s[6:7], v[14:15] op_sel:[0,0,1] op_sel_hi:[1,1,0] neg_lo:[0,0,1] neg_hi:[0,0,1]
	v_pk_fma_f32 v[8:9], v[8:9], s[6:7], v[14:15] op_sel:[0,0,1] op_sel_hi:[1,0,0]
	s_nop 0
	v_mov_b32_e32 v17, v9
	v_pk_add_f32 v[8:9], v[12:13], v[16:17]
	global_store_dwordx2 v[10:11], v[8:9], off
	global_load_dwordx2 v[8:9], v[6:7], off offset:128
	v_pk_mul_f32 v[12:13], v[100:101], s[0:1] op_sel_hi:[0,1]
	v_pk_fma_f32 v[14:15], v[98:99], s[0:1], v[12:13] op_sel:[0,1,0] op_sel_hi:[1,0,1] neg_lo:[0,0,1] neg_hi:[0,0,1]
	v_pk_fma_f32 v[12:13], v[98:99], s[0:1], v[12:13] op_sel:[0,1,0] op_sel_hi:[0,0,1]
	v_mov_b32_e32 v15, v13
	s_waitcnt vmcnt(0)
	v_pk_mul_f32 v[12:13], v[8:9], s[2:3] op_sel_hi:[1,0]
	s_nop 0
	v_pk_fma_f32 v[16:17], v[8:9], s[6:7], v[12:13] op_sel:[0,0,1] op_sel_hi:[1,1,0] neg_lo:[0,0,1] neg_hi:[0,0,1]
	v_pk_fma_f32 v[8:9], v[8:9], s[6:7], v[12:13] op_sel:[0,0,1] op_sel_hi:[1,0,0]
	v_pk_mul_f32 v[12:13], v[96:97], s[0:1] op_sel_hi:[0,1]
	v_mov_b32_e32 v17, v9
	v_pk_add_f32 v[8:9], v[14:15], v[16:17]
	global_store_dwordx2 v[10:11], v[8:9], off offset:128
	global_load_dwordx2 v[8:9], v[6:7], off offset:256
	v_pk_fma_f32 v[14:15], v[94:95], s[0:1], v[12:13] op_sel:[0,1,0] op_sel_hi:[1,0,1] neg_lo:[0,0,1] neg_hi:[0,0,1]
	v_pk_fma_f32 v[12:13], v[94:95], s[0:1], v[12:13] op_sel:[0,1,0] op_sel_hi:[0,0,1]
	v_mov_b32_e32 v15, v13
	s_waitcnt vmcnt(0)
	v_pk_mul_f32 v[12:13], v[8:9], s[2:3] op_sel_hi:[1,0]
	s_nop 0
	v_pk_fma_f32 v[16:17], v[8:9], s[6:7], v[12:13] op_sel:[0,0,1] op_sel_hi:[1,1,0] neg_lo:[0,0,1] neg_hi:[0,0,1]
	v_pk_fma_f32 v[8:9], v[8:9], s[6:7], v[12:13] op_sel:[0,0,1] op_sel_hi:[1,0,0]
	s_nop 0
	v_mov_b32_e32 v17, v9
	v_pk_add_f32 v[8:9], v[14:15], v[16:17]
	global_store_dwordx2 v[10:11], v[8:9], off offset:256
	global_load_dwordx2 v[6:7], v[6:7], off offset:384
	v_pk_mul_f32 v[8:9], v[92:93], s[0:1] op_sel_hi:[0,1]
	v_pk_fma_f32 v[12:13], v[90:91], s[0:1], v[8:9] op_sel:[0,1,0] op_sel_hi:[1,0,1] neg_lo:[0,0,1] neg_hi:[0,0,1]
	v_pk_fma_f32 v[8:9], v[90:91], s[0:1], v[8:9] op_sel:[0,1,0] op_sel_hi:[0,0,1]
	v_mov_b32_e32 v13, v9
	v_lshl_add_u64 v[8:9], v[4:5], 0, v[0:1]
	v_lshl_add_u64 v[4:5], v[4:5], 0, s[4:5]
	s_waitcnt vmcnt(0)
	v_pk_mul_f32 v[14:15], v[6:7], s[2:3] op_sel_hi:[1,0]
	s_nop 0
	v_pk_fma_f32 v[16:17], v[6:7], s[6:7], v[14:15] op_sel:[0,0,1] op_sel_hi:[1,1,0] neg_lo:[0,0,1] neg_hi:[0,0,1]
	v_pk_fma_f32 v[6:7], v[6:7], s[6:7], v[14:15] op_sel:[0,0,1] op_sel_hi:[1,0,0]
	s_nop 0
	v_mov_b32_e32 v17, v7
	v_pk_add_f32 v[6:7], v[12:13], v[16:17]
	global_store_dwordx2 v[10:11], v[6:7], off offset:384
	global_load_dwordx2 v[6:7], v[8:9], off
	v_pk_mul_f32 v[10:11], v[88:89], s[0:1] op_sel_hi:[0,1]
	v_pk_fma_f32 v[12:13], v[86:87], s[0:1], v[10:11] op_sel:[0,1,0] op_sel_hi:[1,0,1] neg_lo:[0,0,1] neg_hi:[0,0,1]
	v_pk_fma_f32 v[10:11], v[86:87], s[0:1], v[10:11] op_sel:[0,1,0] op_sel_hi:[0,0,1]
	v_mov_b32_e32 v13, v11
	v_lshl_add_u64 v[10:11], v[2:3], 0, v[0:1]
	v_lshl_add_u64 v[2:3], v[2:3], 0, s[8:9]
	s_waitcnt vmcnt(0)
	v_pk_mul_f32 v[14:15], v[6:7], s[2:3] op_sel_hi:[1,0]
	s_nop 0
	v_pk_fma_f32 v[16:17], v[6:7], s[6:7], v[14:15] op_sel:[0,0,1] op_sel_hi:[1,1,0] neg_lo:[0,0,1] neg_hi:[0,0,1]
	v_pk_fma_f32 v[6:7], v[6:7], s[6:7], v[14:15] op_sel:[0,0,1] op_sel_hi:[1,0,0]
	s_nop 0
	v_mov_b32_e32 v17, v7
	v_pk_add_f32 v[6:7], v[12:13], v[16:17]
	global_store_dwordx2 v[10:11], v[6:7], off
	global_load_dwordx2 v[6:7], v[8:9], off offset:128
	v_pk_mul_f32 v[12:13], v[84:85], s[0:1] op_sel_hi:[0,1]
	v_pk_fma_f32 v[14:15], v[82:83], s[0:1], v[12:13] op_sel:[0,1,0] op_sel_hi:[1,0,1] neg_lo:[0,0,1] neg_hi:[0,0,1]
	v_pk_fma_f32 v[12:13], v[82:83], s[0:1], v[12:13] op_sel:[0,1,0] op_sel_hi:[0,0,1]
	v_mov_b32_e32 v15, v13
	s_waitcnt vmcnt(0)
	v_pk_mul_f32 v[12:13], v[6:7], s[2:3] op_sel_hi:[1,0]
	s_nop 0
	v_pk_fma_f32 v[16:17], v[6:7], s[6:7], v[12:13] op_sel:[0,0,1] op_sel_hi:[1,1,0] neg_lo:[0,0,1] neg_hi:[0,0,1]
	v_pk_fma_f32 v[6:7], v[6:7], s[6:7], v[12:13] op_sel:[0,0,1] op_sel_hi:[1,0,0]
	v_pk_mul_f32 v[12:13], v[80:81], s[0:1] op_sel_hi:[0,1]
	v_mov_b32_e32 v17, v7
	v_pk_add_f32 v[6:7], v[14:15], v[16:17]
	global_store_dwordx2 v[10:11], v[6:7], off offset:128
	global_load_dwordx2 v[6:7], v[8:9], off offset:256
	v_pk_fma_f32 v[14:15], v[78:79], s[0:1], v[12:13] op_sel:[0,1,0] op_sel_hi:[1,0,1] neg_lo:[0,0,1] neg_hi:[0,0,1]
	v_pk_fma_f32 v[12:13], v[78:79], s[0:1], v[12:13] op_sel:[0,1,0] op_sel_hi:[0,0,1]
	v_mov_b32_e32 v15, v13
	s_waitcnt vmcnt(0)
	v_pk_mul_f32 v[12:13], v[6:7], s[2:3] op_sel_hi:[1,0]
	s_nop 0
	v_pk_fma_f32 v[16:17], v[6:7], s[6:7], v[12:13] op_sel:[0,0,1] op_sel_hi:[1,1,0] neg_lo:[0,0,1] neg_hi:[0,0,1]
	v_pk_fma_f32 v[6:7], v[6:7], s[6:7], v[12:13] op_sel:[0,0,1] op_sel_hi:[1,0,0]
	s_nop 0
	v_mov_b32_e32 v17, v7
	v_pk_add_f32 v[6:7], v[14:15], v[16:17]
	global_store_dwordx2 v[10:11], v[6:7], off offset:256
	global_load_dwordx2 v[6:7], v[8:9], off offset:384
	v_pk_mul_f32 v[8:9], v[76:77], s[0:1] op_sel_hi:[0,1]
	v_pk_fma_f32 v[12:13], v[74:75], s[0:1], v[8:9] op_sel:[0,1,0] op_sel_hi:[1,0,1] neg_lo:[0,0,1] neg_hi:[0,0,1]
	v_pk_fma_f32 v[8:9], v[74:75], s[0:1], v[8:9] op_sel:[0,1,0] op_sel_hi:[0,0,1]
	v_mov_b32_e32 v13, v9
	v_lshl_add_u64 v[8:9], v[4:5], 0, v[0:1]
	v_lshl_add_u64 v[4:5], v[4:5], 0, s[4:5]
	;; [unrolled: 1-line block ×3, first 2 shown]
	s_waitcnt vmcnt(0)
	v_pk_mul_f32 v[14:15], v[6:7], s[2:3] op_sel_hi:[1,0]
	s_nop 0
	v_pk_fma_f32 v[16:17], v[6:7], s[6:7], v[14:15] op_sel:[0,0,1] op_sel_hi:[1,1,0] neg_lo:[0,0,1] neg_hi:[0,0,1]
	v_pk_fma_f32 v[6:7], v[6:7], s[6:7], v[14:15] op_sel:[0,0,1] op_sel_hi:[1,0,0]
	s_nop 0
	v_mov_b32_e32 v17, v7
	v_pk_add_f32 v[6:7], v[12:13], v[16:17]
	global_store_dwordx2 v[10:11], v[6:7], off offset:384
	global_load_dwordx2 v[6:7], v[8:9], off
	v_pk_mul_f32 v[10:11], v[72:73], s[0:1] op_sel_hi:[0,1]
	v_pk_fma_f32 v[12:13], v[70:71], s[0:1], v[10:11] op_sel:[0,1,0] op_sel_hi:[1,0,1] neg_lo:[0,0,1] neg_hi:[0,0,1]
	v_pk_fma_f32 v[10:11], v[70:71], s[0:1], v[10:11] op_sel:[0,1,0] op_sel_hi:[0,0,1]
	v_mov_b32_e32 v13, v11
	v_lshl_add_u64 v[10:11], v[2:3], 0, v[0:1]
	v_lshl_add_u64 v[2:3], v[2:3], 0, s[8:9]
	v_lshl_add_u64 v[0:1], v[2:3], 0, v[0:1]
	s_waitcnt vmcnt(0)
	v_pk_mul_f32 v[14:15], v[6:7], s[2:3] op_sel_hi:[1,0]
	s_nop 0
	v_pk_fma_f32 v[16:17], v[6:7], s[6:7], v[14:15] op_sel:[0,0,1] op_sel_hi:[1,1,0] neg_lo:[0,0,1] neg_hi:[0,0,1]
	v_pk_fma_f32 v[6:7], v[6:7], s[6:7], v[14:15] op_sel:[0,0,1] op_sel_hi:[1,0,0]
	s_nop 0
	v_mov_b32_e32 v17, v7
	v_pk_add_f32 v[6:7], v[12:13], v[16:17]
	global_store_dwordx2 v[10:11], v[6:7], off
	global_load_dwordx2 v[6:7], v[8:9], off offset:128
	v_pk_mul_f32 v[12:13], v[68:69], s[0:1] op_sel_hi:[0,1]
	v_pk_fma_f32 v[14:15], v[66:67], s[0:1], v[12:13] op_sel:[0,1,0] op_sel_hi:[1,0,1] neg_lo:[0,0,1] neg_hi:[0,0,1]
	v_pk_fma_f32 v[12:13], v[66:67], s[0:1], v[12:13] op_sel:[0,1,0] op_sel_hi:[0,0,1]
	v_mov_b32_e32 v15, v13
	s_waitcnt vmcnt(0)
	v_pk_mul_f32 v[12:13], v[6:7], s[2:3] op_sel_hi:[1,0]
	s_nop 0
	v_pk_fma_f32 v[16:17], v[6:7], s[6:7], v[12:13] op_sel:[0,0,1] op_sel_hi:[1,1,0] neg_lo:[0,0,1] neg_hi:[0,0,1]
	v_pk_fma_f32 v[6:7], v[6:7], s[6:7], v[12:13] op_sel:[0,0,1] op_sel_hi:[1,0,0]
	v_pk_mul_f32 v[12:13], v[64:65], s[0:1] op_sel_hi:[0,1]
	v_mov_b32_e32 v17, v7
	v_pk_add_f32 v[6:7], v[14:15], v[16:17]
	global_store_dwordx2 v[10:11], v[6:7], off offset:128
	global_load_dwordx2 v[6:7], v[8:9], off offset:256
	v_pk_fma_f32 v[14:15], v[62:63], s[0:1], v[12:13] op_sel:[0,1,0] op_sel_hi:[1,0,1] neg_lo:[0,0,1] neg_hi:[0,0,1]
	v_pk_fma_f32 v[12:13], v[62:63], s[0:1], v[12:13] op_sel:[0,1,0] op_sel_hi:[0,0,1]
	v_mov_b32_e32 v15, v13
	s_waitcnt vmcnt(0)
	v_pk_mul_f32 v[12:13], v[6:7], s[2:3] op_sel_hi:[1,0]
	s_nop 0
	v_pk_fma_f32 v[16:17], v[6:7], s[6:7], v[12:13] op_sel:[0,0,1] op_sel_hi:[1,1,0] neg_lo:[0,0,1] neg_hi:[0,0,1]
	v_pk_fma_f32 v[6:7], v[6:7], s[6:7], v[12:13] op_sel:[0,0,1] op_sel_hi:[1,0,0]
	s_nop 0
	v_mov_b32_e32 v17, v7
	v_pk_add_f32 v[6:7], v[14:15], v[16:17]
	global_store_dwordx2 v[10:11], v[6:7], off offset:256
	global_load_dwordx2 v[6:7], v[8:9], off offset:384
	v_pk_mul_f32 v[8:9], v[60:61], s[0:1] op_sel_hi:[0,1]
	v_pk_fma_f32 v[12:13], v[56:57], s[0:1], v[8:9] op_sel:[0,1,0] op_sel_hi:[1,0,1] neg_lo:[0,0,1] neg_hi:[0,0,1]
	v_pk_fma_f32 v[8:9], v[56:57], s[0:1], v[8:9] op_sel:[0,1,0] op_sel_hi:[0,0,1]
	v_mov_b32_e32 v13, v9
	s_waitcnt vmcnt(0)
	v_pk_mul_f32 v[8:9], v[6:7], s[2:3] op_sel_hi:[1,0]
	s_nop 0
	v_pk_fma_f32 v[14:15], v[6:7], s[6:7], v[8:9] op_sel:[0,0,1] op_sel_hi:[1,1,0] neg_lo:[0,0,1] neg_hi:[0,0,1]
	v_pk_fma_f32 v[6:7], v[6:7], s[6:7], v[8:9] op_sel:[0,0,1] op_sel_hi:[1,0,0]
	v_pk_mul_f32 v[8:9], v[48:49], s[0:1] op_sel_hi:[0,1]
	v_mov_b32_e32 v15, v7
	v_pk_add_f32 v[6:7], v[12:13], v[14:15]
	global_store_dwordx2 v[10:11], v[6:7], off offset:384
	global_load_dwordx2 v[6:7], v[4:5], off
	v_pk_fma_f32 v[10:11], v[46:47], s[0:1], v[8:9] op_sel:[0,1,0] op_sel_hi:[1,0,1] neg_lo:[0,0,1] neg_hi:[0,0,1]
	v_pk_fma_f32 v[8:9], v[46:47], s[0:1], v[8:9] op_sel:[0,1,0] op_sel_hi:[0,0,1]
	v_mov_b32_e32 v11, v9
	s_waitcnt vmcnt(0)
	v_pk_mul_f32 v[2:3], v[6:7], s[2:3] op_sel_hi:[1,0]
	s_nop 0
	v_pk_fma_f32 v[8:9], v[6:7], s[6:7], v[2:3] op_sel:[0,0,1] op_sel_hi:[1,1,0] neg_lo:[0,0,1] neg_hi:[0,0,1]
	v_pk_fma_f32 v[2:3], v[6:7], s[6:7], v[2:3] op_sel:[0,0,1] op_sel_hi:[1,0,0]
	v_pk_mul_f32 v[6:7], v[44:45], s[0:1] op_sel_hi:[0,1]
	v_mov_b32_e32 v9, v3
	v_pk_add_f32 v[2:3], v[10:11], v[8:9]
	global_store_dwordx2 v[0:1], v[2:3], off
	global_load_dwordx2 v[2:3], v[4:5], off offset:128
	v_pk_fma_f32 v[8:9], v[42:43], s[0:1], v[6:7] op_sel:[0,1,0] op_sel_hi:[1,0,1] neg_lo:[0,0,1] neg_hi:[0,0,1]
	v_pk_fma_f32 v[6:7], v[42:43], s[0:1], v[6:7] op_sel:[0,1,0] op_sel_hi:[0,0,1]
	v_mov_b32_e32 v9, v7
	s_waitcnt vmcnt(0)
	v_pk_mul_f32 v[6:7], v[2:3], s[2:3] op_sel_hi:[1,0]
	s_nop 0
	v_pk_fma_f32 v[10:11], v[2:3], s[6:7], v[6:7] op_sel:[0,0,1] op_sel_hi:[1,1,0] neg_lo:[0,0,1] neg_hi:[0,0,1]
	v_pk_fma_f32 v[2:3], v[2:3], s[6:7], v[6:7] op_sel:[0,0,1] op_sel_hi:[1,0,0]
	v_mov_b32_e32 v6, v41
	v_mov_b32_e32 v11, v3
	v_pk_add_f32 v[2:3], v[8:9], v[10:11]
	global_store_dwordx2 v[0:1], v[2:3], off offset:128
	global_load_dwordx2 v[2:3], v[4:5], off offset:256
	v_pk_mul_f32 v[6:7], v[6:7], s[0:1] op_sel_hi:[0,1]
	v_pk_fma_f32 v[8:9], v[40:41], s[0:1], v[6:7] op_sel:[0,1,0] op_sel_hi:[1,0,1] neg_lo:[0,0,1] neg_hi:[0,0,1]
	v_pk_fma_f32 v[6:7], v[40:41], s[0:1], v[6:7] op_sel:[0,1,0] op_sel_hi:[0,0,1]
	v_mov_b32_e32 v9, v7
	s_waitcnt vmcnt(0)
	v_pk_mul_f32 v[6:7], v[2:3], s[2:3] op_sel_hi:[1,0]
	s_nop 0
	v_pk_fma_f32 v[10:11], v[2:3], s[6:7], v[6:7] op_sel:[0,0,1] op_sel_hi:[1,1,0] neg_lo:[0,0,1] neg_hi:[0,0,1]
	v_pk_fma_f32 v[2:3], v[2:3], s[6:7], v[6:7] op_sel:[0,0,1] op_sel_hi:[1,0,0]
	v_mov_b32_e32 v6, v58
	v_mov_b32_e32 v11, v3
	v_pk_add_f32 v[2:3], v[8:9], v[10:11]
	global_store_dwordx2 v[0:1], v[2:3], off offset:256
	global_load_dwordx2 v[2:3], v[4:5], off offset:384
	v_mul_f32_e32 v4, s1, v58
	s_mov_b32 s1, s7
	s_mov_b64 s[2:3], 0x180
	v_fma_f32 v8, -v59, s0, v4
	v_lshl_add_u64 v[4:5], v[0:1], 0, s[2:3]
	s_waitcnt vmcnt(0)
	v_mul_f32_e32 v9, s7, v3
	v_mov_b32_e32 v7, v2
	v_fma_f32 v9, v2, s6, -v9
	v_mov_b32_e32 v2, v59
	v_pk_mul_f32 v[2:3], v[2:3], s[10:11]
	v_add_f32_e32 v8, v8, v9
	v_pk_fma_f32 v[2:3], v[6:7], s[0:1], v[2:3]
	global_store_dword v[0:1], v8, off offset:384
	v_add_f32_e32 v6, v2, v3
.LBB94_7:
	global_store_dword v[4:5], v6, off offset:4
	s_endpgm
	.section	.rodata,"a",@progbits
	.p2align	6, 0x0
	.amdhsa_kernel _ZN12_GLOBAL__N_127rocblas_gemm_batched_kernelI19rocblas_complex_numIfELi16ELi16ELi64ELi64ELi4ELi64ELi4ELi4ELi64ELc67ELc78EKS2_S3_S2_EEvlllT_PT11_llS6_llS4_PT12_llPT13_lli
		.amdhsa_group_segment_fixed_size 4096
		.amdhsa_private_segment_fixed_size 0
		.amdhsa_kernarg_size 140
		.amdhsa_user_sgpr_count 2
		.amdhsa_user_sgpr_dispatch_ptr 0
		.amdhsa_user_sgpr_queue_ptr 0
		.amdhsa_user_sgpr_kernarg_segment_ptr 1
		.amdhsa_user_sgpr_dispatch_id 0
		.amdhsa_user_sgpr_kernarg_preload_length 0
		.amdhsa_user_sgpr_kernarg_preload_offset 0
		.amdhsa_user_sgpr_private_segment_size 0
		.amdhsa_uses_dynamic_stack 0
		.amdhsa_enable_private_segment 0
		.amdhsa_system_sgpr_workgroup_id_x 1
		.amdhsa_system_sgpr_workgroup_id_y 1
		.amdhsa_system_sgpr_workgroup_id_z 1
		.amdhsa_system_sgpr_workgroup_info 0
		.amdhsa_system_vgpr_workitem_id 1
		.amdhsa_next_free_vgpr 108
		.amdhsa_next_free_sgpr 28
		.amdhsa_accum_offset 108
		.amdhsa_reserve_vcc 1
		.amdhsa_float_round_mode_32 0
		.amdhsa_float_round_mode_16_64 0
		.amdhsa_float_denorm_mode_32 3
		.amdhsa_float_denorm_mode_16_64 3
		.amdhsa_dx10_clamp 1
		.amdhsa_ieee_mode 1
		.amdhsa_fp16_overflow 0
		.amdhsa_tg_split 0
		.amdhsa_exception_fp_ieee_invalid_op 0
		.amdhsa_exception_fp_denorm_src 0
		.amdhsa_exception_fp_ieee_div_zero 0
		.amdhsa_exception_fp_ieee_overflow 0
		.amdhsa_exception_fp_ieee_underflow 0
		.amdhsa_exception_fp_ieee_inexact 0
		.amdhsa_exception_int_div_zero 0
	.end_amdhsa_kernel
	.section	.text._ZN12_GLOBAL__N_127rocblas_gemm_batched_kernelI19rocblas_complex_numIfELi16ELi16ELi64ELi64ELi4ELi64ELi4ELi4ELi64ELc67ELc78EKS2_S3_S2_EEvlllT_PT11_llS6_llS4_PT12_llPT13_lli,"axG",@progbits,_ZN12_GLOBAL__N_127rocblas_gemm_batched_kernelI19rocblas_complex_numIfELi16ELi16ELi64ELi64ELi4ELi64ELi4ELi4ELi64ELc67ELc78EKS2_S3_S2_EEvlllT_PT11_llS6_llS4_PT12_llPT13_lli,comdat
.Lfunc_end94:
	.size	_ZN12_GLOBAL__N_127rocblas_gemm_batched_kernelI19rocblas_complex_numIfELi16ELi16ELi64ELi64ELi4ELi64ELi4ELi4ELi64ELc67ELc78EKS2_S3_S2_EEvlllT_PT11_llS6_llS4_PT12_llPT13_lli, .Lfunc_end94-_ZN12_GLOBAL__N_127rocblas_gemm_batched_kernelI19rocblas_complex_numIfELi16ELi16ELi64ELi64ELi4ELi64ELi4ELi4ELi64ELc67ELc78EKS2_S3_S2_EEvlllT_PT11_llS6_llS4_PT12_llPT13_lli
                                        ; -- End function
	.set _ZN12_GLOBAL__N_127rocblas_gemm_batched_kernelI19rocblas_complex_numIfELi16ELi16ELi64ELi64ELi4ELi64ELi4ELi4ELi64ELc67ELc78EKS2_S3_S2_EEvlllT_PT11_llS6_llS4_PT12_llPT13_lli.num_vgpr, 108
	.set _ZN12_GLOBAL__N_127rocblas_gemm_batched_kernelI19rocblas_complex_numIfELi16ELi16ELi64ELi64ELi4ELi64ELi4ELi4ELi64ELc67ELc78EKS2_S3_S2_EEvlllT_PT11_llS6_llS4_PT12_llPT13_lli.num_agpr, 0
	.set _ZN12_GLOBAL__N_127rocblas_gemm_batched_kernelI19rocblas_complex_numIfELi16ELi16ELi64ELi64ELi4ELi64ELi4ELi4ELi64ELc67ELc78EKS2_S3_S2_EEvlllT_PT11_llS6_llS4_PT12_llPT13_lli.numbered_sgpr, 28
	.set _ZN12_GLOBAL__N_127rocblas_gemm_batched_kernelI19rocblas_complex_numIfELi16ELi16ELi64ELi64ELi4ELi64ELi4ELi4ELi64ELc67ELc78EKS2_S3_S2_EEvlllT_PT11_llS6_llS4_PT12_llPT13_lli.num_named_barrier, 0
	.set _ZN12_GLOBAL__N_127rocblas_gemm_batched_kernelI19rocblas_complex_numIfELi16ELi16ELi64ELi64ELi4ELi64ELi4ELi4ELi64ELc67ELc78EKS2_S3_S2_EEvlllT_PT11_llS6_llS4_PT12_llPT13_lli.private_seg_size, 0
	.set _ZN12_GLOBAL__N_127rocblas_gemm_batched_kernelI19rocblas_complex_numIfELi16ELi16ELi64ELi64ELi4ELi64ELi4ELi4ELi64ELc67ELc78EKS2_S3_S2_EEvlllT_PT11_llS6_llS4_PT12_llPT13_lli.uses_vcc, 1
	.set _ZN12_GLOBAL__N_127rocblas_gemm_batched_kernelI19rocblas_complex_numIfELi16ELi16ELi64ELi64ELi4ELi64ELi4ELi4ELi64ELc67ELc78EKS2_S3_S2_EEvlllT_PT11_llS6_llS4_PT12_llPT13_lli.uses_flat_scratch, 0
	.set _ZN12_GLOBAL__N_127rocblas_gemm_batched_kernelI19rocblas_complex_numIfELi16ELi16ELi64ELi64ELi4ELi64ELi4ELi4ELi64ELc67ELc78EKS2_S3_S2_EEvlllT_PT11_llS6_llS4_PT12_llPT13_lli.has_dyn_sized_stack, 0
	.set _ZN12_GLOBAL__N_127rocblas_gemm_batched_kernelI19rocblas_complex_numIfELi16ELi16ELi64ELi64ELi4ELi64ELi4ELi4ELi64ELc67ELc78EKS2_S3_S2_EEvlllT_PT11_llS6_llS4_PT12_llPT13_lli.has_recursion, 0
	.set _ZN12_GLOBAL__N_127rocblas_gemm_batched_kernelI19rocblas_complex_numIfELi16ELi16ELi64ELi64ELi4ELi64ELi4ELi4ELi64ELc67ELc78EKS2_S3_S2_EEvlllT_PT11_llS6_llS4_PT12_llPT13_lli.has_indirect_call, 0
	.section	.AMDGPU.csdata,"",@progbits
; Kernel info:
; codeLenInByte = 5224
; TotalNumSgprs: 34
; NumVgprs: 108
; NumAgprs: 0
; TotalNumVgprs: 108
; ScratchSize: 0
; MemoryBound: 0
; FloatMode: 240
; IeeeMode: 1
; LDSByteSize: 4096 bytes/workgroup (compile time only)
; SGPRBlocks: 4
; VGPRBlocks: 13
; NumSGPRsForWavesPerEU: 34
; NumVGPRsForWavesPerEU: 108
; AccumOffset: 108
; Occupancy: 4
; WaveLimiterHint : 1
; COMPUTE_PGM_RSRC2:SCRATCH_EN: 0
; COMPUTE_PGM_RSRC2:USER_SGPR: 2
; COMPUTE_PGM_RSRC2:TRAP_HANDLER: 0
; COMPUTE_PGM_RSRC2:TGID_X_EN: 1
; COMPUTE_PGM_RSRC2:TGID_Y_EN: 1
; COMPUTE_PGM_RSRC2:TGID_Z_EN: 1
; COMPUTE_PGM_RSRC2:TIDIG_COMP_CNT: 1
; COMPUTE_PGM_RSRC3_GFX90A:ACCUM_OFFSET: 26
; COMPUTE_PGM_RSRC3_GFX90A:TG_SPLIT: 0
	.section	.text._ZN12_GLOBAL__N_127rocblas_gemm_batched_kernelI19rocblas_complex_numIfELi16ELi16ELi64ELi64ELi4ELi64ELi4ELi4ELi64ELc67ELc84EKS2_S3_S2_EEvlllT_PT11_llS6_llS4_PT12_llPT13_lli,"axG",@progbits,_ZN12_GLOBAL__N_127rocblas_gemm_batched_kernelI19rocblas_complex_numIfELi16ELi16ELi64ELi64ELi4ELi64ELi4ELi4ELi64ELc67ELc84EKS2_S3_S2_EEvlllT_PT11_llS6_llS4_PT12_llPT13_lli,comdat
	.globl	_ZN12_GLOBAL__N_127rocblas_gemm_batched_kernelI19rocblas_complex_numIfELi16ELi16ELi64ELi64ELi4ELi64ELi4ELi4ELi64ELc67ELc84EKS2_S3_S2_EEvlllT_PT11_llS6_llS4_PT12_llPT13_lli ; -- Begin function _ZN12_GLOBAL__N_127rocblas_gemm_batched_kernelI19rocblas_complex_numIfELi16ELi16ELi64ELi64ELi4ELi64ELi4ELi4ELi64ELc67ELc84EKS2_S3_S2_EEvlllT_PT11_llS6_llS4_PT12_llPT13_lli
	.p2align	8
	.type	_ZN12_GLOBAL__N_127rocblas_gemm_batched_kernelI19rocblas_complex_numIfELi16ELi16ELi64ELi64ELi4ELi64ELi4ELi4ELi64ELc67ELc84EKS2_S3_S2_EEvlllT_PT11_llS6_llS4_PT12_llPT13_lli,@function
_ZN12_GLOBAL__N_127rocblas_gemm_batched_kernelI19rocblas_complex_numIfELi16ELi16ELi64ELi64ELi4ELi64ELi4ELi4ELi64ELc67ELc84EKS2_S3_S2_EEvlllT_PT11_llS6_llS4_PT12_llPT13_lli: ; @_ZN12_GLOBAL__N_127rocblas_gemm_batched_kernelI19rocblas_complex_numIfELi16ELi16ELi64ELi64ELi4ELi64ELi4ELi4ELi64ELc67ELc84EKS2_S3_S2_EEvlllT_PT11_llS6_llS4_PT12_llPT13_lli
; %bb.0:
	s_load_dwordx16 s[8:23], s[0:1], 0x10
	s_load_dwordx2 s[6:7], s[0:1], 0x50
	s_mov_b32 s24, s3
	v_mov_b32_e32 v39, 0
	s_ashr_i32 s3, s2, 31
	s_ashr_i32 s25, s24, 31
	s_waitcnt lgkmcnt(0)
	v_cmp_lt_i64_e64 s[26:27], s[8:9], 1
	v_bfe_u32 v38, v0, 10, 10
	v_and_b32_e32 v36, 0x3ff, v0
	v_mov_b32_e32 v37, v39
	s_lshl_b64 s[2:3], s[2:3], 6
	s_lshl_b64 s[24:25], s[24:25], 6
	s_and_b64 vcc, exec, s[26:27]
	v_mov_b32_e32 v59, v39
	v_mov_b32_e32 v58, v39
	;; [unrolled: 1-line block ×32, first 2 shown]
	s_cbranch_vccnz .LBB95_3
; %bb.1:
	v_lshl_add_u32 v4, v38, 4, v36
	v_lshrrev_b32_e32 v40, 2, v4
	v_mov_b32_e32 v41, 0
	v_lshl_add_u64 v[0:1], v[40:41], 0, s[24:25]
	v_and_b32_e32 v5, 3, v36
	v_mad_u64_u32 v[0:1], s[26:27], s20, v5, v[0:1]
	v_mov_b32_e32 v2, v1
	v_mad_u64_u32 v[2:3], s[26:27], s21, v5, v[2:3]
	v_lshlrev_b32_e32 v5, 3, v5
	v_mov_b32_e32 v1, v2
	v_and_b32_e32 v2, 63, v4
	v_mov_b32_e32 v3, v41
	v_lshl_or_b32 v5, v40, 5, v5
	v_lshrrev_b32_e32 v4, 6, v4
	v_lshlrev_b32_e32 v6, 3, v2
	v_add_u32_e32 v45, 0x800, v5
	v_mov_b32_e32 v5, 0x800
	v_lshl_add_u64 v[2:3], s[2:3], 0, v[2:3]
	v_lshl_or_b32 v43, v4, 9, v6
	v_lshl_add_u32 v49, v38, 5, v5
	v_mul_lo_u32 v5, s15, v2
	v_mul_lo_u32 v6, s14, v3
	v_mad_u64_u32 v[2:3], s[14:15], s14, v2, 0
	s_mul_i32 s5, s17, s4
	s_mul_hi_u32 s14, s16, s4
	s_add_i32 s15, s14, s5
	s_mul_i32 s14, s16, s4
	v_add3_u32 v3, v3, v6, v5
	s_lshl_b64 s[14:15], s[14:15], 3
	v_lshl_add_u64 v[2:3], v[2:3], 3, s[14:15]
	v_lshlrev_b32_e32 v40, 3, v4
	v_lshl_add_u64 v[2:3], v[2:3], 0, v[40:41]
	v_lshl_add_u64 v[2:3], s[12:13], 0, v[2:3]
	s_mul_i32 s5, s23, s4
	s_mul_hi_u32 s12, s22, s4
	s_add_i32 s13, s12, s5
	s_mul_i32 s12, s22, s4
	s_lshl_b64 s[12:13], s[12:13], 3
	s_add_u32 s12, s18, s12
	s_addc_u32 s13, s19, s13
	v_lshlrev_b32_e32 v47, 3, v36
	v_lshl_add_u64 v[50:51], v[2:3], 0, 4
	v_lshl_add_u64 v[52:53], v[0:1], 3, s[12:13]
	s_lshl_b64 s[12:13], s[20:21], 5
	s_mov_b64 s[14:15], 0
	v_mov_b64_e32 v[54:55], s[8:9]
	v_mov_b32_e32 v40, v41
	v_mov_b32_e32 v44, v41
	;; [unrolled: 1-line block ×31, first 2 shown]
.LBB95_2:                               ; =>This Inner Loop Header: Depth=1
	global_load_dwordx2 v[0:1], v[50:51], off offset:-4
	s_add_u32 s14, s14, 4
	s_addc_u32 s15, s15, 0
	v_cmp_lt_i64_e32 vcc, s[14:15], v[54:55]
	v_lshl_add_u64 v[50:51], v[50:51], 0, 32
	s_and_b64 vcc, exec, vcc
	s_waitcnt vmcnt(0)
	v_xor_b32_e32 v1, 0x80000000, v1
	ds_write_b64 v43, v[0:1]
	global_load_dwordx2 v[0:1], v[52:53], off
	v_lshl_add_u64 v[52:53], v[52:53], 0, s[12:13]
	s_waitcnt vmcnt(0)
	ds_write_b64 v45, v[0:1]
	s_waitcnt lgkmcnt(0)
	s_barrier
	ds_read_b128 v[0:3], v49
	ds_read_b128 v[32:35], v49 offset:16
	ds_read2_b64 v[8:11], v47 offset1:16
	ds_read2_b64 v[12:15], v47 offset0:32 offset1:48
	s_waitcnt lgkmcnt(1)
	v_mul_f32_e32 v4, v1, v9
	v_fma_f32 v4, v0, v8, -v4
	v_mul_f32_e32 v5, v0, v9
	v_add_f32_e32 v20, v102, v4
	v_mul_f32_e32 v4, v1, v11
	v_fmac_f32_e32 v5, v1, v8
	v_fma_f32 v4, v0, v10, -v4
	v_add_f32_e32 v21, v104, v5
	v_mul_f32_e32 v5, v0, v11
	v_add_f32_e32 v22, v98, v4
	s_waitcnt lgkmcnt(0)
	v_mul_f32_e32 v4, v1, v13
	v_fmac_f32_e32 v5, v1, v10
	v_fma_f32 v4, v0, v12, -v4
	v_add_f32_e32 v23, v100, v5
	v_mul_f32_e32 v5, v0, v13
	v_add_f32_e32 v57, v94, v4
	v_mul_f32_e32 v4, v1, v15
	v_fmac_f32_e32 v5, v1, v12
	v_fma_f32 v4, v0, v14, -v4
	v_mul_f32_e32 v0, v0, v15
	v_add_f32_e32 v61, v96, v5
	v_fmac_f32_e32 v0, v1, v14
	v_add_f32_e32 v1, v90, v4
	ds_read_b128 v[4:7], v49 offset:512
	ds_read_b128 v[104:107], v49 offset:1040
	v_add_f32_e32 v0, v92, v0
	s_waitcnt lgkmcnt(1)
	v_mul_f32_e32 v16, v5, v9
	v_fma_f32 v16, v4, v8, -v16
	v_mul_f32_e32 v17, v4, v9
	v_add_f32_e32 v63, v86, v16
	v_mul_f32_e32 v16, v5, v11
	v_fmac_f32_e32 v17, v5, v8
	v_fma_f32 v16, v4, v10, -v16
	v_add_f32_e32 v65, v88, v17
	v_mul_f32_e32 v17, v4, v11
	v_add_f32_e32 v67, v82, v16
	v_mul_f32_e32 v16, v5, v13
	v_fmac_f32_e32 v17, v5, v10
	v_fma_f32 v16, v4, v12, -v16
	v_add_f32_e32 v69, v84, v17
	v_mul_f32_e32 v17, v4, v13
	v_add_f32_e32 v71, v78, v16
	v_mul_f32_e32 v16, v5, v15
	v_fmac_f32_e32 v17, v5, v12
	v_fma_f32 v16, v4, v14, -v16
	v_mul_f32_e32 v4, v4, v15
	v_add_f32_e32 v73, v80, v17
	v_fmac_f32_e32 v4, v5, v14
	v_add_f32_e32 v5, v74, v16
	ds_read_b128 v[16:19], v49 offset:1024
	v_add_f32_e32 v4, v76, v4
	s_waitcnt lgkmcnt(0)
	v_mul_f32_e32 v24, v17, v9
	v_fma_f32 v24, v16, v8, -v24
	v_mul_f32_e32 v25, v16, v9
	v_add_f32_e32 v70, v70, v24
	v_mul_f32_e32 v24, v17, v11
	v_fmac_f32_e32 v25, v17, v8
	v_fma_f32 v24, v16, v10, -v24
	v_add_f32_e32 v72, v72, v25
	v_mul_f32_e32 v25, v16, v11
	v_add_f32_e32 v66, v66, v24
	v_mul_f32_e32 v24, v17, v13
	v_fmac_f32_e32 v25, v17, v10
	v_fma_f32 v24, v16, v12, -v24
	v_add_f32_e32 v68, v68, v25
	v_mul_f32_e32 v25, v16, v13
	v_add_f32_e32 v62, v62, v24
	v_mul_f32_e32 v24, v17, v15
	v_fmac_f32_e32 v25, v17, v12
	v_fma_f32 v24, v16, v14, -v24
	v_mul_f32_e32 v16, v16, v15
	v_add_f32_e32 v64, v64, v25
	v_fmac_f32_e32 v16, v17, v14
	v_add_f32_e32 v17, v56, v24
	ds_read2_b64 v[24:27], v47 offset0:64 offset1:80
	v_add_f32_e32 v16, v60, v16
	s_waitcnt lgkmcnt(0)
	v_mul_f32_e32 v28, v3, v25
	v_mul_f32_e32 v29, v2, v25
	v_fma_f32 v28, v2, v24, -v28
	v_fmac_f32_e32 v29, v3, v24
	v_add_f32_e32 v20, v20, v28
	v_add_f32_e32 v21, v21, v29
	v_mul_f32_e32 v28, v3, v27
	v_mul_f32_e32 v29, v2, v27
	v_fma_f32 v28, v2, v26, -v28
	v_fmac_f32_e32 v29, v3, v26
	v_add_f32_e32 v22, v22, v28
	v_add_f32_e32 v23, v23, v29
	ds_read2_b64 v[28:31], v47 offset0:96 offset1:112
	s_waitcnt lgkmcnt(0)
	v_mul_f32_e32 v56, v3, v29
	v_mul_f32_e32 v60, v2, v29
	v_fma_f32 v56, v2, v28, -v56
	v_fmac_f32_e32 v60, v3, v28
	v_add_f32_e32 v56, v57, v56
	v_add_f32_e32 v57, v61, v60
	v_mul_f32_e32 v60, v3, v31
	v_fma_f32 v60, v2, v30, -v60
	v_mul_f32_e32 v2, v2, v31
	v_fmac_f32_e32 v2, v3, v30
	v_add_f32_e32 v60, v1, v60
	v_add_f32_e32 v61, v0, v2
	v_mul_f32_e32 v0, v7, v25
	v_mul_f32_e32 v1, v6, v25
	v_fma_f32 v0, v6, v24, -v0
	v_fmac_f32_e32 v1, v7, v24
	v_add_f32_e32 v74, v63, v0
	v_add_f32_e32 v65, v65, v1
	v_mul_f32_e32 v0, v7, v27
	v_mul_f32_e32 v1, v6, v27
	v_fma_f32 v0, v6, v26, -v0
	;; [unrolled: 6-line block ×6, first 2 shown]
	v_fmac_f32_e32 v1, v19, v26
	ds_read2_b64 v[4:7], v47 offset0:128 offset1:144
	v_add_f32_e32 v66, v66, v0
	v_add_f32_e32 v68, v68, v1
	v_mul_f32_e32 v0, v19, v29
	v_mul_f32_e32 v1, v18, v29
	v_fma_f32 v0, v18, v28, -v0
	v_fmac_f32_e32 v1, v19, v28
	v_add_f32_e32 v77, v62, v0
	v_add_f32_e32 v64, v64, v1
	v_mul_f32_e32 v0, v19, v31
	v_mul_f32_e32 v1, v18, v31
	v_fma_f32 v0, v18, v30, -v0
	v_fmac_f32_e32 v1, v19, v30
	v_add_f32_e32 v17, v17, v0
	v_add_f32_e32 v16, v16, v1
	s_waitcnt lgkmcnt(0)
	v_mul_f32_e32 v0, v33, v5
	v_mul_f32_e32 v1, v32, v5
	v_fma_f32 v0, v32, v4, -v0
	v_fmac_f32_e32 v1, v33, v4
	v_add_f32_e32 v18, v20, v0
	v_add_f32_e32 v19, v21, v1
	v_mul_f32_e32 v0, v33, v7
	v_mul_f32_e32 v1, v32, v7
	v_fma_f32 v0, v32, v6, -v0
	v_fmac_f32_e32 v1, v33, v6
	v_add_f32_e32 v78, v22, v0
	v_add_f32_e32 v79, v23, v1
	ds_read2_b64 v[0:3], v47 offset0:160 offset1:176
	s_waitcnt lgkmcnt(0)
	v_mul_f32_e32 v20, v33, v1
	v_mul_f32_e32 v21, v32, v1
	v_fma_f32 v20, v32, v0, -v20
	v_fmac_f32_e32 v21, v33, v0
	v_add_f32_e32 v56, v56, v20
	v_add_f32_e32 v57, v57, v21
	v_mul_f32_e32 v20, v33, v3
	v_mul_f32_e32 v21, v32, v3
	v_fma_f32 v20, v32, v2, -v20
	v_fmac_f32_e32 v21, v33, v2
	v_add_f32_e32 v32, v60, v20
	v_add_f32_e32 v33, v61, v21
	ds_read_b128 v[60:63], v49 offset:528
	s_waitcnt lgkmcnt(0)
	v_mul_f32_e32 v20, v61, v5
	v_mul_f32_e32 v21, v60, v5
	v_fma_f32 v20, v60, v4, -v20
	v_fmac_f32_e32 v21, v61, v4
	v_add_f32_e32 v74, v74, v20
	v_add_f32_e32 v65, v65, v21
	v_mul_f32_e32 v20, v61, v7
	v_mul_f32_e32 v21, v60, v7
	v_fma_f32 v20, v60, v6, -v20
	v_fmac_f32_e32 v21, v61, v6
	v_add_f32_e32 v67, v67, v20
	v_add_f32_e32 v69, v69, v21
	;; [unrolled: 6-line block ×8, first 2 shown]
	ds_read2_b64 v[20:23], v47 offset0:192 offset1:208
	s_waitcnt lgkmcnt(0)
	v_mul_f32_e32 v16, v35, v21
	v_mul_f32_e32 v17, v34, v21
	v_fma_f32 v16, v34, v20, -v16
	v_fmac_f32_e32 v17, v35, v20
	v_add_f32_e32 v102, v18, v16
	v_add_f32_e32 v104, v19, v17
	v_mul_f32_e32 v16, v35, v23
	v_mul_f32_e32 v17, v34, v23
	v_fma_f32 v16, v34, v22, -v16
	v_fmac_f32_e32 v17, v35, v22
	v_add_f32_e32 v98, v78, v16
	v_add_f32_e32 v100, v79, v17
	ds_read2_b64 v[16:19], v47 offset0:224 offset1:240
	s_waitcnt lgkmcnt(0)
	v_mul_f32_e32 v76, v35, v17
	v_fma_f32 v76, v34, v16, -v76
	v_add_f32_e32 v94, v56, v76
	v_mul_f32_e32 v56, v35, v19
	v_mul_f32_e32 v78, v34, v17
	v_fma_f32 v56, v34, v18, -v56
	v_mul_f32_e32 v34, v34, v19
	v_fmac_f32_e32 v34, v35, v18
	v_add_f32_e32 v90, v32, v56
	v_add_f32_e32 v92, v33, v34
	v_mul_f32_e32 v32, v63, v21
	v_mul_f32_e32 v33, v62, v21
	v_fma_f32 v32, v62, v20, -v32
	v_fmac_f32_e32 v33, v63, v20
	v_add_f32_e32 v86, v74, v32
	v_add_f32_e32 v88, v65, v33
	v_mul_f32_e32 v32, v63, v23
	v_mul_f32_e32 v33, v62, v23
	v_fma_f32 v32, v62, v22, -v32
	v_fmac_f32_e32 v33, v63, v22
	v_add_f32_e32 v82, v67, v32
	v_add_f32_e32 v84, v69, v33
	v_mul_f32_e32 v32, v63, v17
	v_mul_f32_e32 v33, v62, v17
	v_fmac_f32_e32 v78, v35, v16
	v_fma_f32 v32, v62, v16, -v32
	v_fmac_f32_e32 v33, v63, v16
	v_add_f32_e32 v96, v57, v78
	v_add_f32_e32 v78, v71, v32
	;; [unrolled: 1-line block ×3, first 2 shown]
	v_mul_f32_e32 v32, v63, v19
	v_mul_f32_e32 v33, v62, v19
	v_fma_f32 v32, v62, v18, -v32
	v_fmac_f32_e32 v33, v63, v18
	v_add_f32_e32 v74, v60, v32
	v_add_f32_e32 v76, v61, v33
	v_mul_f32_e32 v32, v107, v21
	v_mul_f32_e32 v33, v106, v21
	v_fma_f32 v32, v106, v20, -v32
	v_fmac_f32_e32 v33, v107, v20
	v_add_f32_e32 v70, v70, v32
	v_add_f32_e32 v72, v72, v33
	;; [unrolled: 6-line block ×5, first 2 shown]
	ds_read_b128 v[32:35], v49 offset:1536
	s_waitcnt lgkmcnt(0)
	v_mul_f32_e32 v57, v33, v9
	v_mul_f32_e32 v9, v32, v9
	v_fmac_f32_e32 v9, v33, v8
	v_fma_f32 v57, v32, v8, -v57
	v_add_f32_e32 v48, v48, v9
	v_mul_f32_e32 v8, v33, v11
	v_mul_f32_e32 v9, v32, v11
	v_fma_f32 v8, v32, v10, -v8
	v_fmac_f32_e32 v9, v33, v10
	v_add_f32_e32 v42, v42, v8
	v_add_f32_e32 v44, v44, v9
	v_mul_f32_e32 v8, v33, v13
	v_mul_f32_e32 v9, v32, v13
	v_fma_f32 v8, v32, v12, -v8
	v_fmac_f32_e32 v9, v33, v12
	v_add_f32_e32 v12, v40, v8
	v_add_f32_e32 v13, v41, v9
	v_pk_mul_f32 v[8:9], v[32:33], v[14:15] op_sel:[1,1] op_sel_hi:[0,1]
	v_pk_fma_f32 v[10:11], v[32:33], v[14:15], v[8:9] neg_lo:[0,0,1] neg_hi:[0,0,1]
	v_pk_fma_f32 v[8:9], v[32:33], v[14:15], v[8:9] op_sel_hi:[1,0,1]
	v_add_f32_e32 v46, v46, v57
	v_mov_b32_e32 v11, v9
	v_pk_add_f32 v[8:9], v[58:59], v[10:11]
	v_mul_f32_e32 v10, v35, v25
	v_mul_f32_e32 v11, v34, v25
	v_fma_f32 v10, v34, v24, -v10
	v_fmac_f32_e32 v11, v35, v24
	v_add_f32_e32 v32, v46, v10
	v_add_f32_e32 v33, v48, v11
	v_mul_f32_e32 v10, v35, v27
	v_mul_f32_e32 v11, v34, v27
	v_fma_f32 v10, v34, v26, -v10
	v_fmac_f32_e32 v11, v35, v26
	v_add_f32_e32 v24, v42, v10
	v_add_f32_e32 v25, v44, v11
	;; [unrolled: 6-line block ×3, first 2 shown]
	v_pk_mul_f32 v[10:11], v[34:35], v[30:31] op_sel:[1,1] op_sel_hi:[0,1]
	v_pk_fma_f32 v[12:13], v[34:35], v[30:31], v[10:11] neg_lo:[0,0,1] neg_hi:[0,0,1]
	v_pk_fma_f32 v[10:11], v[34:35], v[30:31], v[10:11] op_sel_hi:[1,0,1]
	s_nop 0
	v_mov_b32_e32 v13, v11
	v_pk_add_f32 v[12:13], v[8:9], v[12:13]
	ds_read_b128 v[8:11], v49 offset:1552
	s_waitcnt lgkmcnt(0)
	s_barrier
	v_mul_f32_e32 v26, v9, v5
	v_mul_f32_e32 v5, v8, v5
	v_fma_f32 v26, v8, v4, -v26
	v_fmac_f32_e32 v5, v9, v4
	v_mul_f32_e32 v4, v9, v7
	v_add_f32_e32 v27, v33, v5
	v_fma_f32 v4, v8, v6, -v4
	v_mul_f32_e32 v5, v8, v7
	v_fmac_f32_e32 v5, v9, v6
	v_add_f32_e32 v6, v24, v4
	v_mul_f32_e32 v4, v9, v1
	v_mul_f32_e32 v1, v8, v1
	v_fmac_f32_e32 v1, v9, v0
	v_fma_f32 v4, v8, v0, -v4
	v_add_f32_e32 v15, v15, v1
	v_pk_mul_f32 v[0:1], v[8:9], v[2:3] op_sel:[1,1] op_sel_hi:[0,1]
	v_add_f32_e32 v7, v25, v5
	v_add_f32_e32 v14, v14, v4
	v_pk_fma_f32 v[4:5], v[8:9], v[2:3], v[0:1] neg_lo:[0,0,1] neg_hi:[0,0,1]
	v_pk_fma_f32 v[0:1], v[8:9], v[2:3], v[0:1] op_sel_hi:[1,0,1]
	v_mul_f32_e32 v2, v11, v21
	v_mul_f32_e32 v3, v10, v21
	v_add_f32_e32 v26, v32, v26
	v_fma_f32 v2, v10, v20, -v2
	v_fmac_f32_e32 v3, v11, v20
	v_add_f32_e32 v46, v26, v2
	v_add_f32_e32 v48, v27, v3
	v_mul_f32_e32 v2, v11, v23
	v_mul_f32_e32 v3, v10, v23
	v_fma_f32 v2, v10, v22, -v2
	v_fmac_f32_e32 v3, v11, v22
	v_add_f32_e32 v42, v6, v2
	v_add_f32_e32 v44, v7, v3
	v_mul_f32_e32 v2, v11, v17
	v_mul_f32_e32 v3, v10, v17
	v_fma_f32 v2, v10, v16, -v2
	v_fmac_f32_e32 v3, v11, v16
	v_mov_b32_e32 v5, v1
	v_add_f32_e32 v40, v14, v2
	v_add_f32_e32 v41, v15, v3
	v_pk_mul_f32 v[2:3], v[10:11], v[18:19] op_sel:[1,1] op_sel_hi:[0,1]
	v_pk_add_f32 v[0:1], v[12:13], v[4:5]
	v_pk_fma_f32 v[4:5], v[10:11], v[18:19], v[2:3] neg_lo:[0,0,1] neg_hi:[0,0,1]
	v_pk_fma_f32 v[2:3], v[10:11], v[18:19], v[2:3] op_sel_hi:[1,0,1]
	s_nop 0
	v_mov_b32_e32 v5, v3
	v_pk_add_f32 v[58:59], v[0:1], v[4:5]
	s_cbranch_vccnz .LBB95_2
.LBB95_3:
	s_load_dwordx4 s[20:23], s[0:1], 0x78
	s_load_dwordx8 s[12:19], s[0:1], 0x58
	v_lshl_add_u64 v[2:3], s[24:25], 0, v[38:39]
	v_lshl_add_u64 v[0:1], s[2:3], 0, v[36:37]
	s_waitcnt lgkmcnt(0)
	s_mul_i32 s1, s23, s4
	s_mul_hi_u32 s5, s22, s4
	s_mul_i32 s0, s22, s4
	s_add_i32 s1, s5, s1
	s_lshl_b64 s[0:1], s[0:1], 3
	s_add_u32 s8, s18, s0
	s_addc_u32 s9, s19, s1
	s_or_b32 s0, s6, s7
	s_bitset0_b32 s0, 31
	s_cmp_lg_u32 s0, 0
	s_mov_b32 s0, s11
	s_mov_b32 s1, s10
	s_cbranch_scc1 .LBB95_5
; %bb.4:
	v_mul_lo_u32 v6, v3, s20
	v_mul_lo_u32 v7, v2, s21
	v_mad_u64_u32 v[4:5], s[2:3], v2, s20, 0
	v_add3_u32 v5, v5, v7, v6
	v_pk_mul_f32 v[6:7], v[104:105], s[0:1] op_sel_hi:[0,1]
	v_lshl_add_u64 v[4:5], v[4:5], 3, s[8:9]
	v_lshlrev_b64 v[8:9], 3, v[0:1]
	v_pk_fma_f32 v[12:13], v[102:103], s[0:1], v[6:7] op_sel:[0,1,0] op_sel_hi:[1,0,1] neg_lo:[0,0,1] neg_hi:[0,0,1]
	v_pk_fma_f32 v[6:7], v[102:103], s[0:1], v[6:7] op_sel:[0,1,0] op_sel_hi:[0,0,1]
	v_lshl_add_u64 v[10:11], v[4:5], 0, v[8:9]
	v_mov_b32_e32 v13, v7
	v_pk_mul_f32 v[6:7], v[100:101], s[0:1] op_sel_hi:[0,1]
	global_store_dwordx2 v[10:11], v[12:13], off
	v_pk_fma_f32 v[12:13], v[98:99], s[0:1], v[6:7] op_sel:[0,1,0] op_sel_hi:[1,0,1] neg_lo:[0,0,1] neg_hi:[0,0,1]
	v_pk_fma_f32 v[6:7], v[98:99], s[0:1], v[6:7] op_sel:[0,1,0] op_sel_hi:[0,0,1]
	v_mov_b32_e32 v13, v7
	v_pk_mul_f32 v[6:7], v[96:97], s[0:1] op_sel_hi:[0,1]
	global_store_dwordx2 v[10:11], v[12:13], off offset:128
	v_pk_fma_f32 v[12:13], v[94:95], s[0:1], v[6:7] op_sel:[0,1,0] op_sel_hi:[1,0,1] neg_lo:[0,0,1] neg_hi:[0,0,1]
	v_pk_fma_f32 v[6:7], v[94:95], s[0:1], v[6:7] op_sel:[0,1,0] op_sel_hi:[0,0,1]
	v_mov_b32_e32 v13, v7
	v_pk_mul_f32 v[6:7], v[92:93], s[0:1] op_sel_hi:[0,1]
	global_store_dwordx2 v[10:11], v[12:13], off offset:256
	v_pk_fma_f32 v[12:13], v[90:91], s[0:1], v[6:7] op_sel:[0,1,0] op_sel_hi:[1,0,1] neg_lo:[0,0,1] neg_hi:[0,0,1]
	v_pk_fma_f32 v[6:7], v[90:91], s[0:1], v[6:7] op_sel:[0,1,0] op_sel_hi:[0,0,1]
	v_mov_b32_e32 v13, v7
	s_lshl_b64 s[2:3], s[20:21], 7
	v_pk_mul_f32 v[6:7], v[88:89], s[0:1] op_sel_hi:[0,1]
	global_store_dwordx2 v[10:11], v[12:13], off offset:384
	v_lshl_add_u64 v[4:5], v[4:5], 0, s[2:3]
	v_pk_fma_f32 v[12:13], v[86:87], s[0:1], v[6:7] op_sel:[0,1,0] op_sel_hi:[1,0,1] neg_lo:[0,0,1] neg_hi:[0,0,1]
	v_pk_fma_f32 v[6:7], v[86:87], s[0:1], v[6:7] op_sel:[0,1,0] op_sel_hi:[0,0,1]
	v_lshl_add_u64 v[10:11], v[4:5], 0, v[8:9]
	v_mov_b32_e32 v13, v7
	v_pk_mul_f32 v[6:7], v[84:85], s[0:1] op_sel_hi:[0,1]
	global_store_dwordx2 v[10:11], v[12:13], off
	v_pk_fma_f32 v[12:13], v[82:83], s[0:1], v[6:7] op_sel:[0,1,0] op_sel_hi:[1,0,1] neg_lo:[0,0,1] neg_hi:[0,0,1]
	v_pk_fma_f32 v[6:7], v[82:83], s[0:1], v[6:7] op_sel:[0,1,0] op_sel_hi:[0,0,1]
	v_mov_b32_e32 v13, v7
	v_pk_mul_f32 v[6:7], v[80:81], s[0:1] op_sel_hi:[0,1]
	global_store_dwordx2 v[10:11], v[12:13], off offset:128
	v_pk_fma_f32 v[12:13], v[78:79], s[0:1], v[6:7] op_sel:[0,1,0] op_sel_hi:[1,0,1] neg_lo:[0,0,1] neg_hi:[0,0,1]
	v_pk_fma_f32 v[6:7], v[78:79], s[0:1], v[6:7] op_sel:[0,1,0] op_sel_hi:[0,0,1]
	v_mov_b32_e32 v13, v7
	v_pk_mul_f32 v[6:7], v[76:77], s[0:1] op_sel_hi:[0,1]
	global_store_dwordx2 v[10:11], v[12:13], off offset:256
	;; [unrolled: 5-line block ×3, first 2 shown]
	v_lshl_add_u64 v[4:5], v[4:5], 0, s[2:3]
	v_pk_fma_f32 v[12:13], v[70:71], s[0:1], v[6:7] op_sel:[0,1,0] op_sel_hi:[1,0,1] neg_lo:[0,0,1] neg_hi:[0,0,1]
	v_pk_fma_f32 v[6:7], v[70:71], s[0:1], v[6:7] op_sel:[0,1,0] op_sel_hi:[0,0,1]
	v_lshl_add_u64 v[10:11], v[4:5], 0, v[8:9]
	v_mov_b32_e32 v13, v7
	v_pk_mul_f32 v[6:7], v[68:69], s[0:1] op_sel_hi:[0,1]
	global_store_dwordx2 v[10:11], v[12:13], off
	v_pk_fma_f32 v[12:13], v[66:67], s[0:1], v[6:7] op_sel:[0,1,0] op_sel_hi:[1,0,1] neg_lo:[0,0,1] neg_hi:[0,0,1]
	v_pk_fma_f32 v[6:7], v[66:67], s[0:1], v[6:7] op_sel:[0,1,0] op_sel_hi:[0,0,1]
	v_mov_b32_e32 v13, v7
	v_pk_mul_f32 v[6:7], v[64:65], s[0:1] op_sel_hi:[0,1]
	global_store_dwordx2 v[10:11], v[12:13], off offset:128
	v_pk_fma_f32 v[12:13], v[62:63], s[0:1], v[6:7] op_sel:[0,1,0] op_sel_hi:[1,0,1] neg_lo:[0,0,1] neg_hi:[0,0,1]
	v_pk_fma_f32 v[6:7], v[62:63], s[0:1], v[6:7] op_sel:[0,1,0] op_sel_hi:[0,0,1]
	v_mov_b32_e32 v13, v7
	v_pk_mul_f32 v[6:7], v[60:61], s[0:1] op_sel_hi:[0,1]
	global_store_dwordx2 v[10:11], v[12:13], off offset:256
	v_pk_fma_f32 v[12:13], v[56:57], s[0:1], v[6:7] op_sel:[0,1,0] op_sel_hi:[1,0,1] neg_lo:[0,0,1] neg_hi:[0,0,1]
	v_pk_fma_f32 v[6:7], v[56:57], s[0:1], v[6:7] op_sel:[0,1,0] op_sel_hi:[0,0,1]
	v_mov_b32_e32 v13, v7
	v_lshl_add_u64 v[4:5], v[4:5], 0, s[2:3]
	v_pk_mul_f32 v[6:7], v[48:49], s[0:1] op_sel_hi:[0,1]
	v_lshl_add_u64 v[8:9], v[4:5], 0, v[8:9]
	v_pk_fma_f32 v[4:5], v[46:47], s[0:1], v[6:7] op_sel:[0,1,0] op_sel_hi:[1,0,1] neg_lo:[0,0,1] neg_hi:[0,0,1]
	v_pk_fma_f32 v[6:7], v[46:47], s[0:1], v[6:7] op_sel:[0,1,0] op_sel_hi:[0,0,1]
	v_mov_b32_e32 v5, v7
	global_store_dwordx2 v[10:11], v[12:13], off offset:384
	global_store_dwordx2 v[8:9], v[4:5], off
	v_pk_mul_f32 v[4:5], v[44:45], s[0:1] op_sel_hi:[0,1]
	v_pk_fma_f32 v[6:7], v[42:43], s[0:1], v[4:5] op_sel:[0,1,0] op_sel_hi:[1,0,1] neg_lo:[0,0,1] neg_hi:[0,0,1]
	v_pk_fma_f32 v[4:5], v[42:43], s[0:1], v[4:5] op_sel:[0,1,0] op_sel_hi:[0,0,1]
	v_mov_b32_e32 v4, v41
	v_mov_b32_e32 v7, v5
	v_pk_mul_f32 v[4:5], v[4:5], s[0:1] op_sel_hi:[0,1]
	global_store_dwordx2 v[8:9], v[6:7], off offset:128
	v_pk_fma_f32 v[6:7], v[40:41], s[0:1], v[4:5] op_sel:[0,1,0] op_sel_hi:[1,0,1] neg_lo:[0,0,1] neg_hi:[0,0,1]
	v_pk_fma_f32 v[4:5], v[40:41], s[0:1], v[4:5] op_sel:[0,1,0] op_sel_hi:[0,0,1]
	v_mov_b32_e32 v7, v5
	v_mul_f32_e32 v4, s1, v58
	global_store_dwordx2 v[8:9], v[6:7], off offset:256
	v_fma_f32 v7, -v59, s0, v4
	v_pk_mul_f32 v[4:5], v[58:59], s[0:1]
	s_mov_b64 s[2:3], 0x180
	v_add_f32_e32 v6, v4, v5
	v_lshl_add_u64 v[4:5], v[8:9], 0, s[2:3]
	global_store_dword v[8:9], v7, off offset:384
	s_cbranch_execz .LBB95_6
	s_branch .LBB95_7
.LBB95_5:
                                        ; implicit-def: $vgpr6
                                        ; implicit-def: $vgpr4_vgpr5
.LBB95_6:
	s_mul_i32 s2, s17, s4
	s_mul_hi_u32 s3, s16, s4
	s_add_i32 s3, s3, s2
	s_mul_i32 s2, s16, s4
	s_lshl_b64 s[2:3], s[2:3], 3
	s_add_u32 s2, s12, s2
	v_mul_lo_u32 v6, v3, s14
	v_mul_lo_u32 v7, v2, s15
	v_mad_u64_u32 v[4:5], s[4:5], v2, s14, 0
	s_addc_u32 s3, s13, s3
	v_add3_u32 v5, v5, v7, v6
	v_lshl_add_u64 v[4:5], v[4:5], 3, s[2:3]
	v_lshlrev_b64 v[0:1], 3, v[0:1]
	v_lshl_add_u64 v[6:7], v[4:5], 0, v[0:1]
	global_load_dwordx2 v[8:9], v[6:7], off
	v_mul_lo_u32 v12, v3, s20
	v_mul_lo_u32 v13, v2, s21
	v_mad_u64_u32 v[2:3], s[2:3], v2, s20, 0
	s_mov_b32 s2, s7
	v_pk_mul_f32 v[10:11], v[104:105], s[0:1] op_sel_hi:[0,1]
	v_add3_u32 v3, v3, v13, v12
	v_pk_fma_f32 v[12:13], v[102:103], s[0:1], v[10:11] op_sel:[0,1,0] op_sel_hi:[1,0,1] neg_lo:[0,0,1] neg_hi:[0,0,1]
	v_pk_fma_f32 v[10:11], v[102:103], s[0:1], v[10:11] op_sel:[0,1,0] op_sel_hi:[0,0,1]
	v_lshl_add_u64 v[2:3], v[2:3], 3, s[8:9]
	v_mov_b32_e32 v13, v11
	v_lshl_add_u64 v[10:11], v[2:3], 0, v[0:1]
	s_lshl_b64 s[4:5], s[14:15], 7
	v_lshl_add_u64 v[4:5], v[4:5], 0, s[4:5]
	s_lshl_b64 s[8:9], s[20:21], 7
	v_lshl_add_u64 v[2:3], v[2:3], 0, s[8:9]
	s_mov_b32 s11, s6
	s_waitcnt vmcnt(0)
	v_pk_mul_f32 v[14:15], v[8:9], s[2:3] op_sel_hi:[1,0]
	s_nop 0
	v_pk_fma_f32 v[16:17], v[8:9], s[6:7], v[14:15] op_sel:[0,0,1] op_sel_hi:[1,1,0] neg_lo:[0,0,1] neg_hi:[0,0,1]
	v_pk_fma_f32 v[8:9], v[8:9], s[6:7], v[14:15] op_sel:[0,0,1] op_sel_hi:[1,0,0]
	s_nop 0
	v_mov_b32_e32 v17, v9
	v_pk_add_f32 v[8:9], v[12:13], v[16:17]
	global_store_dwordx2 v[10:11], v[8:9], off
	global_load_dwordx2 v[8:9], v[6:7], off offset:128
	v_pk_mul_f32 v[12:13], v[100:101], s[0:1] op_sel_hi:[0,1]
	v_pk_fma_f32 v[14:15], v[98:99], s[0:1], v[12:13] op_sel:[0,1,0] op_sel_hi:[1,0,1] neg_lo:[0,0,1] neg_hi:[0,0,1]
	v_pk_fma_f32 v[12:13], v[98:99], s[0:1], v[12:13] op_sel:[0,1,0] op_sel_hi:[0,0,1]
	v_mov_b32_e32 v15, v13
	s_waitcnt vmcnt(0)
	v_pk_mul_f32 v[12:13], v[8:9], s[2:3] op_sel_hi:[1,0]
	s_nop 0
	v_pk_fma_f32 v[16:17], v[8:9], s[6:7], v[12:13] op_sel:[0,0,1] op_sel_hi:[1,1,0] neg_lo:[0,0,1] neg_hi:[0,0,1]
	v_pk_fma_f32 v[8:9], v[8:9], s[6:7], v[12:13] op_sel:[0,0,1] op_sel_hi:[1,0,0]
	v_pk_mul_f32 v[12:13], v[96:97], s[0:1] op_sel_hi:[0,1]
	v_mov_b32_e32 v17, v9
	v_pk_add_f32 v[8:9], v[14:15], v[16:17]
	global_store_dwordx2 v[10:11], v[8:9], off offset:128
	global_load_dwordx2 v[8:9], v[6:7], off offset:256
	v_pk_fma_f32 v[14:15], v[94:95], s[0:1], v[12:13] op_sel:[0,1,0] op_sel_hi:[1,0,1] neg_lo:[0,0,1] neg_hi:[0,0,1]
	v_pk_fma_f32 v[12:13], v[94:95], s[0:1], v[12:13] op_sel:[0,1,0] op_sel_hi:[0,0,1]
	v_mov_b32_e32 v15, v13
	s_waitcnt vmcnt(0)
	v_pk_mul_f32 v[12:13], v[8:9], s[2:3] op_sel_hi:[1,0]
	s_nop 0
	v_pk_fma_f32 v[16:17], v[8:9], s[6:7], v[12:13] op_sel:[0,0,1] op_sel_hi:[1,1,0] neg_lo:[0,0,1] neg_hi:[0,0,1]
	v_pk_fma_f32 v[8:9], v[8:9], s[6:7], v[12:13] op_sel:[0,0,1] op_sel_hi:[1,0,0]
	s_nop 0
	v_mov_b32_e32 v17, v9
	v_pk_add_f32 v[8:9], v[14:15], v[16:17]
	global_store_dwordx2 v[10:11], v[8:9], off offset:256
	global_load_dwordx2 v[6:7], v[6:7], off offset:384
	v_pk_mul_f32 v[8:9], v[92:93], s[0:1] op_sel_hi:[0,1]
	v_pk_fma_f32 v[12:13], v[90:91], s[0:1], v[8:9] op_sel:[0,1,0] op_sel_hi:[1,0,1] neg_lo:[0,0,1] neg_hi:[0,0,1]
	v_pk_fma_f32 v[8:9], v[90:91], s[0:1], v[8:9] op_sel:[0,1,0] op_sel_hi:[0,0,1]
	v_mov_b32_e32 v13, v9
	v_lshl_add_u64 v[8:9], v[4:5], 0, v[0:1]
	v_lshl_add_u64 v[4:5], v[4:5], 0, s[4:5]
	s_waitcnt vmcnt(0)
	v_pk_mul_f32 v[14:15], v[6:7], s[2:3] op_sel_hi:[1,0]
	s_nop 0
	v_pk_fma_f32 v[16:17], v[6:7], s[6:7], v[14:15] op_sel:[0,0,1] op_sel_hi:[1,1,0] neg_lo:[0,0,1] neg_hi:[0,0,1]
	v_pk_fma_f32 v[6:7], v[6:7], s[6:7], v[14:15] op_sel:[0,0,1] op_sel_hi:[1,0,0]
	s_nop 0
	v_mov_b32_e32 v17, v7
	v_pk_add_f32 v[6:7], v[12:13], v[16:17]
	global_store_dwordx2 v[10:11], v[6:7], off offset:384
	global_load_dwordx2 v[6:7], v[8:9], off
	v_pk_mul_f32 v[10:11], v[88:89], s[0:1] op_sel_hi:[0,1]
	v_pk_fma_f32 v[12:13], v[86:87], s[0:1], v[10:11] op_sel:[0,1,0] op_sel_hi:[1,0,1] neg_lo:[0,0,1] neg_hi:[0,0,1]
	v_pk_fma_f32 v[10:11], v[86:87], s[0:1], v[10:11] op_sel:[0,1,0] op_sel_hi:[0,0,1]
	v_mov_b32_e32 v13, v11
	v_lshl_add_u64 v[10:11], v[2:3], 0, v[0:1]
	v_lshl_add_u64 v[2:3], v[2:3], 0, s[8:9]
	s_waitcnt vmcnt(0)
	v_pk_mul_f32 v[14:15], v[6:7], s[2:3] op_sel_hi:[1,0]
	s_nop 0
	v_pk_fma_f32 v[16:17], v[6:7], s[6:7], v[14:15] op_sel:[0,0,1] op_sel_hi:[1,1,0] neg_lo:[0,0,1] neg_hi:[0,0,1]
	v_pk_fma_f32 v[6:7], v[6:7], s[6:7], v[14:15] op_sel:[0,0,1] op_sel_hi:[1,0,0]
	s_nop 0
	v_mov_b32_e32 v17, v7
	v_pk_add_f32 v[6:7], v[12:13], v[16:17]
	global_store_dwordx2 v[10:11], v[6:7], off
	global_load_dwordx2 v[6:7], v[8:9], off offset:128
	v_pk_mul_f32 v[12:13], v[84:85], s[0:1] op_sel_hi:[0,1]
	v_pk_fma_f32 v[14:15], v[82:83], s[0:1], v[12:13] op_sel:[0,1,0] op_sel_hi:[1,0,1] neg_lo:[0,0,1] neg_hi:[0,0,1]
	v_pk_fma_f32 v[12:13], v[82:83], s[0:1], v[12:13] op_sel:[0,1,0] op_sel_hi:[0,0,1]
	v_mov_b32_e32 v15, v13
	s_waitcnt vmcnt(0)
	v_pk_mul_f32 v[12:13], v[6:7], s[2:3] op_sel_hi:[1,0]
	s_nop 0
	v_pk_fma_f32 v[16:17], v[6:7], s[6:7], v[12:13] op_sel:[0,0,1] op_sel_hi:[1,1,0] neg_lo:[0,0,1] neg_hi:[0,0,1]
	v_pk_fma_f32 v[6:7], v[6:7], s[6:7], v[12:13] op_sel:[0,0,1] op_sel_hi:[1,0,0]
	v_pk_mul_f32 v[12:13], v[80:81], s[0:1] op_sel_hi:[0,1]
	v_mov_b32_e32 v17, v7
	v_pk_add_f32 v[6:7], v[14:15], v[16:17]
	global_store_dwordx2 v[10:11], v[6:7], off offset:128
	global_load_dwordx2 v[6:7], v[8:9], off offset:256
	v_pk_fma_f32 v[14:15], v[78:79], s[0:1], v[12:13] op_sel:[0,1,0] op_sel_hi:[1,0,1] neg_lo:[0,0,1] neg_hi:[0,0,1]
	v_pk_fma_f32 v[12:13], v[78:79], s[0:1], v[12:13] op_sel:[0,1,0] op_sel_hi:[0,0,1]
	v_mov_b32_e32 v15, v13
	s_waitcnt vmcnt(0)
	v_pk_mul_f32 v[12:13], v[6:7], s[2:3] op_sel_hi:[1,0]
	s_nop 0
	v_pk_fma_f32 v[16:17], v[6:7], s[6:7], v[12:13] op_sel:[0,0,1] op_sel_hi:[1,1,0] neg_lo:[0,0,1] neg_hi:[0,0,1]
	v_pk_fma_f32 v[6:7], v[6:7], s[6:7], v[12:13] op_sel:[0,0,1] op_sel_hi:[1,0,0]
	s_nop 0
	v_mov_b32_e32 v17, v7
	v_pk_add_f32 v[6:7], v[14:15], v[16:17]
	global_store_dwordx2 v[10:11], v[6:7], off offset:256
	global_load_dwordx2 v[6:7], v[8:9], off offset:384
	v_pk_mul_f32 v[8:9], v[76:77], s[0:1] op_sel_hi:[0,1]
	v_pk_fma_f32 v[12:13], v[74:75], s[0:1], v[8:9] op_sel:[0,1,0] op_sel_hi:[1,0,1] neg_lo:[0,0,1] neg_hi:[0,0,1]
	v_pk_fma_f32 v[8:9], v[74:75], s[0:1], v[8:9] op_sel:[0,1,0] op_sel_hi:[0,0,1]
	v_mov_b32_e32 v13, v9
	v_lshl_add_u64 v[8:9], v[4:5], 0, v[0:1]
	v_lshl_add_u64 v[4:5], v[4:5], 0, s[4:5]
	;; [unrolled: 1-line block ×3, first 2 shown]
	s_waitcnt vmcnt(0)
	v_pk_mul_f32 v[14:15], v[6:7], s[2:3] op_sel_hi:[1,0]
	s_nop 0
	v_pk_fma_f32 v[16:17], v[6:7], s[6:7], v[14:15] op_sel:[0,0,1] op_sel_hi:[1,1,0] neg_lo:[0,0,1] neg_hi:[0,0,1]
	v_pk_fma_f32 v[6:7], v[6:7], s[6:7], v[14:15] op_sel:[0,0,1] op_sel_hi:[1,0,0]
	s_nop 0
	v_mov_b32_e32 v17, v7
	v_pk_add_f32 v[6:7], v[12:13], v[16:17]
	global_store_dwordx2 v[10:11], v[6:7], off offset:384
	global_load_dwordx2 v[6:7], v[8:9], off
	v_pk_mul_f32 v[10:11], v[72:73], s[0:1] op_sel_hi:[0,1]
	v_pk_fma_f32 v[12:13], v[70:71], s[0:1], v[10:11] op_sel:[0,1,0] op_sel_hi:[1,0,1] neg_lo:[0,0,1] neg_hi:[0,0,1]
	v_pk_fma_f32 v[10:11], v[70:71], s[0:1], v[10:11] op_sel:[0,1,0] op_sel_hi:[0,0,1]
	v_mov_b32_e32 v13, v11
	v_lshl_add_u64 v[10:11], v[2:3], 0, v[0:1]
	v_lshl_add_u64 v[2:3], v[2:3], 0, s[8:9]
	;; [unrolled: 1-line block ×3, first 2 shown]
	s_waitcnt vmcnt(0)
	v_pk_mul_f32 v[14:15], v[6:7], s[2:3] op_sel_hi:[1,0]
	s_nop 0
	v_pk_fma_f32 v[16:17], v[6:7], s[6:7], v[14:15] op_sel:[0,0,1] op_sel_hi:[1,1,0] neg_lo:[0,0,1] neg_hi:[0,0,1]
	v_pk_fma_f32 v[6:7], v[6:7], s[6:7], v[14:15] op_sel:[0,0,1] op_sel_hi:[1,0,0]
	s_nop 0
	v_mov_b32_e32 v17, v7
	v_pk_add_f32 v[6:7], v[12:13], v[16:17]
	global_store_dwordx2 v[10:11], v[6:7], off
	global_load_dwordx2 v[6:7], v[8:9], off offset:128
	v_pk_mul_f32 v[12:13], v[68:69], s[0:1] op_sel_hi:[0,1]
	v_pk_fma_f32 v[14:15], v[66:67], s[0:1], v[12:13] op_sel:[0,1,0] op_sel_hi:[1,0,1] neg_lo:[0,0,1] neg_hi:[0,0,1]
	v_pk_fma_f32 v[12:13], v[66:67], s[0:1], v[12:13] op_sel:[0,1,0] op_sel_hi:[0,0,1]
	v_mov_b32_e32 v15, v13
	s_waitcnt vmcnt(0)
	v_pk_mul_f32 v[12:13], v[6:7], s[2:3] op_sel_hi:[1,0]
	s_nop 0
	v_pk_fma_f32 v[16:17], v[6:7], s[6:7], v[12:13] op_sel:[0,0,1] op_sel_hi:[1,1,0] neg_lo:[0,0,1] neg_hi:[0,0,1]
	v_pk_fma_f32 v[6:7], v[6:7], s[6:7], v[12:13] op_sel:[0,0,1] op_sel_hi:[1,0,0]
	v_pk_mul_f32 v[12:13], v[64:65], s[0:1] op_sel_hi:[0,1]
	v_mov_b32_e32 v17, v7
	v_pk_add_f32 v[6:7], v[14:15], v[16:17]
	global_store_dwordx2 v[10:11], v[6:7], off offset:128
	global_load_dwordx2 v[6:7], v[8:9], off offset:256
	v_pk_fma_f32 v[14:15], v[62:63], s[0:1], v[12:13] op_sel:[0,1,0] op_sel_hi:[1,0,1] neg_lo:[0,0,1] neg_hi:[0,0,1]
	v_pk_fma_f32 v[12:13], v[62:63], s[0:1], v[12:13] op_sel:[0,1,0] op_sel_hi:[0,0,1]
	v_mov_b32_e32 v15, v13
	s_waitcnt vmcnt(0)
	v_pk_mul_f32 v[12:13], v[6:7], s[2:3] op_sel_hi:[1,0]
	s_nop 0
	v_pk_fma_f32 v[16:17], v[6:7], s[6:7], v[12:13] op_sel:[0,0,1] op_sel_hi:[1,1,0] neg_lo:[0,0,1] neg_hi:[0,0,1]
	v_pk_fma_f32 v[6:7], v[6:7], s[6:7], v[12:13] op_sel:[0,0,1] op_sel_hi:[1,0,0]
	s_nop 0
	v_mov_b32_e32 v17, v7
	v_pk_add_f32 v[6:7], v[14:15], v[16:17]
	global_store_dwordx2 v[10:11], v[6:7], off offset:256
	global_load_dwordx2 v[6:7], v[8:9], off offset:384
	v_pk_mul_f32 v[8:9], v[60:61], s[0:1] op_sel_hi:[0,1]
	v_pk_fma_f32 v[12:13], v[56:57], s[0:1], v[8:9] op_sel:[0,1,0] op_sel_hi:[1,0,1] neg_lo:[0,0,1] neg_hi:[0,0,1]
	v_pk_fma_f32 v[8:9], v[56:57], s[0:1], v[8:9] op_sel:[0,1,0] op_sel_hi:[0,0,1]
	v_mov_b32_e32 v13, v9
	s_waitcnt vmcnt(0)
	v_pk_mul_f32 v[8:9], v[6:7], s[2:3] op_sel_hi:[1,0]
	s_nop 0
	v_pk_fma_f32 v[14:15], v[6:7], s[6:7], v[8:9] op_sel:[0,0,1] op_sel_hi:[1,1,0] neg_lo:[0,0,1] neg_hi:[0,0,1]
	v_pk_fma_f32 v[6:7], v[6:7], s[6:7], v[8:9] op_sel:[0,0,1] op_sel_hi:[1,0,0]
	v_pk_mul_f32 v[8:9], v[48:49], s[0:1] op_sel_hi:[0,1]
	v_mov_b32_e32 v15, v7
	v_pk_add_f32 v[6:7], v[12:13], v[14:15]
	global_store_dwordx2 v[10:11], v[6:7], off offset:384
	global_load_dwordx2 v[6:7], v[4:5], off
	v_pk_fma_f32 v[10:11], v[46:47], s[0:1], v[8:9] op_sel:[0,1,0] op_sel_hi:[1,0,1] neg_lo:[0,0,1] neg_hi:[0,0,1]
	v_pk_fma_f32 v[8:9], v[46:47], s[0:1], v[8:9] op_sel:[0,1,0] op_sel_hi:[0,0,1]
	v_mov_b32_e32 v11, v9
	s_waitcnt vmcnt(0)
	v_pk_mul_f32 v[2:3], v[6:7], s[2:3] op_sel_hi:[1,0]
	s_nop 0
	v_pk_fma_f32 v[8:9], v[6:7], s[6:7], v[2:3] op_sel:[0,0,1] op_sel_hi:[1,1,0] neg_lo:[0,0,1] neg_hi:[0,0,1]
	v_pk_fma_f32 v[2:3], v[6:7], s[6:7], v[2:3] op_sel:[0,0,1] op_sel_hi:[1,0,0]
	v_pk_mul_f32 v[6:7], v[44:45], s[0:1] op_sel_hi:[0,1]
	v_mov_b32_e32 v9, v3
	v_pk_add_f32 v[2:3], v[10:11], v[8:9]
	global_store_dwordx2 v[0:1], v[2:3], off
	global_load_dwordx2 v[2:3], v[4:5], off offset:128
	v_pk_fma_f32 v[8:9], v[42:43], s[0:1], v[6:7] op_sel:[0,1,0] op_sel_hi:[1,0,1] neg_lo:[0,0,1] neg_hi:[0,0,1]
	v_pk_fma_f32 v[6:7], v[42:43], s[0:1], v[6:7] op_sel:[0,1,0] op_sel_hi:[0,0,1]
	v_mov_b32_e32 v9, v7
	s_waitcnt vmcnt(0)
	v_pk_mul_f32 v[6:7], v[2:3], s[2:3] op_sel_hi:[1,0]
	s_nop 0
	v_pk_fma_f32 v[10:11], v[2:3], s[6:7], v[6:7] op_sel:[0,0,1] op_sel_hi:[1,1,0] neg_lo:[0,0,1] neg_hi:[0,0,1]
	v_pk_fma_f32 v[2:3], v[2:3], s[6:7], v[6:7] op_sel:[0,0,1] op_sel_hi:[1,0,0]
	v_mov_b32_e32 v6, v41
	v_mov_b32_e32 v11, v3
	v_pk_add_f32 v[2:3], v[8:9], v[10:11]
	global_store_dwordx2 v[0:1], v[2:3], off offset:128
	global_load_dwordx2 v[2:3], v[4:5], off offset:256
	v_pk_mul_f32 v[6:7], v[6:7], s[0:1] op_sel_hi:[0,1]
	v_pk_fma_f32 v[8:9], v[40:41], s[0:1], v[6:7] op_sel:[0,1,0] op_sel_hi:[1,0,1] neg_lo:[0,0,1] neg_hi:[0,0,1]
	v_pk_fma_f32 v[6:7], v[40:41], s[0:1], v[6:7] op_sel:[0,1,0] op_sel_hi:[0,0,1]
	v_mov_b32_e32 v9, v7
	s_waitcnt vmcnt(0)
	v_pk_mul_f32 v[6:7], v[2:3], s[2:3] op_sel_hi:[1,0]
	s_nop 0
	v_pk_fma_f32 v[10:11], v[2:3], s[6:7], v[6:7] op_sel:[0,0,1] op_sel_hi:[1,1,0] neg_lo:[0,0,1] neg_hi:[0,0,1]
	v_pk_fma_f32 v[2:3], v[2:3], s[6:7], v[6:7] op_sel:[0,0,1] op_sel_hi:[1,0,0]
	v_mov_b32_e32 v6, v58
	v_mov_b32_e32 v11, v3
	v_pk_add_f32 v[2:3], v[8:9], v[10:11]
	global_store_dwordx2 v[0:1], v[2:3], off offset:256
	global_load_dwordx2 v[2:3], v[4:5], off offset:384
	v_mul_f32_e32 v4, s1, v58
	s_mov_b32 s1, s7
	s_mov_b64 s[2:3], 0x180
	v_fma_f32 v8, -v59, s0, v4
	v_lshl_add_u64 v[4:5], v[0:1], 0, s[2:3]
	s_waitcnt vmcnt(0)
	v_mul_f32_e32 v9, s7, v3
	v_mov_b32_e32 v7, v2
	v_fma_f32 v9, v2, s6, -v9
	v_mov_b32_e32 v2, v59
	v_pk_mul_f32 v[2:3], v[2:3], s[10:11]
	v_add_f32_e32 v8, v8, v9
	v_pk_fma_f32 v[2:3], v[6:7], s[0:1], v[2:3]
	global_store_dword v[0:1], v8, off offset:384
	v_add_f32_e32 v6, v2, v3
.LBB95_7:
	global_store_dword v[4:5], v6, off offset:4
	s_endpgm
	.section	.rodata,"a",@progbits
	.p2align	6, 0x0
	.amdhsa_kernel _ZN12_GLOBAL__N_127rocblas_gemm_batched_kernelI19rocblas_complex_numIfELi16ELi16ELi64ELi64ELi4ELi64ELi4ELi4ELi64ELc67ELc84EKS2_S3_S2_EEvlllT_PT11_llS6_llS4_PT12_llPT13_lli
		.amdhsa_group_segment_fixed_size 4096
		.amdhsa_private_segment_fixed_size 0
		.amdhsa_kernarg_size 140
		.amdhsa_user_sgpr_count 2
		.amdhsa_user_sgpr_dispatch_ptr 0
		.amdhsa_user_sgpr_queue_ptr 0
		.amdhsa_user_sgpr_kernarg_segment_ptr 1
		.amdhsa_user_sgpr_dispatch_id 0
		.amdhsa_user_sgpr_kernarg_preload_length 0
		.amdhsa_user_sgpr_kernarg_preload_offset 0
		.amdhsa_user_sgpr_private_segment_size 0
		.amdhsa_uses_dynamic_stack 0
		.amdhsa_enable_private_segment 0
		.amdhsa_system_sgpr_workgroup_id_x 1
		.amdhsa_system_sgpr_workgroup_id_y 1
		.amdhsa_system_sgpr_workgroup_id_z 1
		.amdhsa_system_sgpr_workgroup_info 0
		.amdhsa_system_vgpr_workitem_id 1
		.amdhsa_next_free_vgpr 108
		.amdhsa_next_free_sgpr 28
		.amdhsa_accum_offset 108
		.amdhsa_reserve_vcc 1
		.amdhsa_float_round_mode_32 0
		.amdhsa_float_round_mode_16_64 0
		.amdhsa_float_denorm_mode_32 3
		.amdhsa_float_denorm_mode_16_64 3
		.amdhsa_dx10_clamp 1
		.amdhsa_ieee_mode 1
		.amdhsa_fp16_overflow 0
		.amdhsa_tg_split 0
		.amdhsa_exception_fp_ieee_invalid_op 0
		.amdhsa_exception_fp_denorm_src 0
		.amdhsa_exception_fp_ieee_div_zero 0
		.amdhsa_exception_fp_ieee_overflow 0
		.amdhsa_exception_fp_ieee_underflow 0
		.amdhsa_exception_fp_ieee_inexact 0
		.amdhsa_exception_int_div_zero 0
	.end_amdhsa_kernel
	.section	.text._ZN12_GLOBAL__N_127rocblas_gemm_batched_kernelI19rocblas_complex_numIfELi16ELi16ELi64ELi64ELi4ELi64ELi4ELi4ELi64ELc67ELc84EKS2_S3_S2_EEvlllT_PT11_llS6_llS4_PT12_llPT13_lli,"axG",@progbits,_ZN12_GLOBAL__N_127rocblas_gemm_batched_kernelI19rocblas_complex_numIfELi16ELi16ELi64ELi64ELi4ELi64ELi4ELi4ELi64ELc67ELc84EKS2_S3_S2_EEvlllT_PT11_llS6_llS4_PT12_llPT13_lli,comdat
.Lfunc_end95:
	.size	_ZN12_GLOBAL__N_127rocblas_gemm_batched_kernelI19rocblas_complex_numIfELi16ELi16ELi64ELi64ELi4ELi64ELi4ELi4ELi64ELc67ELc84EKS2_S3_S2_EEvlllT_PT11_llS6_llS4_PT12_llPT13_lli, .Lfunc_end95-_ZN12_GLOBAL__N_127rocblas_gemm_batched_kernelI19rocblas_complex_numIfELi16ELi16ELi64ELi64ELi4ELi64ELi4ELi4ELi64ELc67ELc84EKS2_S3_S2_EEvlllT_PT11_llS6_llS4_PT12_llPT13_lli
                                        ; -- End function
	.set _ZN12_GLOBAL__N_127rocblas_gemm_batched_kernelI19rocblas_complex_numIfELi16ELi16ELi64ELi64ELi4ELi64ELi4ELi4ELi64ELc67ELc84EKS2_S3_S2_EEvlllT_PT11_llS6_llS4_PT12_llPT13_lli.num_vgpr, 108
	.set _ZN12_GLOBAL__N_127rocblas_gemm_batched_kernelI19rocblas_complex_numIfELi16ELi16ELi64ELi64ELi4ELi64ELi4ELi4ELi64ELc67ELc84EKS2_S3_S2_EEvlllT_PT11_llS6_llS4_PT12_llPT13_lli.num_agpr, 0
	.set _ZN12_GLOBAL__N_127rocblas_gemm_batched_kernelI19rocblas_complex_numIfELi16ELi16ELi64ELi64ELi4ELi64ELi4ELi4ELi64ELc67ELc84EKS2_S3_S2_EEvlllT_PT11_llS6_llS4_PT12_llPT13_lli.numbered_sgpr, 28
	.set _ZN12_GLOBAL__N_127rocblas_gemm_batched_kernelI19rocblas_complex_numIfELi16ELi16ELi64ELi64ELi4ELi64ELi4ELi4ELi64ELc67ELc84EKS2_S3_S2_EEvlllT_PT11_llS6_llS4_PT12_llPT13_lli.num_named_barrier, 0
	.set _ZN12_GLOBAL__N_127rocblas_gemm_batched_kernelI19rocblas_complex_numIfELi16ELi16ELi64ELi64ELi4ELi64ELi4ELi4ELi64ELc67ELc84EKS2_S3_S2_EEvlllT_PT11_llS6_llS4_PT12_llPT13_lli.private_seg_size, 0
	.set _ZN12_GLOBAL__N_127rocblas_gemm_batched_kernelI19rocblas_complex_numIfELi16ELi16ELi64ELi64ELi4ELi64ELi4ELi4ELi64ELc67ELc84EKS2_S3_S2_EEvlllT_PT11_llS6_llS4_PT12_llPT13_lli.uses_vcc, 1
	.set _ZN12_GLOBAL__N_127rocblas_gemm_batched_kernelI19rocblas_complex_numIfELi16ELi16ELi64ELi64ELi4ELi64ELi4ELi4ELi64ELc67ELc84EKS2_S3_S2_EEvlllT_PT11_llS6_llS4_PT12_llPT13_lli.uses_flat_scratch, 0
	.set _ZN12_GLOBAL__N_127rocblas_gemm_batched_kernelI19rocblas_complex_numIfELi16ELi16ELi64ELi64ELi4ELi64ELi4ELi4ELi64ELc67ELc84EKS2_S3_S2_EEvlllT_PT11_llS6_llS4_PT12_llPT13_lli.has_dyn_sized_stack, 0
	.set _ZN12_GLOBAL__N_127rocblas_gemm_batched_kernelI19rocblas_complex_numIfELi16ELi16ELi64ELi64ELi4ELi64ELi4ELi4ELi64ELc67ELc84EKS2_S3_S2_EEvlllT_PT11_llS6_llS4_PT12_llPT13_lli.has_recursion, 0
	.set _ZN12_GLOBAL__N_127rocblas_gemm_batched_kernelI19rocblas_complex_numIfELi16ELi16ELi64ELi64ELi4ELi64ELi4ELi4ELi64ELc67ELc84EKS2_S3_S2_EEvlllT_PT11_llS6_llS4_PT12_llPT13_lli.has_indirect_call, 0
	.section	.AMDGPU.csdata,"",@progbits
; Kernel info:
; codeLenInByte = 5208
; TotalNumSgprs: 34
; NumVgprs: 108
; NumAgprs: 0
; TotalNumVgprs: 108
; ScratchSize: 0
; MemoryBound: 0
; FloatMode: 240
; IeeeMode: 1
; LDSByteSize: 4096 bytes/workgroup (compile time only)
; SGPRBlocks: 4
; VGPRBlocks: 13
; NumSGPRsForWavesPerEU: 34
; NumVGPRsForWavesPerEU: 108
; AccumOffset: 108
; Occupancy: 4
; WaveLimiterHint : 1
; COMPUTE_PGM_RSRC2:SCRATCH_EN: 0
; COMPUTE_PGM_RSRC2:USER_SGPR: 2
; COMPUTE_PGM_RSRC2:TRAP_HANDLER: 0
; COMPUTE_PGM_RSRC2:TGID_X_EN: 1
; COMPUTE_PGM_RSRC2:TGID_Y_EN: 1
; COMPUTE_PGM_RSRC2:TGID_Z_EN: 1
; COMPUTE_PGM_RSRC2:TIDIG_COMP_CNT: 1
; COMPUTE_PGM_RSRC3_GFX90A:ACCUM_OFFSET: 26
; COMPUTE_PGM_RSRC3_GFX90A:TG_SPLIT: 0
	.section	.text._ZN12_GLOBAL__N_127rocblas_gemm_batched_kernelI19rocblas_complex_numIfELi16ELi16ELi64ELi64ELi4ELi64ELi4ELi4ELi64ELc78ELc67EKS2_S3_S2_EEvlllT_PT11_llS6_llS4_PT12_llPT13_lli,"axG",@progbits,_ZN12_GLOBAL__N_127rocblas_gemm_batched_kernelI19rocblas_complex_numIfELi16ELi16ELi64ELi64ELi4ELi64ELi4ELi4ELi64ELc78ELc67EKS2_S3_S2_EEvlllT_PT11_llS6_llS4_PT12_llPT13_lli,comdat
	.globl	_ZN12_GLOBAL__N_127rocblas_gemm_batched_kernelI19rocblas_complex_numIfELi16ELi16ELi64ELi64ELi4ELi64ELi4ELi4ELi64ELc78ELc67EKS2_S3_S2_EEvlllT_PT11_llS6_llS4_PT12_llPT13_lli ; -- Begin function _ZN12_GLOBAL__N_127rocblas_gemm_batched_kernelI19rocblas_complex_numIfELi16ELi16ELi64ELi64ELi4ELi64ELi4ELi4ELi64ELc78ELc67EKS2_S3_S2_EEvlllT_PT11_llS6_llS4_PT12_llPT13_lli
	.p2align	8
	.type	_ZN12_GLOBAL__N_127rocblas_gemm_batched_kernelI19rocblas_complex_numIfELi16ELi16ELi64ELi64ELi4ELi64ELi4ELi4ELi64ELc78ELc67EKS2_S3_S2_EEvlllT_PT11_llS6_llS4_PT12_llPT13_lli,@function
_ZN12_GLOBAL__N_127rocblas_gemm_batched_kernelI19rocblas_complex_numIfELi16ELi16ELi64ELi64ELi4ELi64ELi4ELi4ELi64ELc78ELc67EKS2_S3_S2_EEvlllT_PT11_llS6_llS4_PT12_llPT13_lli: ; @_ZN12_GLOBAL__N_127rocblas_gemm_batched_kernelI19rocblas_complex_numIfELi16ELi16ELi64ELi64ELi4ELi64ELi4ELi4ELi64ELc78ELc67EKS2_S3_S2_EEvlllT_PT11_llS6_llS4_PT12_llPT13_lli
; %bb.0:
	s_load_dwordx16 s[8:23], s[0:1], 0x10
	s_load_dwordx2 s[6:7], s[0:1], 0x50
	s_mov_b32 s24, s3
	v_mov_b32_e32 v39, 0
	s_ashr_i32 s3, s2, 31
	s_ashr_i32 s25, s24, 31
	s_waitcnt lgkmcnt(0)
	v_cmp_lt_i64_e64 s[26:27], s[8:9], 1
	v_bfe_u32 v38, v0, 10, 10
	v_and_b32_e32 v36, 0x3ff, v0
	v_mov_b32_e32 v37, v39
	s_lshl_b64 s[2:3], s[2:3], 6
	s_lshl_b64 s[24:25], s[24:25], 6
	s_and_b64 vcc, exec, s[26:27]
	v_mov_b32_e32 v59, v39
	v_mov_b32_e32 v58, v39
	;; [unrolled: 1-line block ×32, first 2 shown]
	s_cbranch_vccnz .LBB96_3
; %bb.1:
	v_lshl_add_u32 v4, v38, 4, v36
	v_lshrrev_b32_e32 v40, 2, v4
	v_mov_b32_e32 v41, 0
	v_lshl_add_u64 v[0:1], v[40:41], 0, s[24:25]
	v_and_b32_e32 v5, 3, v36
	v_mad_u64_u32 v[0:1], s[26:27], s20, v5, v[0:1]
	v_mov_b32_e32 v2, v1
	v_mad_u64_u32 v[2:3], s[26:27], s21, v5, v[2:3]
	v_mov_b32_e32 v1, v2
	v_and_b32_e32 v2, 63, v4
	v_lshrrev_b32_e32 v7, 6, v4
	v_lshlrev_b32_e32 v4, 3, v2
	v_lshl_or_b32 v43, v7, 9, v4
	v_lshlrev_b32_e32 v4, 3, v5
	v_lshl_or_b32 v4, v40, 5, v4
	v_add_u32_e32 v45, 0x800, v4
	v_mov_b32_e32 v4, 0x800
	v_lshl_add_u32 v49, v38, 5, v4
	v_mov_b64_e32 v[4:5], s[2:3]
	s_mul_i32 s5, s17, s4
	s_mul_hi_u32 s17, s16, s4
	v_mad_u64_u32 v[4:5], s[26:27], s14, v7, v[4:5]
	s_add_i32 s17, s17, s5
	s_mul_i32 s16, s16, s4
	v_mov_b32_e32 v6, v5
	s_lshl_b64 s[16:17], s[16:17], 3
	v_mad_u64_u32 v[6:7], s[26:27], s15, v7, v[6:7]
	v_mov_b32_e32 v3, v41
	v_mov_b32_e32 v5, v6
	s_add_u32 s12, s12, s16
	v_lshl_add_u64 v[2:3], v[4:5], 0, v[2:3]
	s_addc_u32 s13, s13, s17
	v_lshl_add_u64 v[50:51], v[2:3], 3, s[12:13]
	s_lshl_b64 s[12:13], s[14:15], 5
	s_mul_i32 s5, s23, s4
	s_mul_hi_u32 s14, s22, s4
	s_add_i32 s15, s14, s5
	s_mul_i32 s14, s22, s4
	s_lshl_b64 s[14:15], s[14:15], 3
	s_add_u32 s14, s18, s14
	s_addc_u32 s15, s19, s15
	v_lshl_add_u64 v[0:1], v[0:1], 3, s[14:15]
	v_lshlrev_b32_e32 v47, 3, v36
	v_lshl_add_u64 v[52:53], v[0:1], 0, 4
	s_lshl_b64 s[14:15], s[20:21], 5
	s_mov_b64 s[16:17], 0
	v_mov_b64_e32 v[54:55], s[8:9]
	v_mov_b32_e32 v40, v41
	v_mov_b32_e32 v44, v41
	v_mov_b32_e32 v42, v41
	v_mov_b32_e32 v48, v41
	v_mov_b32_e32 v46, v41
	v_mov_b32_e32 v60, v41
	v_mov_b32_e32 v56, v41
	v_mov_b32_e32 v64, v41
	v_mov_b32_e32 v62, v41
	v_mov_b32_e32 v68, v41
	v_mov_b32_e32 v66, v41
	v_mov_b32_e32 v72, v41
	v_mov_b32_e32 v70, v41
	v_mov_b32_e32 v76, v41
	v_mov_b32_e32 v74, v41
	v_mov_b32_e32 v80, v41
	v_mov_b32_e32 v78, v41
	v_mov_b32_e32 v84, v41
	v_mov_b32_e32 v82, v41
	v_mov_b32_e32 v88, v41
	v_mov_b32_e32 v86, v41
	v_mov_b32_e32 v58, v41
	v_mov_b32_e32 v59, v41
	v_mov_b32_e32 v92, v41
	v_mov_b32_e32 v90, v41
	v_mov_b32_e32 v96, v41
	v_mov_b32_e32 v94, v41
	v_mov_b32_e32 v100, v41
	v_mov_b32_e32 v98, v41
	v_mov_b32_e32 v104, v41
	v_mov_b32_e32 v102, v41
.LBB96_2:                               ; =>This Inner Loop Header: Depth=1
	global_load_dwordx2 v[0:1], v[50:51], off
	s_add_u32 s16, s16, 4
	s_addc_u32 s17, s17, 0
	v_cmp_lt_i64_e32 vcc, s[16:17], v[54:55]
	v_lshl_add_u64 v[50:51], v[50:51], 0, s[12:13]
	s_and_b64 vcc, exec, vcc
	s_waitcnt vmcnt(0)
	ds_write_b64 v43, v[0:1]
	global_load_dwordx2 v[0:1], v[52:53], off offset:-4
	v_lshl_add_u64 v[52:53], v[52:53], 0, s[14:15]
	s_waitcnt vmcnt(0)
	v_xor_b32_e32 v1, 0x80000000, v1
	ds_write_b64 v45, v[0:1]
	s_waitcnt lgkmcnt(0)
	s_barrier
	ds_read_b128 v[0:3], v49
	ds_read_b128 v[32:35], v49 offset:16
	ds_read2_b64 v[8:11], v47 offset1:16
	ds_read2_b64 v[12:15], v47 offset0:32 offset1:48
	s_waitcnt lgkmcnt(1)
	v_mul_f32_e32 v4, v1, v9
	v_fma_f32 v4, v0, v8, -v4
	v_mul_f32_e32 v5, v0, v9
	v_add_f32_e32 v20, v102, v4
	v_mul_f32_e32 v4, v1, v11
	v_fmac_f32_e32 v5, v1, v8
	v_fma_f32 v4, v0, v10, -v4
	v_add_f32_e32 v21, v104, v5
	v_mul_f32_e32 v5, v0, v11
	v_add_f32_e32 v22, v98, v4
	s_waitcnt lgkmcnt(0)
	v_mul_f32_e32 v4, v1, v13
	v_fmac_f32_e32 v5, v1, v10
	v_fma_f32 v4, v0, v12, -v4
	v_add_f32_e32 v23, v100, v5
	v_mul_f32_e32 v5, v0, v13
	v_add_f32_e32 v57, v94, v4
	v_mul_f32_e32 v4, v1, v15
	v_fmac_f32_e32 v5, v1, v12
	v_fma_f32 v4, v0, v14, -v4
	v_mul_f32_e32 v0, v0, v15
	v_add_f32_e32 v61, v96, v5
	v_fmac_f32_e32 v0, v1, v14
	v_add_f32_e32 v1, v90, v4
	ds_read_b128 v[4:7], v49 offset:512
	ds_read_b128 v[104:107], v49 offset:1040
	v_add_f32_e32 v0, v92, v0
	s_waitcnt lgkmcnt(1)
	v_mul_f32_e32 v16, v5, v9
	v_fma_f32 v16, v4, v8, -v16
	v_mul_f32_e32 v17, v4, v9
	v_add_f32_e32 v63, v86, v16
	v_mul_f32_e32 v16, v5, v11
	v_fmac_f32_e32 v17, v5, v8
	v_fma_f32 v16, v4, v10, -v16
	v_add_f32_e32 v65, v88, v17
	v_mul_f32_e32 v17, v4, v11
	v_add_f32_e32 v67, v82, v16
	v_mul_f32_e32 v16, v5, v13
	v_fmac_f32_e32 v17, v5, v10
	v_fma_f32 v16, v4, v12, -v16
	v_add_f32_e32 v69, v84, v17
	v_mul_f32_e32 v17, v4, v13
	v_add_f32_e32 v71, v78, v16
	v_mul_f32_e32 v16, v5, v15
	v_fmac_f32_e32 v17, v5, v12
	v_fma_f32 v16, v4, v14, -v16
	v_mul_f32_e32 v4, v4, v15
	v_add_f32_e32 v73, v80, v17
	v_fmac_f32_e32 v4, v5, v14
	v_add_f32_e32 v5, v74, v16
	ds_read_b128 v[16:19], v49 offset:1024
	v_add_f32_e32 v4, v76, v4
	s_waitcnt lgkmcnt(0)
	v_mul_f32_e32 v24, v17, v9
	v_fma_f32 v24, v16, v8, -v24
	v_mul_f32_e32 v25, v16, v9
	v_add_f32_e32 v70, v70, v24
	v_mul_f32_e32 v24, v17, v11
	v_fmac_f32_e32 v25, v17, v8
	v_fma_f32 v24, v16, v10, -v24
	v_add_f32_e32 v72, v72, v25
	v_mul_f32_e32 v25, v16, v11
	v_add_f32_e32 v66, v66, v24
	v_mul_f32_e32 v24, v17, v13
	v_fmac_f32_e32 v25, v17, v10
	v_fma_f32 v24, v16, v12, -v24
	v_add_f32_e32 v68, v68, v25
	v_mul_f32_e32 v25, v16, v13
	v_add_f32_e32 v62, v62, v24
	v_mul_f32_e32 v24, v17, v15
	v_fmac_f32_e32 v25, v17, v12
	v_fma_f32 v24, v16, v14, -v24
	v_mul_f32_e32 v16, v16, v15
	v_add_f32_e32 v64, v64, v25
	v_fmac_f32_e32 v16, v17, v14
	v_add_f32_e32 v17, v56, v24
	ds_read2_b64 v[24:27], v47 offset0:64 offset1:80
	v_add_f32_e32 v16, v60, v16
	s_waitcnt lgkmcnt(0)
	v_mul_f32_e32 v28, v3, v25
	v_mul_f32_e32 v29, v2, v25
	v_fma_f32 v28, v2, v24, -v28
	v_fmac_f32_e32 v29, v3, v24
	v_add_f32_e32 v20, v20, v28
	v_add_f32_e32 v21, v21, v29
	v_mul_f32_e32 v28, v3, v27
	v_mul_f32_e32 v29, v2, v27
	v_fma_f32 v28, v2, v26, -v28
	v_fmac_f32_e32 v29, v3, v26
	v_add_f32_e32 v22, v22, v28
	v_add_f32_e32 v23, v23, v29
	ds_read2_b64 v[28:31], v47 offset0:96 offset1:112
	s_waitcnt lgkmcnt(0)
	v_mul_f32_e32 v56, v3, v29
	v_mul_f32_e32 v60, v2, v29
	v_fma_f32 v56, v2, v28, -v56
	v_fmac_f32_e32 v60, v3, v28
	v_add_f32_e32 v56, v57, v56
	v_add_f32_e32 v57, v61, v60
	v_mul_f32_e32 v60, v3, v31
	v_fma_f32 v60, v2, v30, -v60
	v_mul_f32_e32 v2, v2, v31
	v_fmac_f32_e32 v2, v3, v30
	v_add_f32_e32 v60, v1, v60
	v_add_f32_e32 v61, v0, v2
	v_mul_f32_e32 v0, v7, v25
	v_mul_f32_e32 v1, v6, v25
	v_fma_f32 v0, v6, v24, -v0
	v_fmac_f32_e32 v1, v7, v24
	v_add_f32_e32 v74, v63, v0
	v_add_f32_e32 v65, v65, v1
	v_mul_f32_e32 v0, v7, v27
	v_mul_f32_e32 v1, v6, v27
	v_fma_f32 v0, v6, v26, -v0
	;; [unrolled: 6-line block ×6, first 2 shown]
	v_fmac_f32_e32 v1, v19, v26
	ds_read2_b64 v[4:7], v47 offset0:128 offset1:144
	v_add_f32_e32 v66, v66, v0
	v_add_f32_e32 v68, v68, v1
	v_mul_f32_e32 v0, v19, v29
	v_mul_f32_e32 v1, v18, v29
	v_fma_f32 v0, v18, v28, -v0
	v_fmac_f32_e32 v1, v19, v28
	v_add_f32_e32 v77, v62, v0
	v_add_f32_e32 v64, v64, v1
	v_mul_f32_e32 v0, v19, v31
	v_mul_f32_e32 v1, v18, v31
	v_fma_f32 v0, v18, v30, -v0
	v_fmac_f32_e32 v1, v19, v30
	v_add_f32_e32 v17, v17, v0
	v_add_f32_e32 v16, v16, v1
	s_waitcnt lgkmcnt(0)
	v_mul_f32_e32 v0, v33, v5
	v_mul_f32_e32 v1, v32, v5
	v_fma_f32 v0, v32, v4, -v0
	v_fmac_f32_e32 v1, v33, v4
	v_add_f32_e32 v18, v20, v0
	v_add_f32_e32 v19, v21, v1
	v_mul_f32_e32 v0, v33, v7
	v_mul_f32_e32 v1, v32, v7
	v_fma_f32 v0, v32, v6, -v0
	v_fmac_f32_e32 v1, v33, v6
	v_add_f32_e32 v78, v22, v0
	v_add_f32_e32 v79, v23, v1
	ds_read2_b64 v[0:3], v47 offset0:160 offset1:176
	s_waitcnt lgkmcnt(0)
	v_mul_f32_e32 v20, v33, v1
	v_mul_f32_e32 v21, v32, v1
	v_fma_f32 v20, v32, v0, -v20
	v_fmac_f32_e32 v21, v33, v0
	v_add_f32_e32 v56, v56, v20
	v_add_f32_e32 v57, v57, v21
	v_mul_f32_e32 v20, v33, v3
	v_mul_f32_e32 v21, v32, v3
	v_fma_f32 v20, v32, v2, -v20
	v_fmac_f32_e32 v21, v33, v2
	v_add_f32_e32 v32, v60, v20
	v_add_f32_e32 v33, v61, v21
	ds_read_b128 v[60:63], v49 offset:528
	s_waitcnt lgkmcnt(0)
	v_mul_f32_e32 v20, v61, v5
	v_mul_f32_e32 v21, v60, v5
	v_fma_f32 v20, v60, v4, -v20
	v_fmac_f32_e32 v21, v61, v4
	v_add_f32_e32 v74, v74, v20
	v_add_f32_e32 v65, v65, v21
	v_mul_f32_e32 v20, v61, v7
	v_mul_f32_e32 v21, v60, v7
	v_fma_f32 v20, v60, v6, -v20
	v_fmac_f32_e32 v21, v61, v6
	v_add_f32_e32 v67, v67, v20
	v_add_f32_e32 v69, v69, v21
	;; [unrolled: 6-line block ×8, first 2 shown]
	ds_read2_b64 v[20:23], v47 offset0:192 offset1:208
	s_waitcnt lgkmcnt(0)
	v_mul_f32_e32 v16, v35, v21
	v_mul_f32_e32 v17, v34, v21
	v_fma_f32 v16, v34, v20, -v16
	v_fmac_f32_e32 v17, v35, v20
	v_add_f32_e32 v102, v18, v16
	v_add_f32_e32 v104, v19, v17
	v_mul_f32_e32 v16, v35, v23
	v_mul_f32_e32 v17, v34, v23
	v_fma_f32 v16, v34, v22, -v16
	v_fmac_f32_e32 v17, v35, v22
	v_add_f32_e32 v98, v78, v16
	v_add_f32_e32 v100, v79, v17
	ds_read2_b64 v[16:19], v47 offset0:224 offset1:240
	s_waitcnt lgkmcnt(0)
	v_mul_f32_e32 v76, v35, v17
	v_fma_f32 v76, v34, v16, -v76
	v_add_f32_e32 v94, v56, v76
	v_mul_f32_e32 v56, v35, v19
	v_mul_f32_e32 v78, v34, v17
	v_fma_f32 v56, v34, v18, -v56
	v_mul_f32_e32 v34, v34, v19
	v_fmac_f32_e32 v34, v35, v18
	v_add_f32_e32 v90, v32, v56
	v_add_f32_e32 v92, v33, v34
	v_mul_f32_e32 v32, v63, v21
	v_mul_f32_e32 v33, v62, v21
	v_fma_f32 v32, v62, v20, -v32
	v_fmac_f32_e32 v33, v63, v20
	v_add_f32_e32 v86, v74, v32
	v_add_f32_e32 v88, v65, v33
	v_mul_f32_e32 v32, v63, v23
	v_mul_f32_e32 v33, v62, v23
	v_fma_f32 v32, v62, v22, -v32
	v_fmac_f32_e32 v33, v63, v22
	v_add_f32_e32 v82, v67, v32
	v_add_f32_e32 v84, v69, v33
	v_mul_f32_e32 v32, v63, v17
	v_mul_f32_e32 v33, v62, v17
	v_fmac_f32_e32 v78, v35, v16
	v_fma_f32 v32, v62, v16, -v32
	v_fmac_f32_e32 v33, v63, v16
	v_add_f32_e32 v96, v57, v78
	v_add_f32_e32 v78, v71, v32
	;; [unrolled: 1-line block ×3, first 2 shown]
	v_mul_f32_e32 v32, v63, v19
	v_mul_f32_e32 v33, v62, v19
	v_fma_f32 v32, v62, v18, -v32
	v_fmac_f32_e32 v33, v63, v18
	v_add_f32_e32 v74, v60, v32
	v_add_f32_e32 v76, v61, v33
	v_mul_f32_e32 v32, v107, v21
	v_mul_f32_e32 v33, v106, v21
	v_fma_f32 v32, v106, v20, -v32
	v_fmac_f32_e32 v33, v107, v20
	v_add_f32_e32 v70, v70, v32
	v_add_f32_e32 v72, v72, v33
	;; [unrolled: 6-line block ×5, first 2 shown]
	ds_read_b128 v[32:35], v49 offset:1536
	s_waitcnt lgkmcnt(0)
	v_mul_f32_e32 v57, v33, v9
	v_mul_f32_e32 v9, v32, v9
	v_fmac_f32_e32 v9, v33, v8
	v_fma_f32 v57, v32, v8, -v57
	v_add_f32_e32 v48, v48, v9
	v_mul_f32_e32 v8, v33, v11
	v_mul_f32_e32 v9, v32, v11
	v_fma_f32 v8, v32, v10, -v8
	v_fmac_f32_e32 v9, v33, v10
	v_add_f32_e32 v42, v42, v8
	v_add_f32_e32 v44, v44, v9
	v_mul_f32_e32 v8, v33, v13
	v_mul_f32_e32 v9, v32, v13
	v_fma_f32 v8, v32, v12, -v8
	v_fmac_f32_e32 v9, v33, v12
	v_add_f32_e32 v12, v40, v8
	v_add_f32_e32 v13, v41, v9
	v_pk_mul_f32 v[8:9], v[32:33], v[14:15] op_sel:[1,1] op_sel_hi:[0,1]
	v_pk_fma_f32 v[10:11], v[32:33], v[14:15], v[8:9] neg_lo:[0,0,1] neg_hi:[0,0,1]
	v_pk_fma_f32 v[8:9], v[32:33], v[14:15], v[8:9] op_sel_hi:[1,0,1]
	v_add_f32_e32 v46, v46, v57
	v_mov_b32_e32 v11, v9
	v_pk_add_f32 v[8:9], v[58:59], v[10:11]
	v_mul_f32_e32 v10, v35, v25
	v_mul_f32_e32 v11, v34, v25
	v_fma_f32 v10, v34, v24, -v10
	v_fmac_f32_e32 v11, v35, v24
	v_add_f32_e32 v32, v46, v10
	v_add_f32_e32 v33, v48, v11
	v_mul_f32_e32 v10, v35, v27
	v_mul_f32_e32 v11, v34, v27
	v_fma_f32 v10, v34, v26, -v10
	v_fmac_f32_e32 v11, v35, v26
	v_add_f32_e32 v24, v42, v10
	v_add_f32_e32 v25, v44, v11
	;; [unrolled: 6-line block ×3, first 2 shown]
	v_pk_mul_f32 v[10:11], v[34:35], v[30:31] op_sel:[1,1] op_sel_hi:[0,1]
	v_pk_fma_f32 v[12:13], v[34:35], v[30:31], v[10:11] neg_lo:[0,0,1] neg_hi:[0,0,1]
	v_pk_fma_f32 v[10:11], v[34:35], v[30:31], v[10:11] op_sel_hi:[1,0,1]
	s_nop 0
	v_mov_b32_e32 v13, v11
	v_pk_add_f32 v[12:13], v[8:9], v[12:13]
	ds_read_b128 v[8:11], v49 offset:1552
	s_waitcnt lgkmcnt(0)
	s_barrier
	v_mul_f32_e32 v26, v9, v5
	v_mul_f32_e32 v5, v8, v5
	v_fma_f32 v26, v8, v4, -v26
	v_fmac_f32_e32 v5, v9, v4
	v_mul_f32_e32 v4, v9, v7
	v_add_f32_e32 v27, v33, v5
	v_fma_f32 v4, v8, v6, -v4
	v_mul_f32_e32 v5, v8, v7
	v_fmac_f32_e32 v5, v9, v6
	v_add_f32_e32 v6, v24, v4
	v_mul_f32_e32 v4, v9, v1
	v_mul_f32_e32 v1, v8, v1
	v_fmac_f32_e32 v1, v9, v0
	v_fma_f32 v4, v8, v0, -v4
	v_add_f32_e32 v15, v15, v1
	v_pk_mul_f32 v[0:1], v[8:9], v[2:3] op_sel:[1,1] op_sel_hi:[0,1]
	v_add_f32_e32 v7, v25, v5
	v_add_f32_e32 v14, v14, v4
	v_pk_fma_f32 v[4:5], v[8:9], v[2:3], v[0:1] neg_lo:[0,0,1] neg_hi:[0,0,1]
	v_pk_fma_f32 v[0:1], v[8:9], v[2:3], v[0:1] op_sel_hi:[1,0,1]
	v_mul_f32_e32 v2, v11, v21
	v_mul_f32_e32 v3, v10, v21
	v_add_f32_e32 v26, v32, v26
	v_fma_f32 v2, v10, v20, -v2
	v_fmac_f32_e32 v3, v11, v20
	v_add_f32_e32 v46, v26, v2
	v_add_f32_e32 v48, v27, v3
	v_mul_f32_e32 v2, v11, v23
	v_mul_f32_e32 v3, v10, v23
	v_fma_f32 v2, v10, v22, -v2
	v_fmac_f32_e32 v3, v11, v22
	v_add_f32_e32 v42, v6, v2
	v_add_f32_e32 v44, v7, v3
	v_mul_f32_e32 v2, v11, v17
	v_mul_f32_e32 v3, v10, v17
	v_fma_f32 v2, v10, v16, -v2
	v_fmac_f32_e32 v3, v11, v16
	v_mov_b32_e32 v5, v1
	v_add_f32_e32 v40, v14, v2
	v_add_f32_e32 v41, v15, v3
	v_pk_mul_f32 v[2:3], v[10:11], v[18:19] op_sel:[1,1] op_sel_hi:[0,1]
	v_pk_add_f32 v[0:1], v[12:13], v[4:5]
	v_pk_fma_f32 v[4:5], v[10:11], v[18:19], v[2:3] neg_lo:[0,0,1] neg_hi:[0,0,1]
	v_pk_fma_f32 v[2:3], v[10:11], v[18:19], v[2:3] op_sel_hi:[1,0,1]
	s_nop 0
	v_mov_b32_e32 v5, v3
	v_pk_add_f32 v[58:59], v[0:1], v[4:5]
	s_cbranch_vccnz .LBB96_2
.LBB96_3:
	s_load_dwordx4 s[20:23], s[0:1], 0x78
	s_load_dwordx8 s[12:19], s[0:1], 0x58
	v_lshl_add_u64 v[2:3], s[24:25], 0, v[38:39]
	v_lshl_add_u64 v[0:1], s[2:3], 0, v[36:37]
	s_waitcnt lgkmcnt(0)
	s_mul_i32 s1, s23, s4
	s_mul_hi_u32 s5, s22, s4
	s_mul_i32 s0, s22, s4
	s_add_i32 s1, s5, s1
	s_lshl_b64 s[0:1], s[0:1], 3
	s_add_u32 s8, s18, s0
	s_addc_u32 s9, s19, s1
	s_or_b32 s0, s6, s7
	s_bitset0_b32 s0, 31
	s_cmp_lg_u32 s0, 0
	s_mov_b32 s0, s11
	s_mov_b32 s1, s10
	s_cbranch_scc1 .LBB96_5
; %bb.4:
	v_mul_lo_u32 v6, v3, s20
	v_mul_lo_u32 v7, v2, s21
	v_mad_u64_u32 v[4:5], s[2:3], v2, s20, 0
	v_add3_u32 v5, v5, v7, v6
	v_pk_mul_f32 v[6:7], v[104:105], s[0:1] op_sel_hi:[0,1]
	v_lshl_add_u64 v[4:5], v[4:5], 3, s[8:9]
	v_lshlrev_b64 v[8:9], 3, v[0:1]
	v_pk_fma_f32 v[12:13], v[102:103], s[0:1], v[6:7] op_sel:[0,1,0] op_sel_hi:[1,0,1] neg_lo:[0,0,1] neg_hi:[0,0,1]
	v_pk_fma_f32 v[6:7], v[102:103], s[0:1], v[6:7] op_sel:[0,1,0] op_sel_hi:[0,0,1]
	v_lshl_add_u64 v[10:11], v[4:5], 0, v[8:9]
	v_mov_b32_e32 v13, v7
	v_pk_mul_f32 v[6:7], v[100:101], s[0:1] op_sel_hi:[0,1]
	global_store_dwordx2 v[10:11], v[12:13], off
	v_pk_fma_f32 v[12:13], v[98:99], s[0:1], v[6:7] op_sel:[0,1,0] op_sel_hi:[1,0,1] neg_lo:[0,0,1] neg_hi:[0,0,1]
	v_pk_fma_f32 v[6:7], v[98:99], s[0:1], v[6:7] op_sel:[0,1,0] op_sel_hi:[0,0,1]
	v_mov_b32_e32 v13, v7
	v_pk_mul_f32 v[6:7], v[96:97], s[0:1] op_sel_hi:[0,1]
	global_store_dwordx2 v[10:11], v[12:13], off offset:128
	v_pk_fma_f32 v[12:13], v[94:95], s[0:1], v[6:7] op_sel:[0,1,0] op_sel_hi:[1,0,1] neg_lo:[0,0,1] neg_hi:[0,0,1]
	v_pk_fma_f32 v[6:7], v[94:95], s[0:1], v[6:7] op_sel:[0,1,0] op_sel_hi:[0,0,1]
	v_mov_b32_e32 v13, v7
	v_pk_mul_f32 v[6:7], v[92:93], s[0:1] op_sel_hi:[0,1]
	global_store_dwordx2 v[10:11], v[12:13], off offset:256
	v_pk_fma_f32 v[12:13], v[90:91], s[0:1], v[6:7] op_sel:[0,1,0] op_sel_hi:[1,0,1] neg_lo:[0,0,1] neg_hi:[0,0,1]
	v_pk_fma_f32 v[6:7], v[90:91], s[0:1], v[6:7] op_sel:[0,1,0] op_sel_hi:[0,0,1]
	v_mov_b32_e32 v13, v7
	s_lshl_b64 s[2:3], s[20:21], 7
	v_pk_mul_f32 v[6:7], v[88:89], s[0:1] op_sel_hi:[0,1]
	global_store_dwordx2 v[10:11], v[12:13], off offset:384
	v_lshl_add_u64 v[4:5], v[4:5], 0, s[2:3]
	v_pk_fma_f32 v[12:13], v[86:87], s[0:1], v[6:7] op_sel:[0,1,0] op_sel_hi:[1,0,1] neg_lo:[0,0,1] neg_hi:[0,0,1]
	v_pk_fma_f32 v[6:7], v[86:87], s[0:1], v[6:7] op_sel:[0,1,0] op_sel_hi:[0,0,1]
	v_lshl_add_u64 v[10:11], v[4:5], 0, v[8:9]
	v_mov_b32_e32 v13, v7
	v_pk_mul_f32 v[6:7], v[84:85], s[0:1] op_sel_hi:[0,1]
	global_store_dwordx2 v[10:11], v[12:13], off
	v_pk_fma_f32 v[12:13], v[82:83], s[0:1], v[6:7] op_sel:[0,1,0] op_sel_hi:[1,0,1] neg_lo:[0,0,1] neg_hi:[0,0,1]
	v_pk_fma_f32 v[6:7], v[82:83], s[0:1], v[6:7] op_sel:[0,1,0] op_sel_hi:[0,0,1]
	v_mov_b32_e32 v13, v7
	v_pk_mul_f32 v[6:7], v[80:81], s[0:1] op_sel_hi:[0,1]
	global_store_dwordx2 v[10:11], v[12:13], off offset:128
	v_pk_fma_f32 v[12:13], v[78:79], s[0:1], v[6:7] op_sel:[0,1,0] op_sel_hi:[1,0,1] neg_lo:[0,0,1] neg_hi:[0,0,1]
	v_pk_fma_f32 v[6:7], v[78:79], s[0:1], v[6:7] op_sel:[0,1,0] op_sel_hi:[0,0,1]
	v_mov_b32_e32 v13, v7
	v_pk_mul_f32 v[6:7], v[76:77], s[0:1] op_sel_hi:[0,1]
	global_store_dwordx2 v[10:11], v[12:13], off offset:256
	;; [unrolled: 5-line block ×3, first 2 shown]
	v_lshl_add_u64 v[4:5], v[4:5], 0, s[2:3]
	v_pk_fma_f32 v[12:13], v[70:71], s[0:1], v[6:7] op_sel:[0,1,0] op_sel_hi:[1,0,1] neg_lo:[0,0,1] neg_hi:[0,0,1]
	v_pk_fma_f32 v[6:7], v[70:71], s[0:1], v[6:7] op_sel:[0,1,0] op_sel_hi:[0,0,1]
	v_lshl_add_u64 v[10:11], v[4:5], 0, v[8:9]
	v_mov_b32_e32 v13, v7
	v_pk_mul_f32 v[6:7], v[68:69], s[0:1] op_sel_hi:[0,1]
	global_store_dwordx2 v[10:11], v[12:13], off
	v_pk_fma_f32 v[12:13], v[66:67], s[0:1], v[6:7] op_sel:[0,1,0] op_sel_hi:[1,0,1] neg_lo:[0,0,1] neg_hi:[0,0,1]
	v_pk_fma_f32 v[6:7], v[66:67], s[0:1], v[6:7] op_sel:[0,1,0] op_sel_hi:[0,0,1]
	v_mov_b32_e32 v13, v7
	v_pk_mul_f32 v[6:7], v[64:65], s[0:1] op_sel_hi:[0,1]
	global_store_dwordx2 v[10:11], v[12:13], off offset:128
	v_pk_fma_f32 v[12:13], v[62:63], s[0:1], v[6:7] op_sel:[0,1,0] op_sel_hi:[1,0,1] neg_lo:[0,0,1] neg_hi:[0,0,1]
	v_pk_fma_f32 v[6:7], v[62:63], s[0:1], v[6:7] op_sel:[0,1,0] op_sel_hi:[0,0,1]
	v_mov_b32_e32 v13, v7
	v_pk_mul_f32 v[6:7], v[60:61], s[0:1] op_sel_hi:[0,1]
	global_store_dwordx2 v[10:11], v[12:13], off offset:256
	v_pk_fma_f32 v[12:13], v[56:57], s[0:1], v[6:7] op_sel:[0,1,0] op_sel_hi:[1,0,1] neg_lo:[0,0,1] neg_hi:[0,0,1]
	v_pk_fma_f32 v[6:7], v[56:57], s[0:1], v[6:7] op_sel:[0,1,0] op_sel_hi:[0,0,1]
	v_mov_b32_e32 v13, v7
	v_lshl_add_u64 v[4:5], v[4:5], 0, s[2:3]
	v_pk_mul_f32 v[6:7], v[48:49], s[0:1] op_sel_hi:[0,1]
	v_lshl_add_u64 v[8:9], v[4:5], 0, v[8:9]
	v_pk_fma_f32 v[4:5], v[46:47], s[0:1], v[6:7] op_sel:[0,1,0] op_sel_hi:[1,0,1] neg_lo:[0,0,1] neg_hi:[0,0,1]
	v_pk_fma_f32 v[6:7], v[46:47], s[0:1], v[6:7] op_sel:[0,1,0] op_sel_hi:[0,0,1]
	v_mov_b32_e32 v5, v7
	global_store_dwordx2 v[10:11], v[12:13], off offset:384
	global_store_dwordx2 v[8:9], v[4:5], off
	v_pk_mul_f32 v[4:5], v[44:45], s[0:1] op_sel_hi:[0,1]
	v_pk_fma_f32 v[6:7], v[42:43], s[0:1], v[4:5] op_sel:[0,1,0] op_sel_hi:[1,0,1] neg_lo:[0,0,1] neg_hi:[0,0,1]
	v_pk_fma_f32 v[4:5], v[42:43], s[0:1], v[4:5] op_sel:[0,1,0] op_sel_hi:[0,0,1]
	v_mov_b32_e32 v4, v41
	v_mov_b32_e32 v7, v5
	v_pk_mul_f32 v[4:5], v[4:5], s[0:1] op_sel_hi:[0,1]
	global_store_dwordx2 v[8:9], v[6:7], off offset:128
	v_pk_fma_f32 v[6:7], v[40:41], s[0:1], v[4:5] op_sel:[0,1,0] op_sel_hi:[1,0,1] neg_lo:[0,0,1] neg_hi:[0,0,1]
	v_pk_fma_f32 v[4:5], v[40:41], s[0:1], v[4:5] op_sel:[0,1,0] op_sel_hi:[0,0,1]
	v_mov_b32_e32 v7, v5
	v_mul_f32_e32 v4, s1, v58
	global_store_dwordx2 v[8:9], v[6:7], off offset:256
	v_fma_f32 v7, -v59, s0, v4
	v_pk_mul_f32 v[4:5], v[58:59], s[0:1]
	s_mov_b64 s[2:3], 0x180
	v_add_f32_e32 v6, v4, v5
	v_lshl_add_u64 v[4:5], v[8:9], 0, s[2:3]
	global_store_dword v[8:9], v7, off offset:384
	s_cbranch_execz .LBB96_6
	s_branch .LBB96_7
.LBB96_5:
                                        ; implicit-def: $vgpr6
                                        ; implicit-def: $vgpr4_vgpr5
.LBB96_6:
	s_mul_i32 s2, s17, s4
	s_mul_hi_u32 s3, s16, s4
	s_add_i32 s3, s3, s2
	s_mul_i32 s2, s16, s4
	s_lshl_b64 s[2:3], s[2:3], 3
	s_add_u32 s2, s12, s2
	v_mul_lo_u32 v6, v3, s14
	v_mul_lo_u32 v7, v2, s15
	v_mad_u64_u32 v[4:5], s[4:5], v2, s14, 0
	s_addc_u32 s3, s13, s3
	v_add3_u32 v5, v5, v7, v6
	v_lshl_add_u64 v[4:5], v[4:5], 3, s[2:3]
	v_lshlrev_b64 v[0:1], 3, v[0:1]
	v_lshl_add_u64 v[6:7], v[4:5], 0, v[0:1]
	global_load_dwordx2 v[8:9], v[6:7], off
	v_mul_lo_u32 v12, v3, s20
	v_mul_lo_u32 v13, v2, s21
	v_mad_u64_u32 v[2:3], s[2:3], v2, s20, 0
	s_mov_b32 s2, s7
	v_pk_mul_f32 v[10:11], v[104:105], s[0:1] op_sel_hi:[0,1]
	v_add3_u32 v3, v3, v13, v12
	v_pk_fma_f32 v[12:13], v[102:103], s[0:1], v[10:11] op_sel:[0,1,0] op_sel_hi:[1,0,1] neg_lo:[0,0,1] neg_hi:[0,0,1]
	v_pk_fma_f32 v[10:11], v[102:103], s[0:1], v[10:11] op_sel:[0,1,0] op_sel_hi:[0,0,1]
	v_lshl_add_u64 v[2:3], v[2:3], 3, s[8:9]
	v_mov_b32_e32 v13, v11
	v_lshl_add_u64 v[10:11], v[2:3], 0, v[0:1]
	s_lshl_b64 s[4:5], s[14:15], 7
	v_lshl_add_u64 v[4:5], v[4:5], 0, s[4:5]
	s_lshl_b64 s[8:9], s[20:21], 7
	v_lshl_add_u64 v[2:3], v[2:3], 0, s[8:9]
	s_mov_b32 s11, s6
	s_waitcnt vmcnt(0)
	v_pk_mul_f32 v[14:15], v[8:9], s[2:3] op_sel_hi:[1,0]
	s_nop 0
	v_pk_fma_f32 v[16:17], v[8:9], s[6:7], v[14:15] op_sel:[0,0,1] op_sel_hi:[1,1,0] neg_lo:[0,0,1] neg_hi:[0,0,1]
	v_pk_fma_f32 v[8:9], v[8:9], s[6:7], v[14:15] op_sel:[0,0,1] op_sel_hi:[1,0,0]
	s_nop 0
	v_mov_b32_e32 v17, v9
	v_pk_add_f32 v[8:9], v[12:13], v[16:17]
	global_store_dwordx2 v[10:11], v[8:9], off
	global_load_dwordx2 v[8:9], v[6:7], off offset:128
	v_pk_mul_f32 v[12:13], v[100:101], s[0:1] op_sel_hi:[0,1]
	v_pk_fma_f32 v[14:15], v[98:99], s[0:1], v[12:13] op_sel:[0,1,0] op_sel_hi:[1,0,1] neg_lo:[0,0,1] neg_hi:[0,0,1]
	v_pk_fma_f32 v[12:13], v[98:99], s[0:1], v[12:13] op_sel:[0,1,0] op_sel_hi:[0,0,1]
	v_mov_b32_e32 v15, v13
	s_waitcnt vmcnt(0)
	v_pk_mul_f32 v[12:13], v[8:9], s[2:3] op_sel_hi:[1,0]
	s_nop 0
	v_pk_fma_f32 v[16:17], v[8:9], s[6:7], v[12:13] op_sel:[0,0,1] op_sel_hi:[1,1,0] neg_lo:[0,0,1] neg_hi:[0,0,1]
	v_pk_fma_f32 v[8:9], v[8:9], s[6:7], v[12:13] op_sel:[0,0,1] op_sel_hi:[1,0,0]
	v_pk_mul_f32 v[12:13], v[96:97], s[0:1] op_sel_hi:[0,1]
	v_mov_b32_e32 v17, v9
	v_pk_add_f32 v[8:9], v[14:15], v[16:17]
	global_store_dwordx2 v[10:11], v[8:9], off offset:128
	global_load_dwordx2 v[8:9], v[6:7], off offset:256
	v_pk_fma_f32 v[14:15], v[94:95], s[0:1], v[12:13] op_sel:[0,1,0] op_sel_hi:[1,0,1] neg_lo:[0,0,1] neg_hi:[0,0,1]
	v_pk_fma_f32 v[12:13], v[94:95], s[0:1], v[12:13] op_sel:[0,1,0] op_sel_hi:[0,0,1]
	v_mov_b32_e32 v15, v13
	s_waitcnt vmcnt(0)
	v_pk_mul_f32 v[12:13], v[8:9], s[2:3] op_sel_hi:[1,0]
	s_nop 0
	v_pk_fma_f32 v[16:17], v[8:9], s[6:7], v[12:13] op_sel:[0,0,1] op_sel_hi:[1,1,0] neg_lo:[0,0,1] neg_hi:[0,0,1]
	v_pk_fma_f32 v[8:9], v[8:9], s[6:7], v[12:13] op_sel:[0,0,1] op_sel_hi:[1,0,0]
	s_nop 0
	v_mov_b32_e32 v17, v9
	v_pk_add_f32 v[8:9], v[14:15], v[16:17]
	global_store_dwordx2 v[10:11], v[8:9], off offset:256
	global_load_dwordx2 v[6:7], v[6:7], off offset:384
	v_pk_mul_f32 v[8:9], v[92:93], s[0:1] op_sel_hi:[0,1]
	v_pk_fma_f32 v[12:13], v[90:91], s[0:1], v[8:9] op_sel:[0,1,0] op_sel_hi:[1,0,1] neg_lo:[0,0,1] neg_hi:[0,0,1]
	v_pk_fma_f32 v[8:9], v[90:91], s[0:1], v[8:9] op_sel:[0,1,0] op_sel_hi:[0,0,1]
	v_mov_b32_e32 v13, v9
	v_lshl_add_u64 v[8:9], v[4:5], 0, v[0:1]
	v_lshl_add_u64 v[4:5], v[4:5], 0, s[4:5]
	s_waitcnt vmcnt(0)
	v_pk_mul_f32 v[14:15], v[6:7], s[2:3] op_sel_hi:[1,0]
	s_nop 0
	v_pk_fma_f32 v[16:17], v[6:7], s[6:7], v[14:15] op_sel:[0,0,1] op_sel_hi:[1,1,0] neg_lo:[0,0,1] neg_hi:[0,0,1]
	v_pk_fma_f32 v[6:7], v[6:7], s[6:7], v[14:15] op_sel:[0,0,1] op_sel_hi:[1,0,0]
	s_nop 0
	v_mov_b32_e32 v17, v7
	v_pk_add_f32 v[6:7], v[12:13], v[16:17]
	global_store_dwordx2 v[10:11], v[6:7], off offset:384
	global_load_dwordx2 v[6:7], v[8:9], off
	v_pk_mul_f32 v[10:11], v[88:89], s[0:1] op_sel_hi:[0,1]
	v_pk_fma_f32 v[12:13], v[86:87], s[0:1], v[10:11] op_sel:[0,1,0] op_sel_hi:[1,0,1] neg_lo:[0,0,1] neg_hi:[0,0,1]
	v_pk_fma_f32 v[10:11], v[86:87], s[0:1], v[10:11] op_sel:[0,1,0] op_sel_hi:[0,0,1]
	v_mov_b32_e32 v13, v11
	v_lshl_add_u64 v[10:11], v[2:3], 0, v[0:1]
	v_lshl_add_u64 v[2:3], v[2:3], 0, s[8:9]
	s_waitcnt vmcnt(0)
	v_pk_mul_f32 v[14:15], v[6:7], s[2:3] op_sel_hi:[1,0]
	s_nop 0
	v_pk_fma_f32 v[16:17], v[6:7], s[6:7], v[14:15] op_sel:[0,0,1] op_sel_hi:[1,1,0] neg_lo:[0,0,1] neg_hi:[0,0,1]
	v_pk_fma_f32 v[6:7], v[6:7], s[6:7], v[14:15] op_sel:[0,0,1] op_sel_hi:[1,0,0]
	s_nop 0
	v_mov_b32_e32 v17, v7
	v_pk_add_f32 v[6:7], v[12:13], v[16:17]
	global_store_dwordx2 v[10:11], v[6:7], off
	global_load_dwordx2 v[6:7], v[8:9], off offset:128
	v_pk_mul_f32 v[12:13], v[84:85], s[0:1] op_sel_hi:[0,1]
	v_pk_fma_f32 v[14:15], v[82:83], s[0:1], v[12:13] op_sel:[0,1,0] op_sel_hi:[1,0,1] neg_lo:[0,0,1] neg_hi:[0,0,1]
	v_pk_fma_f32 v[12:13], v[82:83], s[0:1], v[12:13] op_sel:[0,1,0] op_sel_hi:[0,0,1]
	v_mov_b32_e32 v15, v13
	s_waitcnt vmcnt(0)
	v_pk_mul_f32 v[12:13], v[6:7], s[2:3] op_sel_hi:[1,0]
	s_nop 0
	v_pk_fma_f32 v[16:17], v[6:7], s[6:7], v[12:13] op_sel:[0,0,1] op_sel_hi:[1,1,0] neg_lo:[0,0,1] neg_hi:[0,0,1]
	v_pk_fma_f32 v[6:7], v[6:7], s[6:7], v[12:13] op_sel:[0,0,1] op_sel_hi:[1,0,0]
	v_pk_mul_f32 v[12:13], v[80:81], s[0:1] op_sel_hi:[0,1]
	v_mov_b32_e32 v17, v7
	v_pk_add_f32 v[6:7], v[14:15], v[16:17]
	global_store_dwordx2 v[10:11], v[6:7], off offset:128
	global_load_dwordx2 v[6:7], v[8:9], off offset:256
	v_pk_fma_f32 v[14:15], v[78:79], s[0:1], v[12:13] op_sel:[0,1,0] op_sel_hi:[1,0,1] neg_lo:[0,0,1] neg_hi:[0,0,1]
	v_pk_fma_f32 v[12:13], v[78:79], s[0:1], v[12:13] op_sel:[0,1,0] op_sel_hi:[0,0,1]
	v_mov_b32_e32 v15, v13
	s_waitcnt vmcnt(0)
	v_pk_mul_f32 v[12:13], v[6:7], s[2:3] op_sel_hi:[1,0]
	s_nop 0
	v_pk_fma_f32 v[16:17], v[6:7], s[6:7], v[12:13] op_sel:[0,0,1] op_sel_hi:[1,1,0] neg_lo:[0,0,1] neg_hi:[0,0,1]
	v_pk_fma_f32 v[6:7], v[6:7], s[6:7], v[12:13] op_sel:[0,0,1] op_sel_hi:[1,0,0]
	s_nop 0
	v_mov_b32_e32 v17, v7
	v_pk_add_f32 v[6:7], v[14:15], v[16:17]
	global_store_dwordx2 v[10:11], v[6:7], off offset:256
	global_load_dwordx2 v[6:7], v[8:9], off offset:384
	v_pk_mul_f32 v[8:9], v[76:77], s[0:1] op_sel_hi:[0,1]
	v_pk_fma_f32 v[12:13], v[74:75], s[0:1], v[8:9] op_sel:[0,1,0] op_sel_hi:[1,0,1] neg_lo:[0,0,1] neg_hi:[0,0,1]
	v_pk_fma_f32 v[8:9], v[74:75], s[0:1], v[8:9] op_sel:[0,1,0] op_sel_hi:[0,0,1]
	v_mov_b32_e32 v13, v9
	v_lshl_add_u64 v[8:9], v[4:5], 0, v[0:1]
	v_lshl_add_u64 v[4:5], v[4:5], 0, s[4:5]
	v_lshl_add_u64 v[4:5], v[4:5], 0, v[0:1]
	s_waitcnt vmcnt(0)
	v_pk_mul_f32 v[14:15], v[6:7], s[2:3] op_sel_hi:[1,0]
	s_nop 0
	v_pk_fma_f32 v[16:17], v[6:7], s[6:7], v[14:15] op_sel:[0,0,1] op_sel_hi:[1,1,0] neg_lo:[0,0,1] neg_hi:[0,0,1]
	v_pk_fma_f32 v[6:7], v[6:7], s[6:7], v[14:15] op_sel:[0,0,1] op_sel_hi:[1,0,0]
	s_nop 0
	v_mov_b32_e32 v17, v7
	v_pk_add_f32 v[6:7], v[12:13], v[16:17]
	global_store_dwordx2 v[10:11], v[6:7], off offset:384
	global_load_dwordx2 v[6:7], v[8:9], off
	v_pk_mul_f32 v[10:11], v[72:73], s[0:1] op_sel_hi:[0,1]
	v_pk_fma_f32 v[12:13], v[70:71], s[0:1], v[10:11] op_sel:[0,1,0] op_sel_hi:[1,0,1] neg_lo:[0,0,1] neg_hi:[0,0,1]
	v_pk_fma_f32 v[10:11], v[70:71], s[0:1], v[10:11] op_sel:[0,1,0] op_sel_hi:[0,0,1]
	v_mov_b32_e32 v13, v11
	v_lshl_add_u64 v[10:11], v[2:3], 0, v[0:1]
	v_lshl_add_u64 v[2:3], v[2:3], 0, s[8:9]
	;; [unrolled: 1-line block ×3, first 2 shown]
	s_waitcnt vmcnt(0)
	v_pk_mul_f32 v[14:15], v[6:7], s[2:3] op_sel_hi:[1,0]
	s_nop 0
	v_pk_fma_f32 v[16:17], v[6:7], s[6:7], v[14:15] op_sel:[0,0,1] op_sel_hi:[1,1,0] neg_lo:[0,0,1] neg_hi:[0,0,1]
	v_pk_fma_f32 v[6:7], v[6:7], s[6:7], v[14:15] op_sel:[0,0,1] op_sel_hi:[1,0,0]
	s_nop 0
	v_mov_b32_e32 v17, v7
	v_pk_add_f32 v[6:7], v[12:13], v[16:17]
	global_store_dwordx2 v[10:11], v[6:7], off
	global_load_dwordx2 v[6:7], v[8:9], off offset:128
	v_pk_mul_f32 v[12:13], v[68:69], s[0:1] op_sel_hi:[0,1]
	v_pk_fma_f32 v[14:15], v[66:67], s[0:1], v[12:13] op_sel:[0,1,0] op_sel_hi:[1,0,1] neg_lo:[0,0,1] neg_hi:[0,0,1]
	v_pk_fma_f32 v[12:13], v[66:67], s[0:1], v[12:13] op_sel:[0,1,0] op_sel_hi:[0,0,1]
	v_mov_b32_e32 v15, v13
	s_waitcnt vmcnt(0)
	v_pk_mul_f32 v[12:13], v[6:7], s[2:3] op_sel_hi:[1,0]
	s_nop 0
	v_pk_fma_f32 v[16:17], v[6:7], s[6:7], v[12:13] op_sel:[0,0,1] op_sel_hi:[1,1,0] neg_lo:[0,0,1] neg_hi:[0,0,1]
	v_pk_fma_f32 v[6:7], v[6:7], s[6:7], v[12:13] op_sel:[0,0,1] op_sel_hi:[1,0,0]
	v_pk_mul_f32 v[12:13], v[64:65], s[0:1] op_sel_hi:[0,1]
	v_mov_b32_e32 v17, v7
	v_pk_add_f32 v[6:7], v[14:15], v[16:17]
	global_store_dwordx2 v[10:11], v[6:7], off offset:128
	global_load_dwordx2 v[6:7], v[8:9], off offset:256
	v_pk_fma_f32 v[14:15], v[62:63], s[0:1], v[12:13] op_sel:[0,1,0] op_sel_hi:[1,0,1] neg_lo:[0,0,1] neg_hi:[0,0,1]
	v_pk_fma_f32 v[12:13], v[62:63], s[0:1], v[12:13] op_sel:[0,1,0] op_sel_hi:[0,0,1]
	v_mov_b32_e32 v15, v13
	s_waitcnt vmcnt(0)
	v_pk_mul_f32 v[12:13], v[6:7], s[2:3] op_sel_hi:[1,0]
	s_nop 0
	v_pk_fma_f32 v[16:17], v[6:7], s[6:7], v[12:13] op_sel:[0,0,1] op_sel_hi:[1,1,0] neg_lo:[0,0,1] neg_hi:[0,0,1]
	v_pk_fma_f32 v[6:7], v[6:7], s[6:7], v[12:13] op_sel:[0,0,1] op_sel_hi:[1,0,0]
	s_nop 0
	v_mov_b32_e32 v17, v7
	v_pk_add_f32 v[6:7], v[14:15], v[16:17]
	global_store_dwordx2 v[10:11], v[6:7], off offset:256
	global_load_dwordx2 v[6:7], v[8:9], off offset:384
	v_pk_mul_f32 v[8:9], v[60:61], s[0:1] op_sel_hi:[0,1]
	v_pk_fma_f32 v[12:13], v[56:57], s[0:1], v[8:9] op_sel:[0,1,0] op_sel_hi:[1,0,1] neg_lo:[0,0,1] neg_hi:[0,0,1]
	v_pk_fma_f32 v[8:9], v[56:57], s[0:1], v[8:9] op_sel:[0,1,0] op_sel_hi:[0,0,1]
	v_mov_b32_e32 v13, v9
	s_waitcnt vmcnt(0)
	v_pk_mul_f32 v[8:9], v[6:7], s[2:3] op_sel_hi:[1,0]
	s_nop 0
	v_pk_fma_f32 v[14:15], v[6:7], s[6:7], v[8:9] op_sel:[0,0,1] op_sel_hi:[1,1,0] neg_lo:[0,0,1] neg_hi:[0,0,1]
	v_pk_fma_f32 v[6:7], v[6:7], s[6:7], v[8:9] op_sel:[0,0,1] op_sel_hi:[1,0,0]
	v_pk_mul_f32 v[8:9], v[48:49], s[0:1] op_sel_hi:[0,1]
	v_mov_b32_e32 v15, v7
	v_pk_add_f32 v[6:7], v[12:13], v[14:15]
	global_store_dwordx2 v[10:11], v[6:7], off offset:384
	global_load_dwordx2 v[6:7], v[4:5], off
	v_pk_fma_f32 v[10:11], v[46:47], s[0:1], v[8:9] op_sel:[0,1,0] op_sel_hi:[1,0,1] neg_lo:[0,0,1] neg_hi:[0,0,1]
	v_pk_fma_f32 v[8:9], v[46:47], s[0:1], v[8:9] op_sel:[0,1,0] op_sel_hi:[0,0,1]
	v_mov_b32_e32 v11, v9
	s_waitcnt vmcnt(0)
	v_pk_mul_f32 v[2:3], v[6:7], s[2:3] op_sel_hi:[1,0]
	s_nop 0
	v_pk_fma_f32 v[8:9], v[6:7], s[6:7], v[2:3] op_sel:[0,0,1] op_sel_hi:[1,1,0] neg_lo:[0,0,1] neg_hi:[0,0,1]
	v_pk_fma_f32 v[2:3], v[6:7], s[6:7], v[2:3] op_sel:[0,0,1] op_sel_hi:[1,0,0]
	v_pk_mul_f32 v[6:7], v[44:45], s[0:1] op_sel_hi:[0,1]
	v_mov_b32_e32 v9, v3
	v_pk_add_f32 v[2:3], v[10:11], v[8:9]
	global_store_dwordx2 v[0:1], v[2:3], off
	global_load_dwordx2 v[2:3], v[4:5], off offset:128
	v_pk_fma_f32 v[8:9], v[42:43], s[0:1], v[6:7] op_sel:[0,1,0] op_sel_hi:[1,0,1] neg_lo:[0,0,1] neg_hi:[0,0,1]
	v_pk_fma_f32 v[6:7], v[42:43], s[0:1], v[6:7] op_sel:[0,1,0] op_sel_hi:[0,0,1]
	v_mov_b32_e32 v9, v7
	s_waitcnt vmcnt(0)
	v_pk_mul_f32 v[6:7], v[2:3], s[2:3] op_sel_hi:[1,0]
	s_nop 0
	v_pk_fma_f32 v[10:11], v[2:3], s[6:7], v[6:7] op_sel:[0,0,1] op_sel_hi:[1,1,0] neg_lo:[0,0,1] neg_hi:[0,0,1]
	v_pk_fma_f32 v[2:3], v[2:3], s[6:7], v[6:7] op_sel:[0,0,1] op_sel_hi:[1,0,0]
	v_mov_b32_e32 v6, v41
	v_mov_b32_e32 v11, v3
	v_pk_add_f32 v[2:3], v[8:9], v[10:11]
	global_store_dwordx2 v[0:1], v[2:3], off offset:128
	global_load_dwordx2 v[2:3], v[4:5], off offset:256
	v_pk_mul_f32 v[6:7], v[6:7], s[0:1] op_sel_hi:[0,1]
	v_pk_fma_f32 v[8:9], v[40:41], s[0:1], v[6:7] op_sel:[0,1,0] op_sel_hi:[1,0,1] neg_lo:[0,0,1] neg_hi:[0,0,1]
	v_pk_fma_f32 v[6:7], v[40:41], s[0:1], v[6:7] op_sel:[0,1,0] op_sel_hi:[0,0,1]
	v_mov_b32_e32 v9, v7
	s_waitcnt vmcnt(0)
	v_pk_mul_f32 v[6:7], v[2:3], s[2:3] op_sel_hi:[1,0]
	s_nop 0
	v_pk_fma_f32 v[10:11], v[2:3], s[6:7], v[6:7] op_sel:[0,0,1] op_sel_hi:[1,1,0] neg_lo:[0,0,1] neg_hi:[0,0,1]
	v_pk_fma_f32 v[2:3], v[2:3], s[6:7], v[6:7] op_sel:[0,0,1] op_sel_hi:[1,0,0]
	v_mov_b32_e32 v6, v58
	v_mov_b32_e32 v11, v3
	v_pk_add_f32 v[2:3], v[8:9], v[10:11]
	global_store_dwordx2 v[0:1], v[2:3], off offset:256
	global_load_dwordx2 v[2:3], v[4:5], off offset:384
	v_mul_f32_e32 v4, s1, v58
	s_mov_b32 s1, s7
	s_mov_b64 s[2:3], 0x180
	v_fma_f32 v8, -v59, s0, v4
	v_lshl_add_u64 v[4:5], v[0:1], 0, s[2:3]
	s_waitcnt vmcnt(0)
	v_mul_f32_e32 v9, s7, v3
	v_mov_b32_e32 v7, v2
	v_fma_f32 v9, v2, s6, -v9
	v_mov_b32_e32 v2, v59
	v_pk_mul_f32 v[2:3], v[2:3], s[10:11]
	v_add_f32_e32 v8, v8, v9
	v_pk_fma_f32 v[2:3], v[6:7], s[0:1], v[2:3]
	global_store_dword v[0:1], v8, off offset:384
	v_add_f32_e32 v6, v2, v3
.LBB96_7:
	global_store_dword v[4:5], v6, off offset:4
	s_endpgm
	.section	.rodata,"a",@progbits
	.p2align	6, 0x0
	.amdhsa_kernel _ZN12_GLOBAL__N_127rocblas_gemm_batched_kernelI19rocblas_complex_numIfELi16ELi16ELi64ELi64ELi4ELi64ELi4ELi4ELi64ELc78ELc67EKS2_S3_S2_EEvlllT_PT11_llS6_llS4_PT12_llPT13_lli
		.amdhsa_group_segment_fixed_size 4096
		.amdhsa_private_segment_fixed_size 0
		.amdhsa_kernarg_size 140
		.amdhsa_user_sgpr_count 2
		.amdhsa_user_sgpr_dispatch_ptr 0
		.amdhsa_user_sgpr_queue_ptr 0
		.amdhsa_user_sgpr_kernarg_segment_ptr 1
		.amdhsa_user_sgpr_dispatch_id 0
		.amdhsa_user_sgpr_kernarg_preload_length 0
		.amdhsa_user_sgpr_kernarg_preload_offset 0
		.amdhsa_user_sgpr_private_segment_size 0
		.amdhsa_uses_dynamic_stack 0
		.amdhsa_enable_private_segment 0
		.amdhsa_system_sgpr_workgroup_id_x 1
		.amdhsa_system_sgpr_workgroup_id_y 1
		.amdhsa_system_sgpr_workgroup_id_z 1
		.amdhsa_system_sgpr_workgroup_info 0
		.amdhsa_system_vgpr_workitem_id 1
		.amdhsa_next_free_vgpr 108
		.amdhsa_next_free_sgpr 28
		.amdhsa_accum_offset 108
		.amdhsa_reserve_vcc 1
		.amdhsa_float_round_mode_32 0
		.amdhsa_float_round_mode_16_64 0
		.amdhsa_float_denorm_mode_32 3
		.amdhsa_float_denorm_mode_16_64 3
		.amdhsa_dx10_clamp 1
		.amdhsa_ieee_mode 1
		.amdhsa_fp16_overflow 0
		.amdhsa_tg_split 0
		.amdhsa_exception_fp_ieee_invalid_op 0
		.amdhsa_exception_fp_denorm_src 0
		.amdhsa_exception_fp_ieee_div_zero 0
		.amdhsa_exception_fp_ieee_overflow 0
		.amdhsa_exception_fp_ieee_underflow 0
		.amdhsa_exception_fp_ieee_inexact 0
		.amdhsa_exception_int_div_zero 0
	.end_amdhsa_kernel
	.section	.text._ZN12_GLOBAL__N_127rocblas_gemm_batched_kernelI19rocblas_complex_numIfELi16ELi16ELi64ELi64ELi4ELi64ELi4ELi4ELi64ELc78ELc67EKS2_S3_S2_EEvlllT_PT11_llS6_llS4_PT12_llPT13_lli,"axG",@progbits,_ZN12_GLOBAL__N_127rocblas_gemm_batched_kernelI19rocblas_complex_numIfELi16ELi16ELi64ELi64ELi4ELi64ELi4ELi4ELi64ELc78ELc67EKS2_S3_S2_EEvlllT_PT11_llS6_llS4_PT12_llPT13_lli,comdat
.Lfunc_end96:
	.size	_ZN12_GLOBAL__N_127rocblas_gemm_batched_kernelI19rocblas_complex_numIfELi16ELi16ELi64ELi64ELi4ELi64ELi4ELi4ELi64ELc78ELc67EKS2_S3_S2_EEvlllT_PT11_llS6_llS4_PT12_llPT13_lli, .Lfunc_end96-_ZN12_GLOBAL__N_127rocblas_gemm_batched_kernelI19rocblas_complex_numIfELi16ELi16ELi64ELi64ELi4ELi64ELi4ELi4ELi64ELc78ELc67EKS2_S3_S2_EEvlllT_PT11_llS6_llS4_PT12_llPT13_lli
                                        ; -- End function
	.set _ZN12_GLOBAL__N_127rocblas_gemm_batched_kernelI19rocblas_complex_numIfELi16ELi16ELi64ELi64ELi4ELi64ELi4ELi4ELi64ELc78ELc67EKS2_S3_S2_EEvlllT_PT11_llS6_llS4_PT12_llPT13_lli.num_vgpr, 108
	.set _ZN12_GLOBAL__N_127rocblas_gemm_batched_kernelI19rocblas_complex_numIfELi16ELi16ELi64ELi64ELi4ELi64ELi4ELi4ELi64ELc78ELc67EKS2_S3_S2_EEvlllT_PT11_llS6_llS4_PT12_llPT13_lli.num_agpr, 0
	.set _ZN12_GLOBAL__N_127rocblas_gemm_batched_kernelI19rocblas_complex_numIfELi16ELi16ELi64ELi64ELi4ELi64ELi4ELi4ELi64ELc78ELc67EKS2_S3_S2_EEvlllT_PT11_llS6_llS4_PT12_llPT13_lli.numbered_sgpr, 28
	.set _ZN12_GLOBAL__N_127rocblas_gemm_batched_kernelI19rocblas_complex_numIfELi16ELi16ELi64ELi64ELi4ELi64ELi4ELi4ELi64ELc78ELc67EKS2_S3_S2_EEvlllT_PT11_llS6_llS4_PT12_llPT13_lli.num_named_barrier, 0
	.set _ZN12_GLOBAL__N_127rocblas_gemm_batched_kernelI19rocblas_complex_numIfELi16ELi16ELi64ELi64ELi4ELi64ELi4ELi4ELi64ELc78ELc67EKS2_S3_S2_EEvlllT_PT11_llS6_llS4_PT12_llPT13_lli.private_seg_size, 0
	.set _ZN12_GLOBAL__N_127rocblas_gemm_batched_kernelI19rocblas_complex_numIfELi16ELi16ELi64ELi64ELi4ELi64ELi4ELi4ELi64ELc78ELc67EKS2_S3_S2_EEvlllT_PT11_llS6_llS4_PT12_llPT13_lli.uses_vcc, 1
	.set _ZN12_GLOBAL__N_127rocblas_gemm_batched_kernelI19rocblas_complex_numIfELi16ELi16ELi64ELi64ELi4ELi64ELi4ELi4ELi64ELc78ELc67EKS2_S3_S2_EEvlllT_PT11_llS6_llS4_PT12_llPT13_lli.uses_flat_scratch, 0
	.set _ZN12_GLOBAL__N_127rocblas_gemm_batched_kernelI19rocblas_complex_numIfELi16ELi16ELi64ELi64ELi4ELi64ELi4ELi4ELi64ELc78ELc67EKS2_S3_S2_EEvlllT_PT11_llS6_llS4_PT12_llPT13_lli.has_dyn_sized_stack, 0
	.set _ZN12_GLOBAL__N_127rocblas_gemm_batched_kernelI19rocblas_complex_numIfELi16ELi16ELi64ELi64ELi4ELi64ELi4ELi4ELi64ELc78ELc67EKS2_S3_S2_EEvlllT_PT11_llS6_llS4_PT12_llPT13_lli.has_recursion, 0
	.set _ZN12_GLOBAL__N_127rocblas_gemm_batched_kernelI19rocblas_complex_numIfELi16ELi16ELi64ELi64ELi4ELi64ELi4ELi4ELi64ELc78ELc67EKS2_S3_S2_EEvlllT_PT11_llS6_llS4_PT12_llPT13_lli.has_indirect_call, 0
	.section	.AMDGPU.csdata,"",@progbits
; Kernel info:
; codeLenInByte = 5196
; TotalNumSgprs: 34
; NumVgprs: 108
; NumAgprs: 0
; TotalNumVgprs: 108
; ScratchSize: 0
; MemoryBound: 0
; FloatMode: 240
; IeeeMode: 1
; LDSByteSize: 4096 bytes/workgroup (compile time only)
; SGPRBlocks: 4
; VGPRBlocks: 13
; NumSGPRsForWavesPerEU: 34
; NumVGPRsForWavesPerEU: 108
; AccumOffset: 108
; Occupancy: 4
; WaveLimiterHint : 1
; COMPUTE_PGM_RSRC2:SCRATCH_EN: 0
; COMPUTE_PGM_RSRC2:USER_SGPR: 2
; COMPUTE_PGM_RSRC2:TRAP_HANDLER: 0
; COMPUTE_PGM_RSRC2:TGID_X_EN: 1
; COMPUTE_PGM_RSRC2:TGID_Y_EN: 1
; COMPUTE_PGM_RSRC2:TGID_Z_EN: 1
; COMPUTE_PGM_RSRC2:TIDIG_COMP_CNT: 1
; COMPUTE_PGM_RSRC3_GFX90A:ACCUM_OFFSET: 26
; COMPUTE_PGM_RSRC3_GFX90A:TG_SPLIT: 0
	.section	.text._ZN12_GLOBAL__N_127rocblas_gemm_batched_kernelI19rocblas_complex_numIfELi16ELi16ELi64ELi64ELi4ELi64ELi4ELi4ELi64ELc84ELc67EKS2_S3_S2_EEvlllT_PT11_llS6_llS4_PT12_llPT13_lli,"axG",@progbits,_ZN12_GLOBAL__N_127rocblas_gemm_batched_kernelI19rocblas_complex_numIfELi16ELi16ELi64ELi64ELi4ELi64ELi4ELi4ELi64ELc84ELc67EKS2_S3_S2_EEvlllT_PT11_llS6_llS4_PT12_llPT13_lli,comdat
	.globl	_ZN12_GLOBAL__N_127rocblas_gemm_batched_kernelI19rocblas_complex_numIfELi16ELi16ELi64ELi64ELi4ELi64ELi4ELi4ELi64ELc84ELc67EKS2_S3_S2_EEvlllT_PT11_llS6_llS4_PT12_llPT13_lli ; -- Begin function _ZN12_GLOBAL__N_127rocblas_gemm_batched_kernelI19rocblas_complex_numIfELi16ELi16ELi64ELi64ELi4ELi64ELi4ELi4ELi64ELc84ELc67EKS2_S3_S2_EEvlllT_PT11_llS6_llS4_PT12_llPT13_lli
	.p2align	8
	.type	_ZN12_GLOBAL__N_127rocblas_gemm_batched_kernelI19rocblas_complex_numIfELi16ELi16ELi64ELi64ELi4ELi64ELi4ELi4ELi64ELc84ELc67EKS2_S3_S2_EEvlllT_PT11_llS6_llS4_PT12_llPT13_lli,@function
_ZN12_GLOBAL__N_127rocblas_gemm_batched_kernelI19rocblas_complex_numIfELi16ELi16ELi64ELi64ELi4ELi64ELi4ELi4ELi64ELc84ELc67EKS2_S3_S2_EEvlllT_PT11_llS6_llS4_PT12_llPT13_lli: ; @_ZN12_GLOBAL__N_127rocblas_gemm_batched_kernelI19rocblas_complex_numIfELi16ELi16ELi64ELi64ELi4ELi64ELi4ELi4ELi64ELc84ELc67EKS2_S3_S2_EEvlllT_PT11_llS6_llS4_PT12_llPT13_lli
; %bb.0:
	s_load_dwordx16 s[8:23], s[0:1], 0x10
	s_load_dwordx2 s[6:7], s[0:1], 0x50
	s_mov_b32 s24, s3
	v_mov_b32_e32 v39, 0
	s_ashr_i32 s3, s2, 31
	s_ashr_i32 s25, s24, 31
	s_waitcnt lgkmcnt(0)
	v_cmp_lt_i64_e64 s[26:27], s[8:9], 1
	v_bfe_u32 v38, v0, 10, 10
	v_and_b32_e32 v36, 0x3ff, v0
	v_mov_b32_e32 v37, v39
	s_lshl_b64 s[2:3], s[2:3], 6
	s_lshl_b64 s[24:25], s[24:25], 6
	s_and_b64 vcc, exec, s[26:27]
	v_mov_b32_e32 v59, v39
	v_mov_b32_e32 v58, v39
	;; [unrolled: 1-line block ×32, first 2 shown]
	s_cbranch_vccnz .LBB97_3
; %bb.1:
	v_lshl_add_u32 v4, v38, 4, v36
	v_lshrrev_b32_e32 v40, 2, v4
	v_mov_b32_e32 v41, 0
	v_lshl_add_u64 v[0:1], v[40:41], 0, s[24:25]
	v_and_b32_e32 v5, 3, v36
	v_mad_u64_u32 v[0:1], s[26:27], s20, v5, v[0:1]
	v_mov_b32_e32 v2, v1
	v_mad_u64_u32 v[2:3], s[26:27], s21, v5, v[2:3]
	v_lshlrev_b32_e32 v5, 3, v5
	v_mov_b32_e32 v1, v2
	v_and_b32_e32 v2, 63, v4
	v_mov_b32_e32 v3, v41
	v_lshl_or_b32 v5, v40, 5, v5
	v_lshrrev_b32_e32 v4, 6, v4
	v_lshlrev_b32_e32 v6, 3, v2
	v_add_u32_e32 v45, 0x800, v5
	v_mov_b32_e32 v5, 0x800
	v_lshl_add_u64 v[2:3], s[2:3], 0, v[2:3]
	v_lshl_or_b32 v43, v4, 9, v6
	v_lshl_add_u32 v49, v38, 5, v5
	v_mul_lo_u32 v5, s15, v2
	v_mul_lo_u32 v6, s14, v3
	v_mad_u64_u32 v[2:3], s[14:15], s14, v2, 0
	s_mul_i32 s5, s17, s4
	s_mul_hi_u32 s14, s16, s4
	s_add_i32 s15, s14, s5
	s_mul_i32 s14, s16, s4
	v_add3_u32 v3, v3, v6, v5
	s_lshl_b64 s[14:15], s[14:15], 3
	v_lshl_add_u64 v[2:3], v[2:3], 3, s[14:15]
	v_lshlrev_b32_e32 v40, 3, v4
	v_lshl_add_u64 v[2:3], v[2:3], 0, v[40:41]
	v_lshl_add_u64 v[50:51], s[12:13], 0, v[2:3]
	s_mul_i32 s5, s23, s4
	s_mul_hi_u32 s12, s22, s4
	s_add_i32 s13, s12, s5
	s_mul_i32 s12, s22, s4
	s_lshl_b64 s[12:13], s[12:13], 3
	s_add_u32 s12, s18, s12
	s_addc_u32 s13, s19, s13
	v_lshl_add_u64 v[0:1], v[0:1], 3, s[12:13]
	v_lshlrev_b32_e32 v47, 3, v36
	v_lshl_add_u64 v[52:53], v[0:1], 0, 4
	s_lshl_b64 s[12:13], s[20:21], 5
	s_mov_b64 s[14:15], 0
	v_mov_b64_e32 v[54:55], s[8:9]
	v_mov_b32_e32 v40, v41
	v_mov_b32_e32 v44, v41
	;; [unrolled: 1-line block ×31, first 2 shown]
.LBB97_2:                               ; =>This Inner Loop Header: Depth=1
	global_load_dwordx2 v[0:1], v[50:51], off
	s_add_u32 s14, s14, 4
	s_addc_u32 s15, s15, 0
	v_cmp_lt_i64_e32 vcc, s[14:15], v[54:55]
	v_lshl_add_u64 v[50:51], v[50:51], 0, 32
	s_and_b64 vcc, exec, vcc
	s_waitcnt vmcnt(0)
	ds_write_b64 v43, v[0:1]
	global_load_dwordx2 v[0:1], v[52:53], off offset:-4
	v_lshl_add_u64 v[52:53], v[52:53], 0, s[12:13]
	s_waitcnt vmcnt(0)
	v_xor_b32_e32 v1, 0x80000000, v1
	ds_write_b64 v45, v[0:1]
	s_waitcnt lgkmcnt(0)
	s_barrier
	ds_read_b128 v[0:3], v49
	ds_read_b128 v[32:35], v49 offset:16
	ds_read2_b64 v[8:11], v47 offset1:16
	ds_read2_b64 v[12:15], v47 offset0:32 offset1:48
	s_waitcnt lgkmcnt(1)
	v_mul_f32_e32 v4, v1, v9
	v_fma_f32 v4, v0, v8, -v4
	v_mul_f32_e32 v5, v0, v9
	v_add_f32_e32 v20, v102, v4
	v_mul_f32_e32 v4, v1, v11
	v_fmac_f32_e32 v5, v1, v8
	v_fma_f32 v4, v0, v10, -v4
	v_add_f32_e32 v21, v104, v5
	v_mul_f32_e32 v5, v0, v11
	v_add_f32_e32 v22, v98, v4
	s_waitcnt lgkmcnt(0)
	v_mul_f32_e32 v4, v1, v13
	v_fmac_f32_e32 v5, v1, v10
	v_fma_f32 v4, v0, v12, -v4
	v_add_f32_e32 v23, v100, v5
	v_mul_f32_e32 v5, v0, v13
	v_add_f32_e32 v57, v94, v4
	v_mul_f32_e32 v4, v1, v15
	v_fmac_f32_e32 v5, v1, v12
	v_fma_f32 v4, v0, v14, -v4
	v_mul_f32_e32 v0, v0, v15
	v_add_f32_e32 v61, v96, v5
	v_fmac_f32_e32 v0, v1, v14
	v_add_f32_e32 v1, v90, v4
	ds_read_b128 v[4:7], v49 offset:512
	ds_read_b128 v[104:107], v49 offset:1040
	v_add_f32_e32 v0, v92, v0
	s_waitcnt lgkmcnt(1)
	v_mul_f32_e32 v16, v5, v9
	v_fma_f32 v16, v4, v8, -v16
	v_mul_f32_e32 v17, v4, v9
	v_add_f32_e32 v63, v86, v16
	v_mul_f32_e32 v16, v5, v11
	v_fmac_f32_e32 v17, v5, v8
	v_fma_f32 v16, v4, v10, -v16
	v_add_f32_e32 v65, v88, v17
	v_mul_f32_e32 v17, v4, v11
	v_add_f32_e32 v67, v82, v16
	v_mul_f32_e32 v16, v5, v13
	v_fmac_f32_e32 v17, v5, v10
	v_fma_f32 v16, v4, v12, -v16
	v_add_f32_e32 v69, v84, v17
	v_mul_f32_e32 v17, v4, v13
	v_add_f32_e32 v71, v78, v16
	v_mul_f32_e32 v16, v5, v15
	v_fmac_f32_e32 v17, v5, v12
	v_fma_f32 v16, v4, v14, -v16
	v_mul_f32_e32 v4, v4, v15
	v_add_f32_e32 v73, v80, v17
	v_fmac_f32_e32 v4, v5, v14
	v_add_f32_e32 v5, v74, v16
	ds_read_b128 v[16:19], v49 offset:1024
	v_add_f32_e32 v4, v76, v4
	s_waitcnt lgkmcnt(0)
	v_mul_f32_e32 v24, v17, v9
	v_fma_f32 v24, v16, v8, -v24
	v_mul_f32_e32 v25, v16, v9
	v_add_f32_e32 v70, v70, v24
	v_mul_f32_e32 v24, v17, v11
	v_fmac_f32_e32 v25, v17, v8
	v_fma_f32 v24, v16, v10, -v24
	v_add_f32_e32 v72, v72, v25
	v_mul_f32_e32 v25, v16, v11
	v_add_f32_e32 v66, v66, v24
	v_mul_f32_e32 v24, v17, v13
	v_fmac_f32_e32 v25, v17, v10
	v_fma_f32 v24, v16, v12, -v24
	v_add_f32_e32 v68, v68, v25
	v_mul_f32_e32 v25, v16, v13
	v_add_f32_e32 v62, v62, v24
	v_mul_f32_e32 v24, v17, v15
	v_fmac_f32_e32 v25, v17, v12
	v_fma_f32 v24, v16, v14, -v24
	v_mul_f32_e32 v16, v16, v15
	v_add_f32_e32 v64, v64, v25
	v_fmac_f32_e32 v16, v17, v14
	v_add_f32_e32 v17, v56, v24
	ds_read2_b64 v[24:27], v47 offset0:64 offset1:80
	v_add_f32_e32 v16, v60, v16
	s_waitcnt lgkmcnt(0)
	v_mul_f32_e32 v28, v3, v25
	v_mul_f32_e32 v29, v2, v25
	v_fma_f32 v28, v2, v24, -v28
	v_fmac_f32_e32 v29, v3, v24
	v_add_f32_e32 v20, v20, v28
	v_add_f32_e32 v21, v21, v29
	v_mul_f32_e32 v28, v3, v27
	v_mul_f32_e32 v29, v2, v27
	v_fma_f32 v28, v2, v26, -v28
	v_fmac_f32_e32 v29, v3, v26
	v_add_f32_e32 v22, v22, v28
	v_add_f32_e32 v23, v23, v29
	ds_read2_b64 v[28:31], v47 offset0:96 offset1:112
	s_waitcnt lgkmcnt(0)
	v_mul_f32_e32 v56, v3, v29
	v_mul_f32_e32 v60, v2, v29
	v_fma_f32 v56, v2, v28, -v56
	v_fmac_f32_e32 v60, v3, v28
	v_add_f32_e32 v56, v57, v56
	v_add_f32_e32 v57, v61, v60
	v_mul_f32_e32 v60, v3, v31
	v_fma_f32 v60, v2, v30, -v60
	v_mul_f32_e32 v2, v2, v31
	v_fmac_f32_e32 v2, v3, v30
	v_add_f32_e32 v60, v1, v60
	v_add_f32_e32 v61, v0, v2
	v_mul_f32_e32 v0, v7, v25
	v_mul_f32_e32 v1, v6, v25
	v_fma_f32 v0, v6, v24, -v0
	v_fmac_f32_e32 v1, v7, v24
	v_add_f32_e32 v74, v63, v0
	v_add_f32_e32 v65, v65, v1
	v_mul_f32_e32 v0, v7, v27
	v_mul_f32_e32 v1, v6, v27
	v_fma_f32 v0, v6, v26, -v0
	;; [unrolled: 6-line block ×6, first 2 shown]
	v_fmac_f32_e32 v1, v19, v26
	ds_read2_b64 v[4:7], v47 offset0:128 offset1:144
	v_add_f32_e32 v66, v66, v0
	v_add_f32_e32 v68, v68, v1
	v_mul_f32_e32 v0, v19, v29
	v_mul_f32_e32 v1, v18, v29
	v_fma_f32 v0, v18, v28, -v0
	v_fmac_f32_e32 v1, v19, v28
	v_add_f32_e32 v77, v62, v0
	v_add_f32_e32 v64, v64, v1
	v_mul_f32_e32 v0, v19, v31
	v_mul_f32_e32 v1, v18, v31
	v_fma_f32 v0, v18, v30, -v0
	v_fmac_f32_e32 v1, v19, v30
	v_add_f32_e32 v17, v17, v0
	v_add_f32_e32 v16, v16, v1
	s_waitcnt lgkmcnt(0)
	v_mul_f32_e32 v0, v33, v5
	v_mul_f32_e32 v1, v32, v5
	v_fma_f32 v0, v32, v4, -v0
	v_fmac_f32_e32 v1, v33, v4
	v_add_f32_e32 v18, v20, v0
	v_add_f32_e32 v19, v21, v1
	v_mul_f32_e32 v0, v33, v7
	v_mul_f32_e32 v1, v32, v7
	v_fma_f32 v0, v32, v6, -v0
	v_fmac_f32_e32 v1, v33, v6
	v_add_f32_e32 v78, v22, v0
	v_add_f32_e32 v79, v23, v1
	ds_read2_b64 v[0:3], v47 offset0:160 offset1:176
	s_waitcnt lgkmcnt(0)
	v_mul_f32_e32 v20, v33, v1
	v_mul_f32_e32 v21, v32, v1
	v_fma_f32 v20, v32, v0, -v20
	v_fmac_f32_e32 v21, v33, v0
	v_add_f32_e32 v56, v56, v20
	v_add_f32_e32 v57, v57, v21
	v_mul_f32_e32 v20, v33, v3
	v_mul_f32_e32 v21, v32, v3
	v_fma_f32 v20, v32, v2, -v20
	v_fmac_f32_e32 v21, v33, v2
	v_add_f32_e32 v32, v60, v20
	v_add_f32_e32 v33, v61, v21
	ds_read_b128 v[60:63], v49 offset:528
	s_waitcnt lgkmcnt(0)
	v_mul_f32_e32 v20, v61, v5
	v_mul_f32_e32 v21, v60, v5
	v_fma_f32 v20, v60, v4, -v20
	v_fmac_f32_e32 v21, v61, v4
	v_add_f32_e32 v74, v74, v20
	v_add_f32_e32 v65, v65, v21
	v_mul_f32_e32 v20, v61, v7
	v_mul_f32_e32 v21, v60, v7
	v_fma_f32 v20, v60, v6, -v20
	v_fmac_f32_e32 v21, v61, v6
	v_add_f32_e32 v67, v67, v20
	v_add_f32_e32 v69, v69, v21
	;; [unrolled: 6-line block ×8, first 2 shown]
	ds_read2_b64 v[20:23], v47 offset0:192 offset1:208
	s_waitcnt lgkmcnt(0)
	v_mul_f32_e32 v16, v35, v21
	v_mul_f32_e32 v17, v34, v21
	v_fma_f32 v16, v34, v20, -v16
	v_fmac_f32_e32 v17, v35, v20
	v_add_f32_e32 v102, v18, v16
	v_add_f32_e32 v104, v19, v17
	v_mul_f32_e32 v16, v35, v23
	v_mul_f32_e32 v17, v34, v23
	v_fma_f32 v16, v34, v22, -v16
	v_fmac_f32_e32 v17, v35, v22
	v_add_f32_e32 v98, v78, v16
	v_add_f32_e32 v100, v79, v17
	ds_read2_b64 v[16:19], v47 offset0:224 offset1:240
	s_waitcnt lgkmcnt(0)
	v_mul_f32_e32 v76, v35, v17
	v_fma_f32 v76, v34, v16, -v76
	v_add_f32_e32 v94, v56, v76
	v_mul_f32_e32 v56, v35, v19
	v_mul_f32_e32 v78, v34, v17
	v_fma_f32 v56, v34, v18, -v56
	v_mul_f32_e32 v34, v34, v19
	v_fmac_f32_e32 v34, v35, v18
	v_add_f32_e32 v90, v32, v56
	v_add_f32_e32 v92, v33, v34
	v_mul_f32_e32 v32, v63, v21
	v_mul_f32_e32 v33, v62, v21
	v_fma_f32 v32, v62, v20, -v32
	v_fmac_f32_e32 v33, v63, v20
	v_add_f32_e32 v86, v74, v32
	v_add_f32_e32 v88, v65, v33
	v_mul_f32_e32 v32, v63, v23
	v_mul_f32_e32 v33, v62, v23
	v_fma_f32 v32, v62, v22, -v32
	v_fmac_f32_e32 v33, v63, v22
	v_add_f32_e32 v82, v67, v32
	v_add_f32_e32 v84, v69, v33
	v_mul_f32_e32 v32, v63, v17
	v_mul_f32_e32 v33, v62, v17
	v_fmac_f32_e32 v78, v35, v16
	v_fma_f32 v32, v62, v16, -v32
	v_fmac_f32_e32 v33, v63, v16
	v_add_f32_e32 v96, v57, v78
	v_add_f32_e32 v78, v71, v32
	;; [unrolled: 1-line block ×3, first 2 shown]
	v_mul_f32_e32 v32, v63, v19
	v_mul_f32_e32 v33, v62, v19
	v_fma_f32 v32, v62, v18, -v32
	v_fmac_f32_e32 v33, v63, v18
	v_add_f32_e32 v74, v60, v32
	v_add_f32_e32 v76, v61, v33
	v_mul_f32_e32 v32, v107, v21
	v_mul_f32_e32 v33, v106, v21
	v_fma_f32 v32, v106, v20, -v32
	v_fmac_f32_e32 v33, v107, v20
	v_add_f32_e32 v70, v70, v32
	v_add_f32_e32 v72, v72, v33
	;; [unrolled: 6-line block ×5, first 2 shown]
	ds_read_b128 v[32:35], v49 offset:1536
	s_waitcnt lgkmcnt(0)
	v_mul_f32_e32 v57, v33, v9
	v_mul_f32_e32 v9, v32, v9
	v_fmac_f32_e32 v9, v33, v8
	v_fma_f32 v57, v32, v8, -v57
	v_add_f32_e32 v48, v48, v9
	v_mul_f32_e32 v8, v33, v11
	v_mul_f32_e32 v9, v32, v11
	v_fma_f32 v8, v32, v10, -v8
	v_fmac_f32_e32 v9, v33, v10
	v_add_f32_e32 v42, v42, v8
	v_add_f32_e32 v44, v44, v9
	v_mul_f32_e32 v8, v33, v13
	v_mul_f32_e32 v9, v32, v13
	v_fma_f32 v8, v32, v12, -v8
	v_fmac_f32_e32 v9, v33, v12
	v_add_f32_e32 v12, v40, v8
	v_add_f32_e32 v13, v41, v9
	v_pk_mul_f32 v[8:9], v[32:33], v[14:15] op_sel:[1,1] op_sel_hi:[0,1]
	v_pk_fma_f32 v[10:11], v[32:33], v[14:15], v[8:9] neg_lo:[0,0,1] neg_hi:[0,0,1]
	v_pk_fma_f32 v[8:9], v[32:33], v[14:15], v[8:9] op_sel_hi:[1,0,1]
	v_add_f32_e32 v46, v46, v57
	v_mov_b32_e32 v11, v9
	v_pk_add_f32 v[8:9], v[58:59], v[10:11]
	v_mul_f32_e32 v10, v35, v25
	v_mul_f32_e32 v11, v34, v25
	v_fma_f32 v10, v34, v24, -v10
	v_fmac_f32_e32 v11, v35, v24
	v_add_f32_e32 v32, v46, v10
	v_add_f32_e32 v33, v48, v11
	v_mul_f32_e32 v10, v35, v27
	v_mul_f32_e32 v11, v34, v27
	v_fma_f32 v10, v34, v26, -v10
	v_fmac_f32_e32 v11, v35, v26
	v_add_f32_e32 v24, v42, v10
	v_add_f32_e32 v25, v44, v11
	;; [unrolled: 6-line block ×3, first 2 shown]
	v_pk_mul_f32 v[10:11], v[34:35], v[30:31] op_sel:[1,1] op_sel_hi:[0,1]
	v_pk_fma_f32 v[12:13], v[34:35], v[30:31], v[10:11] neg_lo:[0,0,1] neg_hi:[0,0,1]
	v_pk_fma_f32 v[10:11], v[34:35], v[30:31], v[10:11] op_sel_hi:[1,0,1]
	s_nop 0
	v_mov_b32_e32 v13, v11
	v_pk_add_f32 v[12:13], v[8:9], v[12:13]
	ds_read_b128 v[8:11], v49 offset:1552
	s_waitcnt lgkmcnt(0)
	s_barrier
	v_mul_f32_e32 v26, v9, v5
	v_mul_f32_e32 v5, v8, v5
	v_fma_f32 v26, v8, v4, -v26
	v_fmac_f32_e32 v5, v9, v4
	v_mul_f32_e32 v4, v9, v7
	v_add_f32_e32 v27, v33, v5
	v_fma_f32 v4, v8, v6, -v4
	v_mul_f32_e32 v5, v8, v7
	v_fmac_f32_e32 v5, v9, v6
	v_add_f32_e32 v6, v24, v4
	v_mul_f32_e32 v4, v9, v1
	v_mul_f32_e32 v1, v8, v1
	v_fmac_f32_e32 v1, v9, v0
	v_fma_f32 v4, v8, v0, -v4
	v_add_f32_e32 v15, v15, v1
	v_pk_mul_f32 v[0:1], v[8:9], v[2:3] op_sel:[1,1] op_sel_hi:[0,1]
	v_add_f32_e32 v7, v25, v5
	v_add_f32_e32 v14, v14, v4
	v_pk_fma_f32 v[4:5], v[8:9], v[2:3], v[0:1] neg_lo:[0,0,1] neg_hi:[0,0,1]
	v_pk_fma_f32 v[0:1], v[8:9], v[2:3], v[0:1] op_sel_hi:[1,0,1]
	v_mul_f32_e32 v2, v11, v21
	v_mul_f32_e32 v3, v10, v21
	v_add_f32_e32 v26, v32, v26
	v_fma_f32 v2, v10, v20, -v2
	v_fmac_f32_e32 v3, v11, v20
	v_add_f32_e32 v46, v26, v2
	v_add_f32_e32 v48, v27, v3
	v_mul_f32_e32 v2, v11, v23
	v_mul_f32_e32 v3, v10, v23
	v_fma_f32 v2, v10, v22, -v2
	v_fmac_f32_e32 v3, v11, v22
	v_add_f32_e32 v42, v6, v2
	v_add_f32_e32 v44, v7, v3
	v_mul_f32_e32 v2, v11, v17
	v_mul_f32_e32 v3, v10, v17
	v_fma_f32 v2, v10, v16, -v2
	v_fmac_f32_e32 v3, v11, v16
	v_mov_b32_e32 v5, v1
	v_add_f32_e32 v40, v14, v2
	v_add_f32_e32 v41, v15, v3
	v_pk_mul_f32 v[2:3], v[10:11], v[18:19] op_sel:[1,1] op_sel_hi:[0,1]
	v_pk_add_f32 v[0:1], v[12:13], v[4:5]
	v_pk_fma_f32 v[4:5], v[10:11], v[18:19], v[2:3] neg_lo:[0,0,1] neg_hi:[0,0,1]
	v_pk_fma_f32 v[2:3], v[10:11], v[18:19], v[2:3] op_sel_hi:[1,0,1]
	s_nop 0
	v_mov_b32_e32 v5, v3
	v_pk_add_f32 v[58:59], v[0:1], v[4:5]
	s_cbranch_vccnz .LBB97_2
.LBB97_3:
	s_load_dwordx4 s[20:23], s[0:1], 0x78
	s_load_dwordx8 s[12:19], s[0:1], 0x58
	v_lshl_add_u64 v[2:3], s[24:25], 0, v[38:39]
	v_lshl_add_u64 v[0:1], s[2:3], 0, v[36:37]
	s_waitcnt lgkmcnt(0)
	s_mul_i32 s1, s23, s4
	s_mul_hi_u32 s5, s22, s4
	s_mul_i32 s0, s22, s4
	s_add_i32 s1, s5, s1
	s_lshl_b64 s[0:1], s[0:1], 3
	s_add_u32 s8, s18, s0
	s_addc_u32 s9, s19, s1
	s_or_b32 s0, s6, s7
	s_bitset0_b32 s0, 31
	s_cmp_lg_u32 s0, 0
	s_mov_b32 s0, s11
	s_mov_b32 s1, s10
	s_cbranch_scc1 .LBB97_5
; %bb.4:
	v_mul_lo_u32 v6, v3, s20
	v_mul_lo_u32 v7, v2, s21
	v_mad_u64_u32 v[4:5], s[2:3], v2, s20, 0
	v_add3_u32 v5, v5, v7, v6
	v_pk_mul_f32 v[6:7], v[104:105], s[0:1] op_sel_hi:[0,1]
	v_lshl_add_u64 v[4:5], v[4:5], 3, s[8:9]
	v_lshlrev_b64 v[8:9], 3, v[0:1]
	v_pk_fma_f32 v[12:13], v[102:103], s[0:1], v[6:7] op_sel:[0,1,0] op_sel_hi:[1,0,1] neg_lo:[0,0,1] neg_hi:[0,0,1]
	v_pk_fma_f32 v[6:7], v[102:103], s[0:1], v[6:7] op_sel:[0,1,0] op_sel_hi:[0,0,1]
	v_lshl_add_u64 v[10:11], v[4:5], 0, v[8:9]
	v_mov_b32_e32 v13, v7
	v_pk_mul_f32 v[6:7], v[100:101], s[0:1] op_sel_hi:[0,1]
	global_store_dwordx2 v[10:11], v[12:13], off
	v_pk_fma_f32 v[12:13], v[98:99], s[0:1], v[6:7] op_sel:[0,1,0] op_sel_hi:[1,0,1] neg_lo:[0,0,1] neg_hi:[0,0,1]
	v_pk_fma_f32 v[6:7], v[98:99], s[0:1], v[6:7] op_sel:[0,1,0] op_sel_hi:[0,0,1]
	v_mov_b32_e32 v13, v7
	v_pk_mul_f32 v[6:7], v[96:97], s[0:1] op_sel_hi:[0,1]
	global_store_dwordx2 v[10:11], v[12:13], off offset:128
	v_pk_fma_f32 v[12:13], v[94:95], s[0:1], v[6:7] op_sel:[0,1,0] op_sel_hi:[1,0,1] neg_lo:[0,0,1] neg_hi:[0,0,1]
	v_pk_fma_f32 v[6:7], v[94:95], s[0:1], v[6:7] op_sel:[0,1,0] op_sel_hi:[0,0,1]
	v_mov_b32_e32 v13, v7
	v_pk_mul_f32 v[6:7], v[92:93], s[0:1] op_sel_hi:[0,1]
	global_store_dwordx2 v[10:11], v[12:13], off offset:256
	v_pk_fma_f32 v[12:13], v[90:91], s[0:1], v[6:7] op_sel:[0,1,0] op_sel_hi:[1,0,1] neg_lo:[0,0,1] neg_hi:[0,0,1]
	v_pk_fma_f32 v[6:7], v[90:91], s[0:1], v[6:7] op_sel:[0,1,0] op_sel_hi:[0,0,1]
	v_mov_b32_e32 v13, v7
	s_lshl_b64 s[2:3], s[20:21], 7
	v_pk_mul_f32 v[6:7], v[88:89], s[0:1] op_sel_hi:[0,1]
	global_store_dwordx2 v[10:11], v[12:13], off offset:384
	v_lshl_add_u64 v[4:5], v[4:5], 0, s[2:3]
	v_pk_fma_f32 v[12:13], v[86:87], s[0:1], v[6:7] op_sel:[0,1,0] op_sel_hi:[1,0,1] neg_lo:[0,0,1] neg_hi:[0,0,1]
	v_pk_fma_f32 v[6:7], v[86:87], s[0:1], v[6:7] op_sel:[0,1,0] op_sel_hi:[0,0,1]
	v_lshl_add_u64 v[10:11], v[4:5], 0, v[8:9]
	v_mov_b32_e32 v13, v7
	v_pk_mul_f32 v[6:7], v[84:85], s[0:1] op_sel_hi:[0,1]
	global_store_dwordx2 v[10:11], v[12:13], off
	v_pk_fma_f32 v[12:13], v[82:83], s[0:1], v[6:7] op_sel:[0,1,0] op_sel_hi:[1,0,1] neg_lo:[0,0,1] neg_hi:[0,0,1]
	v_pk_fma_f32 v[6:7], v[82:83], s[0:1], v[6:7] op_sel:[0,1,0] op_sel_hi:[0,0,1]
	v_mov_b32_e32 v13, v7
	v_pk_mul_f32 v[6:7], v[80:81], s[0:1] op_sel_hi:[0,1]
	global_store_dwordx2 v[10:11], v[12:13], off offset:128
	v_pk_fma_f32 v[12:13], v[78:79], s[0:1], v[6:7] op_sel:[0,1,0] op_sel_hi:[1,0,1] neg_lo:[0,0,1] neg_hi:[0,0,1]
	v_pk_fma_f32 v[6:7], v[78:79], s[0:1], v[6:7] op_sel:[0,1,0] op_sel_hi:[0,0,1]
	v_mov_b32_e32 v13, v7
	v_pk_mul_f32 v[6:7], v[76:77], s[0:1] op_sel_hi:[0,1]
	global_store_dwordx2 v[10:11], v[12:13], off offset:256
	;; [unrolled: 5-line block ×3, first 2 shown]
	v_lshl_add_u64 v[4:5], v[4:5], 0, s[2:3]
	v_pk_fma_f32 v[12:13], v[70:71], s[0:1], v[6:7] op_sel:[0,1,0] op_sel_hi:[1,0,1] neg_lo:[0,0,1] neg_hi:[0,0,1]
	v_pk_fma_f32 v[6:7], v[70:71], s[0:1], v[6:7] op_sel:[0,1,0] op_sel_hi:[0,0,1]
	v_lshl_add_u64 v[10:11], v[4:5], 0, v[8:9]
	v_mov_b32_e32 v13, v7
	v_pk_mul_f32 v[6:7], v[68:69], s[0:1] op_sel_hi:[0,1]
	global_store_dwordx2 v[10:11], v[12:13], off
	v_pk_fma_f32 v[12:13], v[66:67], s[0:1], v[6:7] op_sel:[0,1,0] op_sel_hi:[1,0,1] neg_lo:[0,0,1] neg_hi:[0,0,1]
	v_pk_fma_f32 v[6:7], v[66:67], s[0:1], v[6:7] op_sel:[0,1,0] op_sel_hi:[0,0,1]
	v_mov_b32_e32 v13, v7
	v_pk_mul_f32 v[6:7], v[64:65], s[0:1] op_sel_hi:[0,1]
	global_store_dwordx2 v[10:11], v[12:13], off offset:128
	v_pk_fma_f32 v[12:13], v[62:63], s[0:1], v[6:7] op_sel:[0,1,0] op_sel_hi:[1,0,1] neg_lo:[0,0,1] neg_hi:[0,0,1]
	v_pk_fma_f32 v[6:7], v[62:63], s[0:1], v[6:7] op_sel:[0,1,0] op_sel_hi:[0,0,1]
	v_mov_b32_e32 v13, v7
	v_pk_mul_f32 v[6:7], v[60:61], s[0:1] op_sel_hi:[0,1]
	global_store_dwordx2 v[10:11], v[12:13], off offset:256
	v_pk_fma_f32 v[12:13], v[56:57], s[0:1], v[6:7] op_sel:[0,1,0] op_sel_hi:[1,0,1] neg_lo:[0,0,1] neg_hi:[0,0,1]
	v_pk_fma_f32 v[6:7], v[56:57], s[0:1], v[6:7] op_sel:[0,1,0] op_sel_hi:[0,0,1]
	v_mov_b32_e32 v13, v7
	v_lshl_add_u64 v[4:5], v[4:5], 0, s[2:3]
	v_pk_mul_f32 v[6:7], v[48:49], s[0:1] op_sel_hi:[0,1]
	v_lshl_add_u64 v[8:9], v[4:5], 0, v[8:9]
	v_pk_fma_f32 v[4:5], v[46:47], s[0:1], v[6:7] op_sel:[0,1,0] op_sel_hi:[1,0,1] neg_lo:[0,0,1] neg_hi:[0,0,1]
	v_pk_fma_f32 v[6:7], v[46:47], s[0:1], v[6:7] op_sel:[0,1,0] op_sel_hi:[0,0,1]
	v_mov_b32_e32 v5, v7
	global_store_dwordx2 v[10:11], v[12:13], off offset:384
	global_store_dwordx2 v[8:9], v[4:5], off
	v_pk_mul_f32 v[4:5], v[44:45], s[0:1] op_sel_hi:[0,1]
	v_pk_fma_f32 v[6:7], v[42:43], s[0:1], v[4:5] op_sel:[0,1,0] op_sel_hi:[1,0,1] neg_lo:[0,0,1] neg_hi:[0,0,1]
	v_pk_fma_f32 v[4:5], v[42:43], s[0:1], v[4:5] op_sel:[0,1,0] op_sel_hi:[0,0,1]
	v_mov_b32_e32 v4, v41
	v_mov_b32_e32 v7, v5
	v_pk_mul_f32 v[4:5], v[4:5], s[0:1] op_sel_hi:[0,1]
	global_store_dwordx2 v[8:9], v[6:7], off offset:128
	v_pk_fma_f32 v[6:7], v[40:41], s[0:1], v[4:5] op_sel:[0,1,0] op_sel_hi:[1,0,1] neg_lo:[0,0,1] neg_hi:[0,0,1]
	v_pk_fma_f32 v[4:5], v[40:41], s[0:1], v[4:5] op_sel:[0,1,0] op_sel_hi:[0,0,1]
	v_mov_b32_e32 v7, v5
	v_mul_f32_e32 v4, s1, v58
	global_store_dwordx2 v[8:9], v[6:7], off offset:256
	v_fma_f32 v7, -v59, s0, v4
	v_pk_mul_f32 v[4:5], v[58:59], s[0:1]
	s_mov_b64 s[2:3], 0x180
	v_add_f32_e32 v6, v4, v5
	v_lshl_add_u64 v[4:5], v[8:9], 0, s[2:3]
	global_store_dword v[8:9], v7, off offset:384
	s_cbranch_execz .LBB97_6
	s_branch .LBB97_7
.LBB97_5:
                                        ; implicit-def: $vgpr6
                                        ; implicit-def: $vgpr4_vgpr5
.LBB97_6:
	s_mul_i32 s2, s17, s4
	s_mul_hi_u32 s3, s16, s4
	s_add_i32 s3, s3, s2
	s_mul_i32 s2, s16, s4
	s_lshl_b64 s[2:3], s[2:3], 3
	s_add_u32 s2, s12, s2
	v_mul_lo_u32 v6, v3, s14
	v_mul_lo_u32 v7, v2, s15
	v_mad_u64_u32 v[4:5], s[4:5], v2, s14, 0
	s_addc_u32 s3, s13, s3
	v_add3_u32 v5, v5, v7, v6
	v_lshl_add_u64 v[4:5], v[4:5], 3, s[2:3]
	v_lshlrev_b64 v[0:1], 3, v[0:1]
	v_lshl_add_u64 v[6:7], v[4:5], 0, v[0:1]
	global_load_dwordx2 v[8:9], v[6:7], off
	v_mul_lo_u32 v12, v3, s20
	v_mul_lo_u32 v13, v2, s21
	v_mad_u64_u32 v[2:3], s[2:3], v2, s20, 0
	s_mov_b32 s2, s7
	v_pk_mul_f32 v[10:11], v[104:105], s[0:1] op_sel_hi:[0,1]
	v_add3_u32 v3, v3, v13, v12
	v_pk_fma_f32 v[12:13], v[102:103], s[0:1], v[10:11] op_sel:[0,1,0] op_sel_hi:[1,0,1] neg_lo:[0,0,1] neg_hi:[0,0,1]
	v_pk_fma_f32 v[10:11], v[102:103], s[0:1], v[10:11] op_sel:[0,1,0] op_sel_hi:[0,0,1]
	v_lshl_add_u64 v[2:3], v[2:3], 3, s[8:9]
	v_mov_b32_e32 v13, v11
	v_lshl_add_u64 v[10:11], v[2:3], 0, v[0:1]
	s_lshl_b64 s[4:5], s[14:15], 7
	v_lshl_add_u64 v[4:5], v[4:5], 0, s[4:5]
	s_lshl_b64 s[8:9], s[20:21], 7
	v_lshl_add_u64 v[2:3], v[2:3], 0, s[8:9]
	s_mov_b32 s11, s6
	s_waitcnt vmcnt(0)
	v_pk_mul_f32 v[14:15], v[8:9], s[2:3] op_sel_hi:[1,0]
	s_nop 0
	v_pk_fma_f32 v[16:17], v[8:9], s[6:7], v[14:15] op_sel:[0,0,1] op_sel_hi:[1,1,0] neg_lo:[0,0,1] neg_hi:[0,0,1]
	v_pk_fma_f32 v[8:9], v[8:9], s[6:7], v[14:15] op_sel:[0,0,1] op_sel_hi:[1,0,0]
	s_nop 0
	v_mov_b32_e32 v17, v9
	v_pk_add_f32 v[8:9], v[12:13], v[16:17]
	global_store_dwordx2 v[10:11], v[8:9], off
	global_load_dwordx2 v[8:9], v[6:7], off offset:128
	v_pk_mul_f32 v[12:13], v[100:101], s[0:1] op_sel_hi:[0,1]
	v_pk_fma_f32 v[14:15], v[98:99], s[0:1], v[12:13] op_sel:[0,1,0] op_sel_hi:[1,0,1] neg_lo:[0,0,1] neg_hi:[0,0,1]
	v_pk_fma_f32 v[12:13], v[98:99], s[0:1], v[12:13] op_sel:[0,1,0] op_sel_hi:[0,0,1]
	v_mov_b32_e32 v15, v13
	s_waitcnt vmcnt(0)
	v_pk_mul_f32 v[12:13], v[8:9], s[2:3] op_sel_hi:[1,0]
	s_nop 0
	v_pk_fma_f32 v[16:17], v[8:9], s[6:7], v[12:13] op_sel:[0,0,1] op_sel_hi:[1,1,0] neg_lo:[0,0,1] neg_hi:[0,0,1]
	v_pk_fma_f32 v[8:9], v[8:9], s[6:7], v[12:13] op_sel:[0,0,1] op_sel_hi:[1,0,0]
	v_pk_mul_f32 v[12:13], v[96:97], s[0:1] op_sel_hi:[0,1]
	v_mov_b32_e32 v17, v9
	v_pk_add_f32 v[8:9], v[14:15], v[16:17]
	global_store_dwordx2 v[10:11], v[8:9], off offset:128
	global_load_dwordx2 v[8:9], v[6:7], off offset:256
	v_pk_fma_f32 v[14:15], v[94:95], s[0:1], v[12:13] op_sel:[0,1,0] op_sel_hi:[1,0,1] neg_lo:[0,0,1] neg_hi:[0,0,1]
	v_pk_fma_f32 v[12:13], v[94:95], s[0:1], v[12:13] op_sel:[0,1,0] op_sel_hi:[0,0,1]
	v_mov_b32_e32 v15, v13
	s_waitcnt vmcnt(0)
	v_pk_mul_f32 v[12:13], v[8:9], s[2:3] op_sel_hi:[1,0]
	s_nop 0
	v_pk_fma_f32 v[16:17], v[8:9], s[6:7], v[12:13] op_sel:[0,0,1] op_sel_hi:[1,1,0] neg_lo:[0,0,1] neg_hi:[0,0,1]
	v_pk_fma_f32 v[8:9], v[8:9], s[6:7], v[12:13] op_sel:[0,0,1] op_sel_hi:[1,0,0]
	s_nop 0
	v_mov_b32_e32 v17, v9
	v_pk_add_f32 v[8:9], v[14:15], v[16:17]
	global_store_dwordx2 v[10:11], v[8:9], off offset:256
	global_load_dwordx2 v[6:7], v[6:7], off offset:384
	v_pk_mul_f32 v[8:9], v[92:93], s[0:1] op_sel_hi:[0,1]
	v_pk_fma_f32 v[12:13], v[90:91], s[0:1], v[8:9] op_sel:[0,1,0] op_sel_hi:[1,0,1] neg_lo:[0,0,1] neg_hi:[0,0,1]
	v_pk_fma_f32 v[8:9], v[90:91], s[0:1], v[8:9] op_sel:[0,1,0] op_sel_hi:[0,0,1]
	v_mov_b32_e32 v13, v9
	v_lshl_add_u64 v[8:9], v[4:5], 0, v[0:1]
	v_lshl_add_u64 v[4:5], v[4:5], 0, s[4:5]
	s_waitcnt vmcnt(0)
	v_pk_mul_f32 v[14:15], v[6:7], s[2:3] op_sel_hi:[1,0]
	s_nop 0
	v_pk_fma_f32 v[16:17], v[6:7], s[6:7], v[14:15] op_sel:[0,0,1] op_sel_hi:[1,1,0] neg_lo:[0,0,1] neg_hi:[0,0,1]
	v_pk_fma_f32 v[6:7], v[6:7], s[6:7], v[14:15] op_sel:[0,0,1] op_sel_hi:[1,0,0]
	s_nop 0
	v_mov_b32_e32 v17, v7
	v_pk_add_f32 v[6:7], v[12:13], v[16:17]
	global_store_dwordx2 v[10:11], v[6:7], off offset:384
	global_load_dwordx2 v[6:7], v[8:9], off
	v_pk_mul_f32 v[10:11], v[88:89], s[0:1] op_sel_hi:[0,1]
	v_pk_fma_f32 v[12:13], v[86:87], s[0:1], v[10:11] op_sel:[0,1,0] op_sel_hi:[1,0,1] neg_lo:[0,0,1] neg_hi:[0,0,1]
	v_pk_fma_f32 v[10:11], v[86:87], s[0:1], v[10:11] op_sel:[0,1,0] op_sel_hi:[0,0,1]
	v_mov_b32_e32 v13, v11
	v_lshl_add_u64 v[10:11], v[2:3], 0, v[0:1]
	v_lshl_add_u64 v[2:3], v[2:3], 0, s[8:9]
	s_waitcnt vmcnt(0)
	v_pk_mul_f32 v[14:15], v[6:7], s[2:3] op_sel_hi:[1,0]
	s_nop 0
	v_pk_fma_f32 v[16:17], v[6:7], s[6:7], v[14:15] op_sel:[0,0,1] op_sel_hi:[1,1,0] neg_lo:[0,0,1] neg_hi:[0,0,1]
	v_pk_fma_f32 v[6:7], v[6:7], s[6:7], v[14:15] op_sel:[0,0,1] op_sel_hi:[1,0,0]
	s_nop 0
	v_mov_b32_e32 v17, v7
	v_pk_add_f32 v[6:7], v[12:13], v[16:17]
	global_store_dwordx2 v[10:11], v[6:7], off
	global_load_dwordx2 v[6:7], v[8:9], off offset:128
	v_pk_mul_f32 v[12:13], v[84:85], s[0:1] op_sel_hi:[0,1]
	v_pk_fma_f32 v[14:15], v[82:83], s[0:1], v[12:13] op_sel:[0,1,0] op_sel_hi:[1,0,1] neg_lo:[0,0,1] neg_hi:[0,0,1]
	v_pk_fma_f32 v[12:13], v[82:83], s[0:1], v[12:13] op_sel:[0,1,0] op_sel_hi:[0,0,1]
	v_mov_b32_e32 v15, v13
	s_waitcnt vmcnt(0)
	v_pk_mul_f32 v[12:13], v[6:7], s[2:3] op_sel_hi:[1,0]
	s_nop 0
	v_pk_fma_f32 v[16:17], v[6:7], s[6:7], v[12:13] op_sel:[0,0,1] op_sel_hi:[1,1,0] neg_lo:[0,0,1] neg_hi:[0,0,1]
	v_pk_fma_f32 v[6:7], v[6:7], s[6:7], v[12:13] op_sel:[0,0,1] op_sel_hi:[1,0,0]
	v_pk_mul_f32 v[12:13], v[80:81], s[0:1] op_sel_hi:[0,1]
	v_mov_b32_e32 v17, v7
	v_pk_add_f32 v[6:7], v[14:15], v[16:17]
	global_store_dwordx2 v[10:11], v[6:7], off offset:128
	global_load_dwordx2 v[6:7], v[8:9], off offset:256
	v_pk_fma_f32 v[14:15], v[78:79], s[0:1], v[12:13] op_sel:[0,1,0] op_sel_hi:[1,0,1] neg_lo:[0,0,1] neg_hi:[0,0,1]
	v_pk_fma_f32 v[12:13], v[78:79], s[0:1], v[12:13] op_sel:[0,1,0] op_sel_hi:[0,0,1]
	v_mov_b32_e32 v15, v13
	s_waitcnt vmcnt(0)
	v_pk_mul_f32 v[12:13], v[6:7], s[2:3] op_sel_hi:[1,0]
	s_nop 0
	v_pk_fma_f32 v[16:17], v[6:7], s[6:7], v[12:13] op_sel:[0,0,1] op_sel_hi:[1,1,0] neg_lo:[0,0,1] neg_hi:[0,0,1]
	v_pk_fma_f32 v[6:7], v[6:7], s[6:7], v[12:13] op_sel:[0,0,1] op_sel_hi:[1,0,0]
	s_nop 0
	v_mov_b32_e32 v17, v7
	v_pk_add_f32 v[6:7], v[14:15], v[16:17]
	global_store_dwordx2 v[10:11], v[6:7], off offset:256
	global_load_dwordx2 v[6:7], v[8:9], off offset:384
	v_pk_mul_f32 v[8:9], v[76:77], s[0:1] op_sel_hi:[0,1]
	v_pk_fma_f32 v[12:13], v[74:75], s[0:1], v[8:9] op_sel:[0,1,0] op_sel_hi:[1,0,1] neg_lo:[0,0,1] neg_hi:[0,0,1]
	v_pk_fma_f32 v[8:9], v[74:75], s[0:1], v[8:9] op_sel:[0,1,0] op_sel_hi:[0,0,1]
	v_mov_b32_e32 v13, v9
	v_lshl_add_u64 v[8:9], v[4:5], 0, v[0:1]
	v_lshl_add_u64 v[4:5], v[4:5], 0, s[4:5]
	;; [unrolled: 1-line block ×3, first 2 shown]
	s_waitcnt vmcnt(0)
	v_pk_mul_f32 v[14:15], v[6:7], s[2:3] op_sel_hi:[1,0]
	s_nop 0
	v_pk_fma_f32 v[16:17], v[6:7], s[6:7], v[14:15] op_sel:[0,0,1] op_sel_hi:[1,1,0] neg_lo:[0,0,1] neg_hi:[0,0,1]
	v_pk_fma_f32 v[6:7], v[6:7], s[6:7], v[14:15] op_sel:[0,0,1] op_sel_hi:[1,0,0]
	s_nop 0
	v_mov_b32_e32 v17, v7
	v_pk_add_f32 v[6:7], v[12:13], v[16:17]
	global_store_dwordx2 v[10:11], v[6:7], off offset:384
	global_load_dwordx2 v[6:7], v[8:9], off
	v_pk_mul_f32 v[10:11], v[72:73], s[0:1] op_sel_hi:[0,1]
	v_pk_fma_f32 v[12:13], v[70:71], s[0:1], v[10:11] op_sel:[0,1,0] op_sel_hi:[1,0,1] neg_lo:[0,0,1] neg_hi:[0,0,1]
	v_pk_fma_f32 v[10:11], v[70:71], s[0:1], v[10:11] op_sel:[0,1,0] op_sel_hi:[0,0,1]
	v_mov_b32_e32 v13, v11
	v_lshl_add_u64 v[10:11], v[2:3], 0, v[0:1]
	v_lshl_add_u64 v[2:3], v[2:3], 0, s[8:9]
	;; [unrolled: 1-line block ×3, first 2 shown]
	s_waitcnt vmcnt(0)
	v_pk_mul_f32 v[14:15], v[6:7], s[2:3] op_sel_hi:[1,0]
	s_nop 0
	v_pk_fma_f32 v[16:17], v[6:7], s[6:7], v[14:15] op_sel:[0,0,1] op_sel_hi:[1,1,0] neg_lo:[0,0,1] neg_hi:[0,0,1]
	v_pk_fma_f32 v[6:7], v[6:7], s[6:7], v[14:15] op_sel:[0,0,1] op_sel_hi:[1,0,0]
	s_nop 0
	v_mov_b32_e32 v17, v7
	v_pk_add_f32 v[6:7], v[12:13], v[16:17]
	global_store_dwordx2 v[10:11], v[6:7], off
	global_load_dwordx2 v[6:7], v[8:9], off offset:128
	v_pk_mul_f32 v[12:13], v[68:69], s[0:1] op_sel_hi:[0,1]
	v_pk_fma_f32 v[14:15], v[66:67], s[0:1], v[12:13] op_sel:[0,1,0] op_sel_hi:[1,0,1] neg_lo:[0,0,1] neg_hi:[0,0,1]
	v_pk_fma_f32 v[12:13], v[66:67], s[0:1], v[12:13] op_sel:[0,1,0] op_sel_hi:[0,0,1]
	v_mov_b32_e32 v15, v13
	s_waitcnt vmcnt(0)
	v_pk_mul_f32 v[12:13], v[6:7], s[2:3] op_sel_hi:[1,0]
	s_nop 0
	v_pk_fma_f32 v[16:17], v[6:7], s[6:7], v[12:13] op_sel:[0,0,1] op_sel_hi:[1,1,0] neg_lo:[0,0,1] neg_hi:[0,0,1]
	v_pk_fma_f32 v[6:7], v[6:7], s[6:7], v[12:13] op_sel:[0,0,1] op_sel_hi:[1,0,0]
	v_pk_mul_f32 v[12:13], v[64:65], s[0:1] op_sel_hi:[0,1]
	v_mov_b32_e32 v17, v7
	v_pk_add_f32 v[6:7], v[14:15], v[16:17]
	global_store_dwordx2 v[10:11], v[6:7], off offset:128
	global_load_dwordx2 v[6:7], v[8:9], off offset:256
	v_pk_fma_f32 v[14:15], v[62:63], s[0:1], v[12:13] op_sel:[0,1,0] op_sel_hi:[1,0,1] neg_lo:[0,0,1] neg_hi:[0,0,1]
	v_pk_fma_f32 v[12:13], v[62:63], s[0:1], v[12:13] op_sel:[0,1,0] op_sel_hi:[0,0,1]
	v_mov_b32_e32 v15, v13
	s_waitcnt vmcnt(0)
	v_pk_mul_f32 v[12:13], v[6:7], s[2:3] op_sel_hi:[1,0]
	s_nop 0
	v_pk_fma_f32 v[16:17], v[6:7], s[6:7], v[12:13] op_sel:[0,0,1] op_sel_hi:[1,1,0] neg_lo:[0,0,1] neg_hi:[0,0,1]
	v_pk_fma_f32 v[6:7], v[6:7], s[6:7], v[12:13] op_sel:[0,0,1] op_sel_hi:[1,0,0]
	s_nop 0
	v_mov_b32_e32 v17, v7
	v_pk_add_f32 v[6:7], v[14:15], v[16:17]
	global_store_dwordx2 v[10:11], v[6:7], off offset:256
	global_load_dwordx2 v[6:7], v[8:9], off offset:384
	v_pk_mul_f32 v[8:9], v[60:61], s[0:1] op_sel_hi:[0,1]
	v_pk_fma_f32 v[12:13], v[56:57], s[0:1], v[8:9] op_sel:[0,1,0] op_sel_hi:[1,0,1] neg_lo:[0,0,1] neg_hi:[0,0,1]
	v_pk_fma_f32 v[8:9], v[56:57], s[0:1], v[8:9] op_sel:[0,1,0] op_sel_hi:[0,0,1]
	v_mov_b32_e32 v13, v9
	s_waitcnt vmcnt(0)
	v_pk_mul_f32 v[8:9], v[6:7], s[2:3] op_sel_hi:[1,0]
	s_nop 0
	v_pk_fma_f32 v[14:15], v[6:7], s[6:7], v[8:9] op_sel:[0,0,1] op_sel_hi:[1,1,0] neg_lo:[0,0,1] neg_hi:[0,0,1]
	v_pk_fma_f32 v[6:7], v[6:7], s[6:7], v[8:9] op_sel:[0,0,1] op_sel_hi:[1,0,0]
	v_pk_mul_f32 v[8:9], v[48:49], s[0:1] op_sel_hi:[0,1]
	v_mov_b32_e32 v15, v7
	v_pk_add_f32 v[6:7], v[12:13], v[14:15]
	global_store_dwordx2 v[10:11], v[6:7], off offset:384
	global_load_dwordx2 v[6:7], v[4:5], off
	v_pk_fma_f32 v[10:11], v[46:47], s[0:1], v[8:9] op_sel:[0,1,0] op_sel_hi:[1,0,1] neg_lo:[0,0,1] neg_hi:[0,0,1]
	v_pk_fma_f32 v[8:9], v[46:47], s[0:1], v[8:9] op_sel:[0,1,0] op_sel_hi:[0,0,1]
	v_mov_b32_e32 v11, v9
	s_waitcnt vmcnt(0)
	v_pk_mul_f32 v[2:3], v[6:7], s[2:3] op_sel_hi:[1,0]
	s_nop 0
	v_pk_fma_f32 v[8:9], v[6:7], s[6:7], v[2:3] op_sel:[0,0,1] op_sel_hi:[1,1,0] neg_lo:[0,0,1] neg_hi:[0,0,1]
	v_pk_fma_f32 v[2:3], v[6:7], s[6:7], v[2:3] op_sel:[0,0,1] op_sel_hi:[1,0,0]
	v_pk_mul_f32 v[6:7], v[44:45], s[0:1] op_sel_hi:[0,1]
	v_mov_b32_e32 v9, v3
	v_pk_add_f32 v[2:3], v[10:11], v[8:9]
	global_store_dwordx2 v[0:1], v[2:3], off
	global_load_dwordx2 v[2:3], v[4:5], off offset:128
	v_pk_fma_f32 v[8:9], v[42:43], s[0:1], v[6:7] op_sel:[0,1,0] op_sel_hi:[1,0,1] neg_lo:[0,0,1] neg_hi:[0,0,1]
	v_pk_fma_f32 v[6:7], v[42:43], s[0:1], v[6:7] op_sel:[0,1,0] op_sel_hi:[0,0,1]
	v_mov_b32_e32 v9, v7
	s_waitcnt vmcnt(0)
	v_pk_mul_f32 v[6:7], v[2:3], s[2:3] op_sel_hi:[1,0]
	s_nop 0
	v_pk_fma_f32 v[10:11], v[2:3], s[6:7], v[6:7] op_sel:[0,0,1] op_sel_hi:[1,1,0] neg_lo:[0,0,1] neg_hi:[0,0,1]
	v_pk_fma_f32 v[2:3], v[2:3], s[6:7], v[6:7] op_sel:[0,0,1] op_sel_hi:[1,0,0]
	v_mov_b32_e32 v6, v41
	v_mov_b32_e32 v11, v3
	v_pk_add_f32 v[2:3], v[8:9], v[10:11]
	global_store_dwordx2 v[0:1], v[2:3], off offset:128
	global_load_dwordx2 v[2:3], v[4:5], off offset:256
	v_pk_mul_f32 v[6:7], v[6:7], s[0:1] op_sel_hi:[0,1]
	v_pk_fma_f32 v[8:9], v[40:41], s[0:1], v[6:7] op_sel:[0,1,0] op_sel_hi:[1,0,1] neg_lo:[0,0,1] neg_hi:[0,0,1]
	v_pk_fma_f32 v[6:7], v[40:41], s[0:1], v[6:7] op_sel:[0,1,0] op_sel_hi:[0,0,1]
	v_mov_b32_e32 v9, v7
	s_waitcnt vmcnt(0)
	v_pk_mul_f32 v[6:7], v[2:3], s[2:3] op_sel_hi:[1,0]
	s_nop 0
	v_pk_fma_f32 v[10:11], v[2:3], s[6:7], v[6:7] op_sel:[0,0,1] op_sel_hi:[1,1,0] neg_lo:[0,0,1] neg_hi:[0,0,1]
	v_pk_fma_f32 v[2:3], v[2:3], s[6:7], v[6:7] op_sel:[0,0,1] op_sel_hi:[1,0,0]
	v_mov_b32_e32 v6, v58
	v_mov_b32_e32 v11, v3
	v_pk_add_f32 v[2:3], v[8:9], v[10:11]
	global_store_dwordx2 v[0:1], v[2:3], off offset:256
	global_load_dwordx2 v[2:3], v[4:5], off offset:384
	v_mul_f32_e32 v4, s1, v58
	s_mov_b32 s1, s7
	s_mov_b64 s[2:3], 0x180
	v_fma_f32 v8, -v59, s0, v4
	v_lshl_add_u64 v[4:5], v[0:1], 0, s[2:3]
	s_waitcnt vmcnt(0)
	v_mul_f32_e32 v9, s7, v3
	v_mov_b32_e32 v7, v2
	v_fma_f32 v9, v2, s6, -v9
	v_mov_b32_e32 v2, v59
	v_pk_mul_f32 v[2:3], v[2:3], s[10:11]
	v_add_f32_e32 v8, v8, v9
	v_pk_fma_f32 v[2:3], v[6:7], s[0:1], v[2:3]
	global_store_dword v[0:1], v8, off offset:384
	v_add_f32_e32 v6, v2, v3
.LBB97_7:
	global_store_dword v[4:5], v6, off offset:4
	s_endpgm
	.section	.rodata,"a",@progbits
	.p2align	6, 0x0
	.amdhsa_kernel _ZN12_GLOBAL__N_127rocblas_gemm_batched_kernelI19rocblas_complex_numIfELi16ELi16ELi64ELi64ELi4ELi64ELi4ELi4ELi64ELc84ELc67EKS2_S3_S2_EEvlllT_PT11_llS6_llS4_PT12_llPT13_lli
		.amdhsa_group_segment_fixed_size 4096
		.amdhsa_private_segment_fixed_size 0
		.amdhsa_kernarg_size 140
		.amdhsa_user_sgpr_count 2
		.amdhsa_user_sgpr_dispatch_ptr 0
		.amdhsa_user_sgpr_queue_ptr 0
		.amdhsa_user_sgpr_kernarg_segment_ptr 1
		.amdhsa_user_sgpr_dispatch_id 0
		.amdhsa_user_sgpr_kernarg_preload_length 0
		.amdhsa_user_sgpr_kernarg_preload_offset 0
		.amdhsa_user_sgpr_private_segment_size 0
		.amdhsa_uses_dynamic_stack 0
		.amdhsa_enable_private_segment 0
		.amdhsa_system_sgpr_workgroup_id_x 1
		.amdhsa_system_sgpr_workgroup_id_y 1
		.amdhsa_system_sgpr_workgroup_id_z 1
		.amdhsa_system_sgpr_workgroup_info 0
		.amdhsa_system_vgpr_workitem_id 1
		.amdhsa_next_free_vgpr 108
		.amdhsa_next_free_sgpr 28
		.amdhsa_accum_offset 108
		.amdhsa_reserve_vcc 1
		.amdhsa_float_round_mode_32 0
		.amdhsa_float_round_mode_16_64 0
		.amdhsa_float_denorm_mode_32 3
		.amdhsa_float_denorm_mode_16_64 3
		.amdhsa_dx10_clamp 1
		.amdhsa_ieee_mode 1
		.amdhsa_fp16_overflow 0
		.amdhsa_tg_split 0
		.amdhsa_exception_fp_ieee_invalid_op 0
		.amdhsa_exception_fp_denorm_src 0
		.amdhsa_exception_fp_ieee_div_zero 0
		.amdhsa_exception_fp_ieee_overflow 0
		.amdhsa_exception_fp_ieee_underflow 0
		.amdhsa_exception_fp_ieee_inexact 0
		.amdhsa_exception_int_div_zero 0
	.end_amdhsa_kernel
	.section	.text._ZN12_GLOBAL__N_127rocblas_gemm_batched_kernelI19rocblas_complex_numIfELi16ELi16ELi64ELi64ELi4ELi64ELi4ELi4ELi64ELc84ELc67EKS2_S3_S2_EEvlllT_PT11_llS6_llS4_PT12_llPT13_lli,"axG",@progbits,_ZN12_GLOBAL__N_127rocblas_gemm_batched_kernelI19rocblas_complex_numIfELi16ELi16ELi64ELi64ELi4ELi64ELi4ELi4ELi64ELc84ELc67EKS2_S3_S2_EEvlllT_PT11_llS6_llS4_PT12_llPT13_lli,comdat
.Lfunc_end97:
	.size	_ZN12_GLOBAL__N_127rocblas_gemm_batched_kernelI19rocblas_complex_numIfELi16ELi16ELi64ELi64ELi4ELi64ELi4ELi4ELi64ELc84ELc67EKS2_S3_S2_EEvlllT_PT11_llS6_llS4_PT12_llPT13_lli, .Lfunc_end97-_ZN12_GLOBAL__N_127rocblas_gemm_batched_kernelI19rocblas_complex_numIfELi16ELi16ELi64ELi64ELi4ELi64ELi4ELi4ELi64ELc84ELc67EKS2_S3_S2_EEvlllT_PT11_llS6_llS4_PT12_llPT13_lli
                                        ; -- End function
	.set _ZN12_GLOBAL__N_127rocblas_gemm_batched_kernelI19rocblas_complex_numIfELi16ELi16ELi64ELi64ELi4ELi64ELi4ELi4ELi64ELc84ELc67EKS2_S3_S2_EEvlllT_PT11_llS6_llS4_PT12_llPT13_lli.num_vgpr, 108
	.set _ZN12_GLOBAL__N_127rocblas_gemm_batched_kernelI19rocblas_complex_numIfELi16ELi16ELi64ELi64ELi4ELi64ELi4ELi4ELi64ELc84ELc67EKS2_S3_S2_EEvlllT_PT11_llS6_llS4_PT12_llPT13_lli.num_agpr, 0
	.set _ZN12_GLOBAL__N_127rocblas_gemm_batched_kernelI19rocblas_complex_numIfELi16ELi16ELi64ELi64ELi4ELi64ELi4ELi4ELi64ELc84ELc67EKS2_S3_S2_EEvlllT_PT11_llS6_llS4_PT12_llPT13_lli.numbered_sgpr, 28
	.set _ZN12_GLOBAL__N_127rocblas_gemm_batched_kernelI19rocblas_complex_numIfELi16ELi16ELi64ELi64ELi4ELi64ELi4ELi4ELi64ELc84ELc67EKS2_S3_S2_EEvlllT_PT11_llS6_llS4_PT12_llPT13_lli.num_named_barrier, 0
	.set _ZN12_GLOBAL__N_127rocblas_gemm_batched_kernelI19rocblas_complex_numIfELi16ELi16ELi64ELi64ELi4ELi64ELi4ELi4ELi64ELc84ELc67EKS2_S3_S2_EEvlllT_PT11_llS6_llS4_PT12_llPT13_lli.private_seg_size, 0
	.set _ZN12_GLOBAL__N_127rocblas_gemm_batched_kernelI19rocblas_complex_numIfELi16ELi16ELi64ELi64ELi4ELi64ELi4ELi4ELi64ELc84ELc67EKS2_S3_S2_EEvlllT_PT11_llS6_llS4_PT12_llPT13_lli.uses_vcc, 1
	.set _ZN12_GLOBAL__N_127rocblas_gemm_batched_kernelI19rocblas_complex_numIfELi16ELi16ELi64ELi64ELi4ELi64ELi4ELi4ELi64ELc84ELc67EKS2_S3_S2_EEvlllT_PT11_llS6_llS4_PT12_llPT13_lli.uses_flat_scratch, 0
	.set _ZN12_GLOBAL__N_127rocblas_gemm_batched_kernelI19rocblas_complex_numIfELi16ELi16ELi64ELi64ELi4ELi64ELi4ELi4ELi64ELc84ELc67EKS2_S3_S2_EEvlllT_PT11_llS6_llS4_PT12_llPT13_lli.has_dyn_sized_stack, 0
	.set _ZN12_GLOBAL__N_127rocblas_gemm_batched_kernelI19rocblas_complex_numIfELi16ELi16ELi64ELi64ELi4ELi64ELi4ELi4ELi64ELc84ELc67EKS2_S3_S2_EEvlllT_PT11_llS6_llS4_PT12_llPT13_lli.has_recursion, 0
	.set _ZN12_GLOBAL__N_127rocblas_gemm_batched_kernelI19rocblas_complex_numIfELi16ELi16ELi64ELi64ELi4ELi64ELi4ELi4ELi64ELc84ELc67EKS2_S3_S2_EEvlllT_PT11_llS6_llS4_PT12_llPT13_lli.has_indirect_call, 0
	.section	.AMDGPU.csdata,"",@progbits
; Kernel info:
; codeLenInByte = 5208
; TotalNumSgprs: 34
; NumVgprs: 108
; NumAgprs: 0
; TotalNumVgprs: 108
; ScratchSize: 0
; MemoryBound: 0
; FloatMode: 240
; IeeeMode: 1
; LDSByteSize: 4096 bytes/workgroup (compile time only)
; SGPRBlocks: 4
; VGPRBlocks: 13
; NumSGPRsForWavesPerEU: 34
; NumVGPRsForWavesPerEU: 108
; AccumOffset: 108
; Occupancy: 4
; WaveLimiterHint : 1
; COMPUTE_PGM_RSRC2:SCRATCH_EN: 0
; COMPUTE_PGM_RSRC2:USER_SGPR: 2
; COMPUTE_PGM_RSRC2:TRAP_HANDLER: 0
; COMPUTE_PGM_RSRC2:TGID_X_EN: 1
; COMPUTE_PGM_RSRC2:TGID_Y_EN: 1
; COMPUTE_PGM_RSRC2:TGID_Z_EN: 1
; COMPUTE_PGM_RSRC2:TIDIG_COMP_CNT: 1
; COMPUTE_PGM_RSRC3_GFX90A:ACCUM_OFFSET: 26
; COMPUTE_PGM_RSRC3_GFX90A:TG_SPLIT: 0
	.section	.text._ZN12_GLOBAL__N_127rocblas_gemm_batched_kernelI19rocblas_complex_numIfELi16ELi16ELi32ELi32ELi8ELi32ELi8ELi8ELi32ELc78ELc78EKS2_S3_S2_EEvlllT_PT11_llS6_llS4_PT12_llPT13_lli,"axG",@progbits,_ZN12_GLOBAL__N_127rocblas_gemm_batched_kernelI19rocblas_complex_numIfELi16ELi16ELi32ELi32ELi8ELi32ELi8ELi8ELi32ELc78ELc78EKS2_S3_S2_EEvlllT_PT11_llS6_llS4_PT12_llPT13_lli,comdat
	.globl	_ZN12_GLOBAL__N_127rocblas_gemm_batched_kernelI19rocblas_complex_numIfELi16ELi16ELi32ELi32ELi8ELi32ELi8ELi8ELi32ELc78ELc78EKS2_S3_S2_EEvlllT_PT11_llS6_llS4_PT12_llPT13_lli ; -- Begin function _ZN12_GLOBAL__N_127rocblas_gemm_batched_kernelI19rocblas_complex_numIfELi16ELi16ELi32ELi32ELi8ELi32ELi8ELi8ELi32ELc78ELc78EKS2_S3_S2_EEvlllT_PT11_llS6_llS4_PT12_llPT13_lli
	.p2align	8
	.type	_ZN12_GLOBAL__N_127rocblas_gemm_batched_kernelI19rocblas_complex_numIfELi16ELi16ELi32ELi32ELi8ELi32ELi8ELi8ELi32ELc78ELc78EKS2_S3_S2_EEvlllT_PT11_llS6_llS4_PT12_llPT13_lli,@function
_ZN12_GLOBAL__N_127rocblas_gemm_batched_kernelI19rocblas_complex_numIfELi16ELi16ELi32ELi32ELi8ELi32ELi8ELi8ELi32ELc78ELc78EKS2_S3_S2_EEvlllT_PT11_llS6_llS4_PT12_llPT13_lli: ; @_ZN12_GLOBAL__N_127rocblas_gemm_batched_kernelI19rocblas_complex_numIfELi16ELi16ELi32ELi32ELi8ELi32ELi8ELi8ELi32ELc78ELc78EKS2_S3_S2_EEvlllT_PT11_llS6_llS4_PT12_llPT13_lli
; %bb.0:
	s_load_dwordx16 s[8:23], s[0:1], 0x10
	s_load_dwordx2 s[6:7], s[0:1], 0x50
	s_mov_b32 s24, s3
	v_mov_b32_e32 v27, 0
	s_ashr_i32 s3, s2, 31
	s_ashr_i32 s25, s24, 31
	s_waitcnt lgkmcnt(0)
	v_cmp_lt_i64_e64 s[26:27], s[8:9], 1
	v_bfe_u32 v26, v0, 10, 10
	v_and_b32_e32 v24, 0x3ff, v0
	v_mov_b32_e32 v25, v27
	s_lshl_b64 s[2:3], s[2:3], 5
	s_lshl_b64 s[24:25], s[24:25], 5
	s_and_b64 vcc, exec, s[26:27]
	v_mov_b32_e32 v21, v27
	v_mov_b32_e32 v20, v27
	;; [unrolled: 1-line block ×8, first 2 shown]
	s_cbranch_vccnz .LBB98_3
; %bb.1:
	v_lshl_add_u32 v4, v26, 4, v24
	v_lshrrev_b32_e32 v9, 5, v4
	v_mov_b64_e32 v[6:7], s[2:3]
	v_and_b32_e32 v2, 31, v4
	s_mul_i32 s5, s17, s4
	s_mul_hi_u32 s17, s16, s4
	v_mad_u64_u32 v[6:7], s[26:27], s14, v9, v[6:7]
	v_lshrrev_b32_e32 v22, 3, v4
	v_lshlrev_b32_e32 v4, 3, v2
	s_add_i32 s17, s17, s5
	s_mul_i32 s16, s16, s4
	v_mov_b32_e32 v8, v7
	v_mov_b32_e32 v23, 0
	v_lshl_or_b32 v29, v9, 8, v4
	s_lshl_b64 s[16:17], s[16:17], 3
	v_mad_u64_u32 v[8:9], s[26:27], s15, v9, v[8:9]
	v_mov_b32_e32 v3, v23
	v_mov_b32_e32 v7, v8
	s_add_u32 s12, s12, s16
	v_lshl_add_u64 v[0:1], v[22:23], 0, s[24:25]
	v_lshl_add_u64 v[2:3], v[6:7], 0, v[2:3]
	s_addc_u32 s13, s13, s17
	v_and_b32_e32 v5, 7, v24
	v_lshl_add_u64 v[36:37], v[2:3], 3, s[12:13]
	s_lshl_b64 s[12:13], s[14:15], 6
	v_mul_lo_u32 v2, s21, v0
	v_mul_lo_u32 v3, s20, v1
	v_mad_u64_u32 v[0:1], s[14:15], s20, v0, 0
	v_lshlrev_b32_e32 v4, 3, v5
	s_mul_i32 s5, s23, s4
	s_mul_hi_u32 s14, s22, s4
	v_lshl_or_b32 v5, v22, 6, v4
	s_add_i32 s15, s14, s5
	s_mul_i32 s14, s22, s4
	v_add_u32_e32 v31, 0x800, v5
	v_mov_b32_e32 v5, 0x800
	v_add3_u32 v1, v1, v3, v2
	s_lshl_b64 s[14:15], s[14:15], 3
	v_lshl_add_u32 v35, v26, 6, v5
	v_lshl_add_u64 v[0:1], v[0:1], 3, s[14:15]
	v_mov_b32_e32 v5, v23
	v_lshl_add_u64 v[0:1], v[0:1], 0, v[4:5]
	v_lshlrev_b32_e32 v33, 3, v24
	v_lshl_add_u64 v[38:39], s[18:19], 0, v[0:1]
	s_mov_b64 s[14:15], 0
	v_mov_b64_e32 v[40:41], s[8:9]
	v_mov_b32_e32 v22, v23
	v_mov_b32_e32 v30, v23
	v_mov_b32_e32 v28, v23
	v_mov_b32_e32 v34, v23
	v_mov_b32_e32 v32, v23
	v_mov_b32_e32 v20, v23
	v_mov_b32_e32 v21, v23
.LBB98_2:                               ; =>This Inner Loop Header: Depth=1
	global_load_dwordx2 v[0:1], v[36:37], off
	global_load_dwordx2 v[2:3], v[38:39], off
	s_add_u32 s14, s14, 8
	s_addc_u32 s15, s15, 0
	v_cmp_lt_i64_e32 vcc, s[14:15], v[40:41]
	v_lshl_add_u64 v[36:37], v[36:37], 0, s[12:13]
	v_lshl_add_u64 v[38:39], v[38:39], 0, 64
	s_and_b64 vcc, exec, vcc
	s_waitcnt vmcnt(1)
	ds_write_b64 v29, v[0:1]
	s_waitcnt vmcnt(0)
	ds_write_b64 v31, v[2:3]
	s_waitcnt lgkmcnt(0)
	s_barrier
	ds_read2_b64 v[4:7], v33 offset1:16
	ds_read_b128 v[8:11], v35
	ds_read_b128 v[0:3], v35 offset:16
	ds_read2_b64 v[12:15], v33 offset0:32 offset1:48
	ds_read_b128 v[16:19], v35 offset:1024
	ds_read_b128 v[42:45], v35 offset:1040
	ds_read2_b64 v[46:49], v33 offset0:64 offset1:80
	ds_read2_b64 v[50:53], v33 offset0:96 offset1:112
	;; [unrolled: 1-line block ×4, first 2 shown]
	ds_read_b128 v[62:65], v35 offset:1056
	ds_read_b128 v[66:69], v35 offset:32
	;; [unrolled: 1-line block ×3, first 2 shown]
	s_waitcnt lgkmcnt(11)
	v_mul_f32_e32 v78, v9, v5
	v_mul_f32_e32 v80, v8, v5
	;; [unrolled: 1-line block ×4, first 2 shown]
	s_waitcnt lgkmcnt(9)
	v_mul_f32_e32 v82, v11, v13
	v_mul_f32_e32 v83, v10, v13
	;; [unrolled: 1-line block ×4, first 2 shown]
	s_waitcnt lgkmcnt(8)
	v_mul_f32_e32 v86, v17, v5
	v_mul_f32_e32 v87, v16, v5
	v_pk_mul_f32 v[74:75], v[16:17], v[6:7] op_sel:[1,1] op_sel_hi:[0,1]
	v_mul_f32_e32 v5, v19, v13
	v_mul_f32_e32 v88, v18, v13
	v_pk_mul_f32 v[76:77], v[18:19], v[14:15] op_sel:[1,1] op_sel_hi:[0,1]
	v_fma_f32 v89, v8, v4, -v78
	v_fmac_f32_e32 v80, v9, v4
	v_fma_f32 v90, v8, v6, -v79
	v_fmac_f32_e32 v81, v9, v6
	;; [unrolled: 2-line block ×5, first 2 shown]
	v_pk_fma_f32 v[78:79], v[16:17], v[6:7], v[74:75] neg_lo:[0,0,1] neg_hi:[0,0,1]
	v_pk_fma_f32 v[16:17], v[16:17], v[6:7], v[74:75] op_sel_hi:[1,0,1]
	v_fma_f32 v74, v18, v12, -v5
	v_fmac_f32_e32 v88, v19, v12
	v_pk_fma_f32 v[12:13], v[18:19], v[14:15], v[76:77] neg_lo:[0,0,1] neg_hi:[0,0,1]
	v_pk_fma_f32 v[14:15], v[18:19], v[14:15], v[76:77] op_sel_hi:[1,0,1]
	s_waitcnt lgkmcnt(5)
	v_mul_f32_e32 v7, v3, v51
	v_mul_f32_e32 v9, v3, v53
	;; [unrolled: 1-line block ×4, first 2 shown]
	v_pk_mul_f32 v[4:5], v[42:43], v[48:49] op_sel:[1,1] op_sel_hi:[0,1]
	v_mul_f32_e32 v8, v1, v47
	v_mul_f32_e32 v91, v0, v47
	;; [unrolled: 1-line block ×6, first 2 shown]
	v_fma_f32 v93, v2, v50, -v7
	v_fma_f32 v94, v2, v52, -v9
	v_mul_f32_e32 v2, v45, v51
	v_fma_f32 v96, v42, v46, -v10
	v_fmac_f32_e32 v76, v43, v46
	v_pk_fma_f32 v[18:19], v[42:43], v[48:49], v[4:5] neg_lo:[0,0,1] neg_hi:[0,0,1]
	v_pk_fma_f32 v[42:43], v[42:43], v[48:49], v[4:5] op_sel_hi:[1,0,1]
	s_waitcnt lgkmcnt(1)
	v_mul_f32_e32 v98, v68, v59
	v_mul_f32_e32 v99, v68, v61
	;; [unrolled: 1-line block ×3, first 2 shown]
	v_fma_f32 v77, v0, v46, -v8
	v_fmac_f32_e32 v91, v1, v46
	v_fma_f32 v92, v0, v48, -v6
	v_fmac_f32_e32 v16, v1, v48
	v_fmac_f32_e32 v14, v3, v50
	;; [unrolled: 1-line block ×3, first 2 shown]
	v_mul_f32_e32 v95, v44, v51
	v_pk_mul_f32 v[0:1], v[44:45], v[52:53] op_sel:[1,1] op_sel_hi:[0,1]
	v_fma_f32 v42, v44, v50, -v2
	v_mul_f32_e32 v2, v69, v59
	v_mul_f32_e32 v3, v69, v61
	v_fmac_f32_e32 v98, v69, v58
	v_fmac_f32_e32 v99, v69, v60
	v_fma_f32 v69, v62, v54, -v4
	v_pk_mul_f32 v[4:5], v[62:63], v[56:57] op_sel:[1,1] op_sel_hi:[0,1]
	v_fmac_f32_e32 v95, v45, v50
	v_pk_fma_f32 v[46:47], v[44:45], v[52:53], v[0:1] neg_lo:[0,0,1] neg_hi:[0,0,1]
	v_pk_fma_f32 v[44:45], v[44:45], v[52:53], v[0:1] op_sel_hi:[1,0,1]
	v_pk_fma_f32 v[48:49], v[62:63], v[56:57], v[4:5] neg_lo:[0,0,1] neg_hi:[0,0,1]
	v_pk_fma_f32 v[50:51], v[62:63], v[56:57], v[4:5] op_sel_hi:[1,0,1]
	v_mul_f32_e32 v4, v65, v59
	v_mul_f32_e32 v0, v67, v55
	;; [unrolled: 1-line block ×4, first 2 shown]
	v_fma_f32 v50, v64, v58, -v4
	v_pk_mul_f32 v[4:5], v[64:65], v[60:61] op_sel:[1,1] op_sel_hi:[0,1]
	v_fma_f32 v100, v66, v54, -v0
	v_fmac_f32_e32 v44, v67, v54
	v_fmac_f32_e32 v101, v63, v54
	v_pk_fma_f32 v[52:53], v[64:65], v[60:61], v[4:5] neg_lo:[0,0,1] neg_hi:[0,0,1]
	v_pk_fma_f32 v[54:55], v[64:65], v[60:61], v[4:5] op_sel_hi:[1,0,1]
	ds_read2_b64 v[4:7], v33 offset0:192 offset1:208
	v_mul_f32_e32 v97, v66, v57
	v_mul_f32_e32 v1, v67, v57
	v_fmac_f32_e32 v97, v67, v56
	v_fma_f32 v67, v68, v58, -v2
	s_waitcnt lgkmcnt(0)
	v_mul_f32_e32 v8, v71, v5
	v_fma_f32 v54, v70, v4, -v8
	v_mul_f32_e32 v8, v71, v7
	v_fma_f32 v68, v68, v60, -v3
	v_fma_f32 v60, v70, v6, -v8
	ds_read2_b64 v[8:11], v33 offset0:224 offset1:240
	v_fma_f32 v66, v66, v56, -v1
	ds_read_b128 v[0:3], v35 offset:1072
	v_mul_f32_e32 v59, v64, v59
	v_fmac_f32_e32 v59, v65, v58
	s_waitcnt lgkmcnt(1)
	v_mul_f32_e32 v13, v73, v9
	v_mul_f32_e32 v58, v70, v5
	v_mul_f32_e32 v61, v70, v7
	v_fma_f32 v62, v72, v8, -v13
	v_mul_f32_e32 v13, v73, v11
	v_fmac_f32_e32 v58, v71, v4
	v_fmac_f32_e32 v61, v71, v6
	v_fma_f32 v64, v72, v10, -v13
	s_waitcnt lgkmcnt(0)
	v_mul_f32_e32 v13, v1, v5
	v_mul_f32_e32 v71, v0, v5
	v_fma_f32 v70, v0, v4, -v13
	v_fmac_f32_e32 v71, v1, v4
	v_pk_mul_f32 v[4:5], v[0:1], v[6:7] op_sel:[1,1] op_sel_hi:[0,1]
	v_pk_fma_f32 v[56:57], v[0:1], v[6:7], v[4:5] neg_lo:[0,0,1] neg_hi:[0,0,1]
	v_pk_fma_f32 v[0:1], v[0:1], v[6:7], v[4:5] op_sel_hi:[1,0,1]
	v_mul_f32_e32 v63, v72, v9
	v_mul_f32_e32 v0, v3, v9
	v_mul_f32_e32 v9, v2, v9
	v_pk_mul_f32 v[4:5], v[2:3], v[10:11] op_sel:[1,1] op_sel_hi:[0,1]
	v_mul_f32_e32 v65, v72, v11
	v_fma_f32 v72, v2, v8, -v0
	v_fmac_f32_e32 v9, v3, v8
	v_pk_fma_f32 v[6:7], v[2:3], v[10:11], v[4:5] neg_lo:[0,0,1] neg_hi:[0,0,1]
	v_pk_fma_f32 v[2:3], v[2:3], v[10:11], v[4:5] op_sel_hi:[1,0,1]
	v_mov_b32_e32 v79, v17
	v_fmac_f32_e32 v63, v73, v8
	v_fmac_f32_e32 v65, v73, v10
	v_add_f32_e32 v2, v32, v89
	v_add_f32_e32 v4, v34, v80
	;; [unrolled: 1-line block ×6, first 2 shown]
	v_mov_b32_e32 v13, v15
	v_mov_b32_e32 v57, v1
	v_pk_add_f32 v[0:1], v[20:21], v[78:79]
	v_mov_b32_e32 v19, v43
	v_mov_b32_e32 v7, v3
	v_add_f32_e32 v2, v2, v82
	v_add_f32_e32 v3, v4, v83
	v_add_f32_e32 v4, v5, v84
	v_add_f32_e32 v5, v8, v85
	v_add_f32_e32 v8, v10, v74
	v_add_f32_e32 v10, v11, v88
	v_pk_add_f32 v[0:1], v[0:1], v[12:13]
	v_mov_b32_e32 v47, v45
	v_add_f32_e32 v2, v2, v77
	v_add_f32_e32 v3, v3, v91
	v_add_f32_e32 v4, v4, v92
	v_add_f32_e32 v5, v5, v16
	v_add_f32_e32 v8, v8, v96
	v_add_f32_e32 v10, v10, v76
	v_pk_add_f32 v[0:1], v[0:1], v[18:19]
	;; [unrolled: 8-line block ×4, first 2 shown]
	v_add_f32_e32 v2, v2, v67
	v_add_f32_e32 v3, v3, v98
	v_add_f32_e32 v4, v4, v68
	v_add_f32_e32 v5, v5, v99
	v_add_f32_e32 v8, v8, v50
	v_add_f32_e32 v10, v10, v59
	v_pk_add_f32 v[0:1], v[0:1], v[52:53]
	v_add_f32_e32 v2, v2, v54
	v_add_f32_e32 v3, v3, v58
	v_add_f32_e32 v4, v4, v60
	v_add_f32_e32 v5, v5, v61
	v_add_f32_e32 v8, v8, v70
	v_add_f32_e32 v10, v10, v71
	v_pk_add_f32 v[0:1], v[0:1], v[56:57]
	;; [unrolled: 7-line block ×3, first 2 shown]
	s_barrier
	s_cbranch_vccnz .LBB98_2
.LBB98_3:
	s_load_dwordx4 s[20:23], s[0:1], 0x78
	s_load_dwordx8 s[12:19], s[0:1], 0x58
	v_lshl_add_u64 v[0:1], s[24:25], 0, v[26:27]
	v_lshl_add_u64 v[2:3], s[2:3], 0, v[24:25]
	s_waitcnt lgkmcnt(0)
	s_mul_i32 s1, s23, s4
	s_mul_hi_u32 s5, s22, s4
	s_mul_i32 s0, s22, s4
	s_add_i32 s1, s5, s1
	s_lshl_b64 s[0:1], s[0:1], 3
	s_add_u32 s8, s18, s0
	s_addc_u32 s9, s19, s1
	s_or_b32 s0, s6, s7
	s_bitset0_b32 s0, 31
	s_cmp_lg_u32 s0, 0
	s_mov_b32 s0, s11
	s_mov_b32 s1, s10
	s_cbranch_scc1 .LBB98_5
; %bb.4:
	v_mul_lo_u32 v6, v1, s20
	v_mul_lo_u32 v7, v0, s21
	v_mad_u64_u32 v[4:5], s[2:3], v0, s20, 0
	v_add3_u32 v5, v5, v7, v6
	v_pk_mul_f32 v[10:11], v[34:35], s[0:1] op_sel_hi:[0,1]
	v_lshl_add_u64 v[4:5], v[4:5], 3, s[8:9]
	v_lshlrev_b64 v[6:7], 3, v[2:3]
	v_pk_fma_f32 v[12:13], v[32:33], s[0:1], v[10:11] op_sel:[0,1,0] op_sel_hi:[1,0,1] neg_lo:[0,0,1] neg_hi:[0,0,1]
	v_pk_fma_f32 v[10:11], v[32:33], s[0:1], v[10:11] op_sel:[0,1,0] op_sel_hi:[0,0,1]
	v_lshl_add_u64 v[8:9], v[4:5], 0, v[6:7]
	v_mov_b32_e32 v13, v11
	v_pk_mul_f32 v[10:11], v[30:31], s[0:1] op_sel_hi:[0,1]
	global_store_dwordx2 v[8:9], v[12:13], off
	v_pk_fma_f32 v[12:13], v[28:29], s[0:1], v[10:11] op_sel:[0,1,0] op_sel_hi:[1,0,1] neg_lo:[0,0,1] neg_hi:[0,0,1]
	v_pk_fma_f32 v[10:11], v[28:29], s[0:1], v[10:11] op_sel:[0,1,0] op_sel_hi:[0,0,1]
	s_lshl_b64 s[2:3], s[20:21], 7
	v_mov_b32_e32 v13, v11
	v_lshl_add_u64 v[4:5], v[4:5], 0, s[2:3]
	global_store_dwordx2 v[8:9], v[12:13], off offset:128
	v_lshl_add_u64 v[8:9], v[4:5], 0, v[6:7]
	v_mov_b32_e32 v4, v23
	v_pk_mul_f32 v[4:5], v[4:5], s[0:1] op_sel_hi:[0,1]
	v_pk_fma_f32 v[6:7], v[22:23], s[0:1], v[4:5] op_sel:[0,1,0] op_sel_hi:[1,0,1] neg_lo:[0,0,1] neg_hi:[0,0,1]
	v_pk_fma_f32 v[4:5], v[22:23], s[0:1], v[4:5] op_sel:[0,1,0] op_sel_hi:[0,0,1]
	v_mov_b32_e32 v7, v5
	v_mul_f32_e32 v4, s1, v20
	global_store_dwordx2 v[8:9], v[6:7], off
	v_fma_f32 v7, -v21, s0, v4
	v_pk_mul_f32 v[4:5], v[20:21], s[0:1]
	s_mov_b64 s[2:3], 0x80
	v_add_f32_e32 v6, v4, v5
	v_lshl_add_u64 v[4:5], v[8:9], 0, s[2:3]
	global_store_dword v[8:9], v7, off offset:128
	s_cbranch_execz .LBB98_6
	s_branch .LBB98_7
.LBB98_5:
                                        ; implicit-def: $vgpr6
                                        ; implicit-def: $vgpr4_vgpr5
.LBB98_6:
	s_mul_i32 s2, s17, s4
	s_mul_hi_u32 s3, s16, s4
	s_add_i32 s3, s3, s2
	s_mul_i32 s2, s16, s4
	s_lshl_b64 s[2:3], s[2:3], 3
	s_add_u32 s2, s12, s2
	v_mul_lo_u32 v6, v1, s14
	v_mul_lo_u32 v7, v0, s15
	v_mad_u64_u32 v[4:5], s[4:5], v0, s14, 0
	s_addc_u32 s3, s13, s3
	v_add3_u32 v5, v5, v7, v6
	v_lshl_add_u64 v[4:5], v[4:5], 3, s[2:3]
	v_lshlrev_b64 v[2:3], 3, v[2:3]
	v_lshl_add_u64 v[6:7], v[4:5], 0, v[2:3]
	global_load_dwordx2 v[8:9], v[6:7], off
	v_mul_lo_u32 v12, v1, s20
	v_mul_lo_u32 v13, v0, s21
	v_mad_u64_u32 v[0:1], s[2:3], v0, s20, 0
	s_mov_b32 s2, s7
	v_pk_mul_f32 v[10:11], v[34:35], s[0:1] op_sel_hi:[0,1]
	v_add3_u32 v1, v1, v13, v12
	v_pk_fma_f32 v[12:13], v[32:33], s[0:1], v[10:11] op_sel:[0,1,0] op_sel_hi:[1,0,1] neg_lo:[0,0,1] neg_hi:[0,0,1]
	v_pk_fma_f32 v[10:11], v[32:33], s[0:1], v[10:11] op_sel:[0,1,0] op_sel_hi:[0,0,1]
	v_lshl_add_u64 v[0:1], v[0:1], 3, s[8:9]
	v_mov_b32_e32 v13, v11
	v_lshl_add_u64 v[10:11], v[0:1], 0, v[2:3]
	s_lshl_b64 s[4:5], s[14:15], 7
	v_lshl_add_u64 v[4:5], v[4:5], 0, s[4:5]
	v_lshl_add_u64 v[4:5], v[4:5], 0, v[2:3]
	s_lshl_b64 s[4:5], s[20:21], 7
	v_lshl_add_u64 v[0:1], v[0:1], 0, s[4:5]
	v_lshl_add_u64 v[0:1], v[0:1], 0, v[2:3]
	s_mov_b32 s11, s6
	s_waitcnt vmcnt(0)
	v_pk_mul_f32 v[14:15], v[8:9], s[2:3] op_sel_hi:[1,0]
	s_nop 0
	v_pk_fma_f32 v[16:17], v[8:9], s[6:7], v[14:15] op_sel:[0,0,1] op_sel_hi:[1,1,0] neg_lo:[0,0,1] neg_hi:[0,0,1]
	v_pk_fma_f32 v[8:9], v[8:9], s[6:7], v[14:15] op_sel:[0,0,1] op_sel_hi:[1,0,0]
	s_nop 0
	v_mov_b32_e32 v17, v9
	v_pk_add_f32 v[8:9], v[12:13], v[16:17]
	global_store_dwordx2 v[10:11], v[8:9], off
	global_load_dwordx2 v[6:7], v[6:7], off offset:128
	v_pk_mul_f32 v[8:9], v[30:31], s[0:1] op_sel_hi:[0,1]
	v_pk_fma_f32 v[12:13], v[28:29], s[0:1], v[8:9] op_sel:[0,1,0] op_sel_hi:[1,0,1] neg_lo:[0,0,1] neg_hi:[0,0,1]
	v_pk_fma_f32 v[8:9], v[28:29], s[0:1], v[8:9] op_sel:[0,1,0] op_sel_hi:[0,0,1]
	v_mov_b32_e32 v13, v9
	s_waitcnt vmcnt(0)
	v_pk_mul_f32 v[8:9], v[6:7], s[2:3] op_sel_hi:[1,0]
	s_nop 0
	v_pk_fma_f32 v[14:15], v[6:7], s[6:7], v[8:9] op_sel:[0,0,1] op_sel_hi:[1,1,0] neg_lo:[0,0,1] neg_hi:[0,0,1]
	v_pk_fma_f32 v[6:7], v[6:7], s[6:7], v[8:9] op_sel:[0,0,1] op_sel_hi:[1,0,0]
	v_mov_b32_e32 v8, v23
	v_mov_b32_e32 v15, v7
	v_pk_add_f32 v[6:7], v[12:13], v[14:15]
	global_store_dwordx2 v[10:11], v[6:7], off offset:128
	global_load_dwordx2 v[6:7], v[4:5], off
	v_pk_mul_f32 v[8:9], v[8:9], s[0:1] op_sel_hi:[0,1]
	v_pk_fma_f32 v[10:11], v[22:23], s[0:1], v[8:9] op_sel:[0,1,0] op_sel_hi:[1,0,1] neg_lo:[0,0,1] neg_hi:[0,0,1]
	v_pk_fma_f32 v[8:9], v[22:23], s[0:1], v[8:9] op_sel:[0,1,0] op_sel_hi:[0,0,1]
	v_mov_b32_e32 v11, v9
	s_waitcnt vmcnt(0)
	v_pk_mul_f32 v[2:3], v[6:7], s[2:3] op_sel_hi:[1,0]
	s_nop 0
	v_pk_fma_f32 v[8:9], v[6:7], s[6:7], v[2:3] op_sel:[0,0,1] op_sel_hi:[1,1,0] neg_lo:[0,0,1] neg_hi:[0,0,1]
	v_pk_fma_f32 v[2:3], v[6:7], s[6:7], v[2:3] op_sel:[0,0,1] op_sel_hi:[1,0,0]
	v_mov_b32_e32 v6, v20
	v_mov_b32_e32 v9, v3
	v_pk_add_f32 v[2:3], v[10:11], v[8:9]
	global_store_dwordx2 v[0:1], v[2:3], off
	global_load_dwordx2 v[2:3], v[4:5], off offset:128
	v_mul_f32_e32 v4, s1, v20
	s_mov_b32 s1, s7
	s_mov_b64 s[2:3], 0x80
	v_fma_f32 v8, -v21, s0, v4
	v_lshl_add_u64 v[4:5], v[0:1], 0, s[2:3]
	s_waitcnt vmcnt(0)
	v_mul_f32_e32 v9, s7, v3
	v_mov_b32_e32 v7, v2
	v_fma_f32 v9, v2, s6, -v9
	v_mov_b32_e32 v2, v21
	v_pk_mul_f32 v[2:3], v[2:3], s[10:11]
	v_add_f32_e32 v8, v8, v9
	v_pk_fma_f32 v[2:3], v[6:7], s[0:1], v[2:3]
	global_store_dword v[0:1], v8, off offset:128
	v_add_f32_e32 v6, v2, v3
.LBB98_7:
	global_store_dword v[4:5], v6, off offset:4
	s_endpgm
	.section	.rodata,"a",@progbits
	.p2align	6, 0x0
	.amdhsa_kernel _ZN12_GLOBAL__N_127rocblas_gemm_batched_kernelI19rocblas_complex_numIfELi16ELi16ELi32ELi32ELi8ELi32ELi8ELi8ELi32ELc78ELc78EKS2_S3_S2_EEvlllT_PT11_llS6_llS4_PT12_llPT13_lli
		.amdhsa_group_segment_fixed_size 4096
		.amdhsa_private_segment_fixed_size 0
		.amdhsa_kernarg_size 140
		.amdhsa_user_sgpr_count 2
		.amdhsa_user_sgpr_dispatch_ptr 0
		.amdhsa_user_sgpr_queue_ptr 0
		.amdhsa_user_sgpr_kernarg_segment_ptr 1
		.amdhsa_user_sgpr_dispatch_id 0
		.amdhsa_user_sgpr_kernarg_preload_length 0
		.amdhsa_user_sgpr_kernarg_preload_offset 0
		.amdhsa_user_sgpr_private_segment_size 0
		.amdhsa_uses_dynamic_stack 0
		.amdhsa_enable_private_segment 0
		.amdhsa_system_sgpr_workgroup_id_x 1
		.amdhsa_system_sgpr_workgroup_id_y 1
		.amdhsa_system_sgpr_workgroup_id_z 1
		.amdhsa_system_sgpr_workgroup_info 0
		.amdhsa_system_vgpr_workitem_id 1
		.amdhsa_next_free_vgpr 102
		.amdhsa_next_free_sgpr 28
		.amdhsa_accum_offset 104
		.amdhsa_reserve_vcc 1
		.amdhsa_float_round_mode_32 0
		.amdhsa_float_round_mode_16_64 0
		.amdhsa_float_denorm_mode_32 3
		.amdhsa_float_denorm_mode_16_64 3
		.amdhsa_dx10_clamp 1
		.amdhsa_ieee_mode 1
		.amdhsa_fp16_overflow 0
		.amdhsa_tg_split 0
		.amdhsa_exception_fp_ieee_invalid_op 0
		.amdhsa_exception_fp_denorm_src 0
		.amdhsa_exception_fp_ieee_div_zero 0
		.amdhsa_exception_fp_ieee_overflow 0
		.amdhsa_exception_fp_ieee_underflow 0
		.amdhsa_exception_fp_ieee_inexact 0
		.amdhsa_exception_int_div_zero 0
	.end_amdhsa_kernel
	.section	.text._ZN12_GLOBAL__N_127rocblas_gemm_batched_kernelI19rocblas_complex_numIfELi16ELi16ELi32ELi32ELi8ELi32ELi8ELi8ELi32ELc78ELc78EKS2_S3_S2_EEvlllT_PT11_llS6_llS4_PT12_llPT13_lli,"axG",@progbits,_ZN12_GLOBAL__N_127rocblas_gemm_batched_kernelI19rocblas_complex_numIfELi16ELi16ELi32ELi32ELi8ELi32ELi8ELi8ELi32ELc78ELc78EKS2_S3_S2_EEvlllT_PT11_llS6_llS4_PT12_llPT13_lli,comdat
.Lfunc_end98:
	.size	_ZN12_GLOBAL__N_127rocblas_gemm_batched_kernelI19rocblas_complex_numIfELi16ELi16ELi32ELi32ELi8ELi32ELi8ELi8ELi32ELc78ELc78EKS2_S3_S2_EEvlllT_PT11_llS6_llS4_PT12_llPT13_lli, .Lfunc_end98-_ZN12_GLOBAL__N_127rocblas_gemm_batched_kernelI19rocblas_complex_numIfELi16ELi16ELi32ELi32ELi8ELi32ELi8ELi8ELi32ELc78ELc78EKS2_S3_S2_EEvlllT_PT11_llS6_llS4_PT12_llPT13_lli
                                        ; -- End function
	.set _ZN12_GLOBAL__N_127rocblas_gemm_batched_kernelI19rocblas_complex_numIfELi16ELi16ELi32ELi32ELi8ELi32ELi8ELi8ELi32ELc78ELc78EKS2_S3_S2_EEvlllT_PT11_llS6_llS4_PT12_llPT13_lli.num_vgpr, 102
	.set _ZN12_GLOBAL__N_127rocblas_gemm_batched_kernelI19rocblas_complex_numIfELi16ELi16ELi32ELi32ELi8ELi32ELi8ELi8ELi32ELc78ELc78EKS2_S3_S2_EEvlllT_PT11_llS6_llS4_PT12_llPT13_lli.num_agpr, 0
	.set _ZN12_GLOBAL__N_127rocblas_gemm_batched_kernelI19rocblas_complex_numIfELi16ELi16ELi32ELi32ELi8ELi32ELi8ELi8ELi32ELc78ELc78EKS2_S3_S2_EEvlllT_PT11_llS6_llS4_PT12_llPT13_lli.numbered_sgpr, 28
	.set _ZN12_GLOBAL__N_127rocblas_gemm_batched_kernelI19rocblas_complex_numIfELi16ELi16ELi32ELi32ELi8ELi32ELi8ELi8ELi32ELc78ELc78EKS2_S3_S2_EEvlllT_PT11_llS6_llS4_PT12_llPT13_lli.num_named_barrier, 0
	.set _ZN12_GLOBAL__N_127rocblas_gemm_batched_kernelI19rocblas_complex_numIfELi16ELi16ELi32ELi32ELi8ELi32ELi8ELi8ELi32ELc78ELc78EKS2_S3_S2_EEvlllT_PT11_llS6_llS4_PT12_llPT13_lli.private_seg_size, 0
	.set _ZN12_GLOBAL__N_127rocblas_gemm_batched_kernelI19rocblas_complex_numIfELi16ELi16ELi32ELi32ELi8ELi32ELi8ELi8ELi32ELc78ELc78EKS2_S3_S2_EEvlllT_PT11_llS6_llS4_PT12_llPT13_lli.uses_vcc, 1
	.set _ZN12_GLOBAL__N_127rocblas_gemm_batched_kernelI19rocblas_complex_numIfELi16ELi16ELi32ELi32ELi8ELi32ELi8ELi8ELi32ELc78ELc78EKS2_S3_S2_EEvlllT_PT11_llS6_llS4_PT12_llPT13_lli.uses_flat_scratch, 0
	.set _ZN12_GLOBAL__N_127rocblas_gemm_batched_kernelI19rocblas_complex_numIfELi16ELi16ELi32ELi32ELi8ELi32ELi8ELi8ELi32ELc78ELc78EKS2_S3_S2_EEvlllT_PT11_llS6_llS4_PT12_llPT13_lli.has_dyn_sized_stack, 0
	.set _ZN12_GLOBAL__N_127rocblas_gemm_batched_kernelI19rocblas_complex_numIfELi16ELi16ELi32ELi32ELi8ELi32ELi8ELi8ELi32ELc78ELc78EKS2_S3_S2_EEvlllT_PT11_llS6_llS4_PT12_llPT13_lli.has_recursion, 0
	.set _ZN12_GLOBAL__N_127rocblas_gemm_batched_kernelI19rocblas_complex_numIfELi16ELi16ELi32ELi32ELi8ELi32ELi8ELi8ELi32ELc78ELc78EKS2_S3_S2_EEvlllT_PT11_llS6_llS4_PT12_llPT13_lli.has_indirect_call, 0
	.section	.AMDGPU.csdata,"",@progbits
; Kernel info:
; codeLenInByte = 2500
; TotalNumSgprs: 34
; NumVgprs: 102
; NumAgprs: 0
; TotalNumVgprs: 102
; ScratchSize: 0
; MemoryBound: 0
; FloatMode: 240
; IeeeMode: 1
; LDSByteSize: 4096 bytes/workgroup (compile time only)
; SGPRBlocks: 4
; VGPRBlocks: 12
; NumSGPRsForWavesPerEU: 34
; NumVGPRsForWavesPerEU: 102
; AccumOffset: 104
; Occupancy: 4
; WaveLimiterHint : 1
; COMPUTE_PGM_RSRC2:SCRATCH_EN: 0
; COMPUTE_PGM_RSRC2:USER_SGPR: 2
; COMPUTE_PGM_RSRC2:TRAP_HANDLER: 0
; COMPUTE_PGM_RSRC2:TGID_X_EN: 1
; COMPUTE_PGM_RSRC2:TGID_Y_EN: 1
; COMPUTE_PGM_RSRC2:TGID_Z_EN: 1
; COMPUTE_PGM_RSRC2:TIDIG_COMP_CNT: 1
; COMPUTE_PGM_RSRC3_GFX90A:ACCUM_OFFSET: 25
; COMPUTE_PGM_RSRC3_GFX90A:TG_SPLIT: 0
	.section	.text._ZN12_GLOBAL__N_127rocblas_gemm_batched_kernelI19rocblas_complex_numIfELi16ELi16ELi32ELi32ELi8ELi32ELi8ELi8ELi32ELc84ELc78EKS2_S3_S2_EEvlllT_PT11_llS6_llS4_PT12_llPT13_lli,"axG",@progbits,_ZN12_GLOBAL__N_127rocblas_gemm_batched_kernelI19rocblas_complex_numIfELi16ELi16ELi32ELi32ELi8ELi32ELi8ELi8ELi32ELc84ELc78EKS2_S3_S2_EEvlllT_PT11_llS6_llS4_PT12_llPT13_lli,comdat
	.globl	_ZN12_GLOBAL__N_127rocblas_gemm_batched_kernelI19rocblas_complex_numIfELi16ELi16ELi32ELi32ELi8ELi32ELi8ELi8ELi32ELc84ELc78EKS2_S3_S2_EEvlllT_PT11_llS6_llS4_PT12_llPT13_lli ; -- Begin function _ZN12_GLOBAL__N_127rocblas_gemm_batched_kernelI19rocblas_complex_numIfELi16ELi16ELi32ELi32ELi8ELi32ELi8ELi8ELi32ELc84ELc78EKS2_S3_S2_EEvlllT_PT11_llS6_llS4_PT12_llPT13_lli
	.p2align	8
	.type	_ZN12_GLOBAL__N_127rocblas_gemm_batched_kernelI19rocblas_complex_numIfELi16ELi16ELi32ELi32ELi8ELi32ELi8ELi8ELi32ELc84ELc78EKS2_S3_S2_EEvlllT_PT11_llS6_llS4_PT12_llPT13_lli,@function
_ZN12_GLOBAL__N_127rocblas_gemm_batched_kernelI19rocblas_complex_numIfELi16ELi16ELi32ELi32ELi8ELi32ELi8ELi8ELi32ELc84ELc78EKS2_S3_S2_EEvlllT_PT11_llS6_llS4_PT12_llPT13_lli: ; @_ZN12_GLOBAL__N_127rocblas_gemm_batched_kernelI19rocblas_complex_numIfELi16ELi16ELi32ELi32ELi8ELi32ELi8ELi8ELi32ELc84ELc78EKS2_S3_S2_EEvlllT_PT11_llS6_llS4_PT12_llPT13_lli
; %bb.0:
	s_load_dwordx16 s[8:23], s[0:1], 0x10
	s_load_dwordx2 s[6:7], s[0:1], 0x50
	s_mov_b32 s24, s3
	v_mov_b32_e32 v27, 0
	s_ashr_i32 s3, s2, 31
	s_ashr_i32 s25, s24, 31
	s_waitcnt lgkmcnt(0)
	v_cmp_lt_i64_e64 s[26:27], s[8:9], 1
	v_bfe_u32 v26, v0, 10, 10
	v_and_b32_e32 v24, 0x3ff, v0
	v_mov_b32_e32 v25, v27
	s_lshl_b64 s[2:3], s[2:3], 5
	s_lshl_b64 s[24:25], s[24:25], 5
	s_and_b64 vcc, exec, s[26:27]
	v_mov_b32_e32 v21, v27
	v_mov_b32_e32 v20, v27
	;; [unrolled: 1-line block ×8, first 2 shown]
	s_cbranch_vccnz .LBB99_3
; %bb.1:
	v_lshl_add_u32 v4, v26, 4, v24
	v_and_b32_e32 v2, 31, v4
	v_lshrrev_b32_e32 v22, 3, v4
	v_and_b32_e32 v5, 7, v24
	v_lshrrev_b32_e32 v6, 5, v4
	v_lshlrev_b32_e32 v4, 3, v2
	v_mov_b32_e32 v23, 0
	v_lshl_or_b32 v29, v6, 8, v4
	v_lshlrev_b32_e32 v4, 3, v5
	v_mov_b32_e32 v3, v23
	v_lshl_or_b32 v5, v22, 6, v4
	v_add_u32_e32 v31, 0x800, v5
	v_mov_b32_e32 v5, 0x800
	v_lshl_add_u64 v[2:3], s[2:3], 0, v[2:3]
	v_lshl_add_u32 v35, v26, 6, v5
	v_mul_lo_u32 v5, s15, v2
	v_mul_lo_u32 v7, s14, v3
	v_mad_u64_u32 v[2:3], s[14:15], s14, v2, 0
	s_mul_i32 s5, s17, s4
	s_mul_hi_u32 s14, s16, s4
	s_add_i32 s15, s14, s5
	s_mul_i32 s14, s16, s4
	v_add3_u32 v3, v3, v7, v5
	s_lshl_b64 s[14:15], s[14:15], 3
	v_lshl_add_u64 v[0:1], v[22:23], 0, s[24:25]
	v_lshl_add_u64 v[2:3], v[2:3], 3, s[14:15]
	v_lshlrev_b32_e32 v22, 3, v6
	v_lshl_add_u64 v[2:3], v[2:3], 0, v[22:23]
	v_lshl_add_u64 v[36:37], s[12:13], 0, v[2:3]
	v_mul_lo_u32 v2, s21, v0
	v_mul_lo_u32 v3, s20, v1
	v_mad_u64_u32 v[0:1], s[12:13], s20, v0, 0
	s_mul_i32 s5, s23, s4
	s_mul_hi_u32 s12, s22, s4
	s_add_i32 s13, s12, s5
	s_mul_i32 s12, s22, s4
	v_add3_u32 v1, v1, v3, v2
	s_lshl_b64 s[12:13], s[12:13], 3
	v_lshl_add_u64 v[0:1], v[0:1], 3, s[12:13]
	v_mov_b32_e32 v5, v23
	v_lshl_add_u64 v[0:1], v[0:1], 0, v[4:5]
	v_lshlrev_b32_e32 v33, 3, v24
	v_lshl_add_u64 v[38:39], s[18:19], 0, v[0:1]
	s_mov_b64 s[12:13], 0
	v_mov_b64_e32 v[40:41], s[8:9]
	v_mov_b32_e32 v22, v23
	v_mov_b32_e32 v30, v23
	;; [unrolled: 1-line block ×7, first 2 shown]
.LBB99_2:                               ; =>This Inner Loop Header: Depth=1
	global_load_dwordx2 v[0:1], v[36:37], off
	global_load_dwordx2 v[2:3], v[38:39], off
	s_add_u32 s12, s12, 8
	s_addc_u32 s13, s13, 0
	v_cmp_lt_i64_e32 vcc, s[12:13], v[40:41]
	v_lshl_add_u64 v[36:37], v[36:37], 0, 64
	v_lshl_add_u64 v[38:39], v[38:39], 0, 64
	s_and_b64 vcc, exec, vcc
	s_waitcnt vmcnt(1)
	ds_write_b64 v29, v[0:1]
	s_waitcnt vmcnt(0)
	ds_write_b64 v31, v[2:3]
	s_waitcnt lgkmcnt(0)
	s_barrier
	ds_read2_b64 v[4:7], v33 offset1:16
	ds_read_b128 v[8:11], v35
	ds_read_b128 v[0:3], v35 offset:16
	ds_read2_b64 v[12:15], v33 offset0:32 offset1:48
	ds_read_b128 v[16:19], v35 offset:1024
	ds_read_b128 v[42:45], v35 offset:1040
	ds_read2_b64 v[46:49], v33 offset0:64 offset1:80
	ds_read2_b64 v[50:53], v33 offset0:96 offset1:112
	;; [unrolled: 1-line block ×4, first 2 shown]
	ds_read_b128 v[62:65], v35 offset:1056
	ds_read_b128 v[66:69], v35 offset:32
	;; [unrolled: 1-line block ×3, first 2 shown]
	s_waitcnt lgkmcnt(11)
	v_mul_f32_e32 v78, v9, v5
	v_mul_f32_e32 v80, v8, v5
	;; [unrolled: 1-line block ×4, first 2 shown]
	s_waitcnt lgkmcnt(9)
	v_mul_f32_e32 v82, v11, v13
	v_mul_f32_e32 v83, v10, v13
	;; [unrolled: 1-line block ×4, first 2 shown]
	s_waitcnt lgkmcnt(8)
	v_mul_f32_e32 v86, v17, v5
	v_mul_f32_e32 v87, v16, v5
	v_pk_mul_f32 v[74:75], v[16:17], v[6:7] op_sel:[1,1] op_sel_hi:[0,1]
	v_mul_f32_e32 v5, v19, v13
	v_mul_f32_e32 v88, v18, v13
	v_pk_mul_f32 v[76:77], v[18:19], v[14:15] op_sel:[1,1] op_sel_hi:[0,1]
	v_fma_f32 v89, v8, v4, -v78
	v_fmac_f32_e32 v80, v9, v4
	v_fma_f32 v90, v8, v6, -v79
	v_fmac_f32_e32 v81, v9, v6
	;; [unrolled: 2-line block ×5, first 2 shown]
	v_pk_fma_f32 v[78:79], v[16:17], v[6:7], v[74:75] neg_lo:[0,0,1] neg_hi:[0,0,1]
	v_pk_fma_f32 v[16:17], v[16:17], v[6:7], v[74:75] op_sel_hi:[1,0,1]
	v_fma_f32 v74, v18, v12, -v5
	v_fmac_f32_e32 v88, v19, v12
	v_pk_fma_f32 v[12:13], v[18:19], v[14:15], v[76:77] neg_lo:[0,0,1] neg_hi:[0,0,1]
	v_pk_fma_f32 v[14:15], v[18:19], v[14:15], v[76:77] op_sel_hi:[1,0,1]
	s_waitcnt lgkmcnt(5)
	v_mul_f32_e32 v7, v3, v51
	v_mul_f32_e32 v9, v3, v53
	;; [unrolled: 1-line block ×4, first 2 shown]
	v_pk_mul_f32 v[4:5], v[42:43], v[48:49] op_sel:[1,1] op_sel_hi:[0,1]
	v_mul_f32_e32 v8, v1, v47
	v_mul_f32_e32 v91, v0, v47
	;; [unrolled: 1-line block ×6, first 2 shown]
	v_fma_f32 v93, v2, v50, -v7
	v_fma_f32 v94, v2, v52, -v9
	v_mul_f32_e32 v2, v45, v51
	v_fma_f32 v96, v42, v46, -v10
	v_fmac_f32_e32 v76, v43, v46
	v_pk_fma_f32 v[18:19], v[42:43], v[48:49], v[4:5] neg_lo:[0,0,1] neg_hi:[0,0,1]
	v_pk_fma_f32 v[42:43], v[42:43], v[48:49], v[4:5] op_sel_hi:[1,0,1]
	s_waitcnt lgkmcnt(1)
	v_mul_f32_e32 v98, v68, v59
	v_mul_f32_e32 v99, v68, v61
	;; [unrolled: 1-line block ×3, first 2 shown]
	v_fma_f32 v77, v0, v46, -v8
	v_fmac_f32_e32 v91, v1, v46
	v_fma_f32 v92, v0, v48, -v6
	v_fmac_f32_e32 v16, v1, v48
	v_fmac_f32_e32 v14, v3, v50
	;; [unrolled: 1-line block ×3, first 2 shown]
	v_mul_f32_e32 v95, v44, v51
	v_pk_mul_f32 v[0:1], v[44:45], v[52:53] op_sel:[1,1] op_sel_hi:[0,1]
	v_fma_f32 v42, v44, v50, -v2
	v_mul_f32_e32 v2, v69, v59
	v_mul_f32_e32 v3, v69, v61
	v_fmac_f32_e32 v98, v69, v58
	v_fmac_f32_e32 v99, v69, v60
	v_fma_f32 v69, v62, v54, -v4
	v_pk_mul_f32 v[4:5], v[62:63], v[56:57] op_sel:[1,1] op_sel_hi:[0,1]
	v_fmac_f32_e32 v95, v45, v50
	v_pk_fma_f32 v[46:47], v[44:45], v[52:53], v[0:1] neg_lo:[0,0,1] neg_hi:[0,0,1]
	v_pk_fma_f32 v[44:45], v[44:45], v[52:53], v[0:1] op_sel_hi:[1,0,1]
	v_pk_fma_f32 v[48:49], v[62:63], v[56:57], v[4:5] neg_lo:[0,0,1] neg_hi:[0,0,1]
	v_pk_fma_f32 v[50:51], v[62:63], v[56:57], v[4:5] op_sel_hi:[1,0,1]
	v_mul_f32_e32 v4, v65, v59
	v_mul_f32_e32 v0, v67, v55
	;; [unrolled: 1-line block ×4, first 2 shown]
	v_fma_f32 v50, v64, v58, -v4
	v_pk_mul_f32 v[4:5], v[64:65], v[60:61] op_sel:[1,1] op_sel_hi:[0,1]
	v_fma_f32 v100, v66, v54, -v0
	v_fmac_f32_e32 v44, v67, v54
	v_fmac_f32_e32 v101, v63, v54
	v_pk_fma_f32 v[52:53], v[64:65], v[60:61], v[4:5] neg_lo:[0,0,1] neg_hi:[0,0,1]
	v_pk_fma_f32 v[54:55], v[64:65], v[60:61], v[4:5] op_sel_hi:[1,0,1]
	ds_read2_b64 v[4:7], v33 offset0:192 offset1:208
	v_mul_f32_e32 v97, v66, v57
	v_mul_f32_e32 v1, v67, v57
	v_fmac_f32_e32 v97, v67, v56
	v_fma_f32 v67, v68, v58, -v2
	s_waitcnt lgkmcnt(0)
	v_mul_f32_e32 v8, v71, v5
	v_fma_f32 v54, v70, v4, -v8
	v_mul_f32_e32 v8, v71, v7
	v_fma_f32 v68, v68, v60, -v3
	v_fma_f32 v60, v70, v6, -v8
	ds_read2_b64 v[8:11], v33 offset0:224 offset1:240
	v_fma_f32 v66, v66, v56, -v1
	ds_read_b128 v[0:3], v35 offset:1072
	v_mul_f32_e32 v59, v64, v59
	v_fmac_f32_e32 v59, v65, v58
	s_waitcnt lgkmcnt(1)
	v_mul_f32_e32 v13, v73, v9
	v_mul_f32_e32 v58, v70, v5
	;; [unrolled: 1-line block ×3, first 2 shown]
	v_fma_f32 v62, v72, v8, -v13
	v_mul_f32_e32 v13, v73, v11
	v_fmac_f32_e32 v58, v71, v4
	v_fmac_f32_e32 v61, v71, v6
	v_fma_f32 v64, v72, v10, -v13
	s_waitcnt lgkmcnt(0)
	v_mul_f32_e32 v13, v1, v5
	v_mul_f32_e32 v71, v0, v5
	v_fma_f32 v70, v0, v4, -v13
	v_fmac_f32_e32 v71, v1, v4
	v_pk_mul_f32 v[4:5], v[0:1], v[6:7] op_sel:[1,1] op_sel_hi:[0,1]
	v_pk_fma_f32 v[56:57], v[0:1], v[6:7], v[4:5] neg_lo:[0,0,1] neg_hi:[0,0,1]
	v_pk_fma_f32 v[0:1], v[0:1], v[6:7], v[4:5] op_sel_hi:[1,0,1]
	v_mul_f32_e32 v63, v72, v9
	v_mul_f32_e32 v0, v3, v9
	;; [unrolled: 1-line block ×3, first 2 shown]
	v_pk_mul_f32 v[4:5], v[2:3], v[10:11] op_sel:[1,1] op_sel_hi:[0,1]
	v_mul_f32_e32 v65, v72, v11
	v_fma_f32 v72, v2, v8, -v0
	v_fmac_f32_e32 v9, v3, v8
	v_pk_fma_f32 v[6:7], v[2:3], v[10:11], v[4:5] neg_lo:[0,0,1] neg_hi:[0,0,1]
	v_pk_fma_f32 v[2:3], v[2:3], v[10:11], v[4:5] op_sel_hi:[1,0,1]
	v_mov_b32_e32 v79, v17
	v_fmac_f32_e32 v63, v73, v8
	v_fmac_f32_e32 v65, v73, v10
	v_add_f32_e32 v2, v32, v89
	v_add_f32_e32 v4, v34, v80
	;; [unrolled: 1-line block ×6, first 2 shown]
	v_mov_b32_e32 v13, v15
	v_mov_b32_e32 v57, v1
	v_pk_add_f32 v[0:1], v[20:21], v[78:79]
	v_mov_b32_e32 v19, v43
	v_mov_b32_e32 v7, v3
	v_add_f32_e32 v2, v2, v82
	v_add_f32_e32 v3, v4, v83
	v_add_f32_e32 v4, v5, v84
	v_add_f32_e32 v5, v8, v85
	v_add_f32_e32 v8, v10, v74
	v_add_f32_e32 v10, v11, v88
	v_pk_add_f32 v[0:1], v[0:1], v[12:13]
	v_mov_b32_e32 v47, v45
	v_add_f32_e32 v2, v2, v77
	v_add_f32_e32 v3, v3, v91
	v_add_f32_e32 v4, v4, v92
	v_add_f32_e32 v5, v5, v16
	v_add_f32_e32 v8, v8, v96
	v_add_f32_e32 v10, v10, v76
	v_pk_add_f32 v[0:1], v[0:1], v[18:19]
	;; [unrolled: 8-line block ×4, first 2 shown]
	v_add_f32_e32 v2, v2, v67
	v_add_f32_e32 v3, v3, v98
	v_add_f32_e32 v4, v4, v68
	v_add_f32_e32 v5, v5, v99
	v_add_f32_e32 v8, v8, v50
	v_add_f32_e32 v10, v10, v59
	v_pk_add_f32 v[0:1], v[0:1], v[52:53]
	v_add_f32_e32 v2, v2, v54
	v_add_f32_e32 v3, v3, v58
	v_add_f32_e32 v4, v4, v60
	v_add_f32_e32 v5, v5, v61
	v_add_f32_e32 v8, v8, v70
	v_add_f32_e32 v10, v10, v71
	v_pk_add_f32 v[0:1], v[0:1], v[56:57]
	;; [unrolled: 7-line block ×3, first 2 shown]
	s_barrier
	s_cbranch_vccnz .LBB99_2
.LBB99_3:
	s_load_dwordx4 s[20:23], s[0:1], 0x78
	s_load_dwordx8 s[12:19], s[0:1], 0x58
	v_lshl_add_u64 v[0:1], s[24:25], 0, v[26:27]
	v_lshl_add_u64 v[2:3], s[2:3], 0, v[24:25]
	s_waitcnt lgkmcnt(0)
	s_mul_i32 s1, s23, s4
	s_mul_hi_u32 s5, s22, s4
	s_mul_i32 s0, s22, s4
	s_add_i32 s1, s5, s1
	s_lshl_b64 s[0:1], s[0:1], 3
	s_add_u32 s8, s18, s0
	s_addc_u32 s9, s19, s1
	s_or_b32 s0, s6, s7
	s_bitset0_b32 s0, 31
	s_cmp_lg_u32 s0, 0
	s_mov_b32 s0, s11
	s_mov_b32 s1, s10
	s_cbranch_scc1 .LBB99_5
; %bb.4:
	v_mul_lo_u32 v6, v1, s20
	v_mul_lo_u32 v7, v0, s21
	v_mad_u64_u32 v[4:5], s[2:3], v0, s20, 0
	v_add3_u32 v5, v5, v7, v6
	v_pk_mul_f32 v[10:11], v[34:35], s[0:1] op_sel_hi:[0,1]
	v_lshl_add_u64 v[4:5], v[4:5], 3, s[8:9]
	v_lshlrev_b64 v[6:7], 3, v[2:3]
	v_pk_fma_f32 v[12:13], v[32:33], s[0:1], v[10:11] op_sel:[0,1,0] op_sel_hi:[1,0,1] neg_lo:[0,0,1] neg_hi:[0,0,1]
	v_pk_fma_f32 v[10:11], v[32:33], s[0:1], v[10:11] op_sel:[0,1,0] op_sel_hi:[0,0,1]
	v_lshl_add_u64 v[8:9], v[4:5], 0, v[6:7]
	v_mov_b32_e32 v13, v11
	v_pk_mul_f32 v[10:11], v[30:31], s[0:1] op_sel_hi:[0,1]
	global_store_dwordx2 v[8:9], v[12:13], off
	v_pk_fma_f32 v[12:13], v[28:29], s[0:1], v[10:11] op_sel:[0,1,0] op_sel_hi:[1,0,1] neg_lo:[0,0,1] neg_hi:[0,0,1]
	v_pk_fma_f32 v[10:11], v[28:29], s[0:1], v[10:11] op_sel:[0,1,0] op_sel_hi:[0,0,1]
	s_lshl_b64 s[2:3], s[20:21], 7
	v_mov_b32_e32 v13, v11
	v_lshl_add_u64 v[4:5], v[4:5], 0, s[2:3]
	global_store_dwordx2 v[8:9], v[12:13], off offset:128
	v_lshl_add_u64 v[8:9], v[4:5], 0, v[6:7]
	v_mov_b32_e32 v4, v23
	v_pk_mul_f32 v[4:5], v[4:5], s[0:1] op_sel_hi:[0,1]
	v_pk_fma_f32 v[6:7], v[22:23], s[0:1], v[4:5] op_sel:[0,1,0] op_sel_hi:[1,0,1] neg_lo:[0,0,1] neg_hi:[0,0,1]
	v_pk_fma_f32 v[4:5], v[22:23], s[0:1], v[4:5] op_sel:[0,1,0] op_sel_hi:[0,0,1]
	v_mov_b32_e32 v7, v5
	v_mul_f32_e32 v4, s1, v20
	global_store_dwordx2 v[8:9], v[6:7], off
	v_fma_f32 v7, -v21, s0, v4
	v_pk_mul_f32 v[4:5], v[20:21], s[0:1]
	s_mov_b64 s[2:3], 0x80
	v_add_f32_e32 v6, v4, v5
	v_lshl_add_u64 v[4:5], v[8:9], 0, s[2:3]
	global_store_dword v[8:9], v7, off offset:128
	s_cbranch_execz .LBB99_6
	s_branch .LBB99_7
.LBB99_5:
                                        ; implicit-def: $vgpr6
                                        ; implicit-def: $vgpr4_vgpr5
.LBB99_6:
	s_mul_i32 s2, s17, s4
	s_mul_hi_u32 s3, s16, s4
	s_add_i32 s3, s3, s2
	s_mul_i32 s2, s16, s4
	s_lshl_b64 s[2:3], s[2:3], 3
	s_add_u32 s2, s12, s2
	v_mul_lo_u32 v6, v1, s14
	v_mul_lo_u32 v7, v0, s15
	v_mad_u64_u32 v[4:5], s[4:5], v0, s14, 0
	s_addc_u32 s3, s13, s3
	v_add3_u32 v5, v5, v7, v6
	v_lshl_add_u64 v[4:5], v[4:5], 3, s[2:3]
	v_lshlrev_b64 v[2:3], 3, v[2:3]
	v_lshl_add_u64 v[6:7], v[4:5], 0, v[2:3]
	global_load_dwordx2 v[8:9], v[6:7], off
	v_mul_lo_u32 v12, v1, s20
	v_mul_lo_u32 v13, v0, s21
	v_mad_u64_u32 v[0:1], s[2:3], v0, s20, 0
	s_mov_b32 s2, s7
	v_pk_mul_f32 v[10:11], v[34:35], s[0:1] op_sel_hi:[0,1]
	v_add3_u32 v1, v1, v13, v12
	v_pk_fma_f32 v[12:13], v[32:33], s[0:1], v[10:11] op_sel:[0,1,0] op_sel_hi:[1,0,1] neg_lo:[0,0,1] neg_hi:[0,0,1]
	v_pk_fma_f32 v[10:11], v[32:33], s[0:1], v[10:11] op_sel:[0,1,0] op_sel_hi:[0,0,1]
	v_lshl_add_u64 v[0:1], v[0:1], 3, s[8:9]
	v_mov_b32_e32 v13, v11
	v_lshl_add_u64 v[10:11], v[0:1], 0, v[2:3]
	s_lshl_b64 s[4:5], s[14:15], 7
	v_lshl_add_u64 v[4:5], v[4:5], 0, s[4:5]
	v_lshl_add_u64 v[4:5], v[4:5], 0, v[2:3]
	s_lshl_b64 s[4:5], s[20:21], 7
	v_lshl_add_u64 v[0:1], v[0:1], 0, s[4:5]
	v_lshl_add_u64 v[0:1], v[0:1], 0, v[2:3]
	s_mov_b32 s11, s6
	s_waitcnt vmcnt(0)
	v_pk_mul_f32 v[14:15], v[8:9], s[2:3] op_sel_hi:[1,0]
	s_nop 0
	v_pk_fma_f32 v[16:17], v[8:9], s[6:7], v[14:15] op_sel:[0,0,1] op_sel_hi:[1,1,0] neg_lo:[0,0,1] neg_hi:[0,0,1]
	v_pk_fma_f32 v[8:9], v[8:9], s[6:7], v[14:15] op_sel:[0,0,1] op_sel_hi:[1,0,0]
	s_nop 0
	v_mov_b32_e32 v17, v9
	v_pk_add_f32 v[8:9], v[12:13], v[16:17]
	global_store_dwordx2 v[10:11], v[8:9], off
	global_load_dwordx2 v[6:7], v[6:7], off offset:128
	v_pk_mul_f32 v[8:9], v[30:31], s[0:1] op_sel_hi:[0,1]
	v_pk_fma_f32 v[12:13], v[28:29], s[0:1], v[8:9] op_sel:[0,1,0] op_sel_hi:[1,0,1] neg_lo:[0,0,1] neg_hi:[0,0,1]
	v_pk_fma_f32 v[8:9], v[28:29], s[0:1], v[8:9] op_sel:[0,1,0] op_sel_hi:[0,0,1]
	v_mov_b32_e32 v13, v9
	s_waitcnt vmcnt(0)
	v_pk_mul_f32 v[8:9], v[6:7], s[2:3] op_sel_hi:[1,0]
	s_nop 0
	v_pk_fma_f32 v[14:15], v[6:7], s[6:7], v[8:9] op_sel:[0,0,1] op_sel_hi:[1,1,0] neg_lo:[0,0,1] neg_hi:[0,0,1]
	v_pk_fma_f32 v[6:7], v[6:7], s[6:7], v[8:9] op_sel:[0,0,1] op_sel_hi:[1,0,0]
	v_mov_b32_e32 v8, v23
	v_mov_b32_e32 v15, v7
	v_pk_add_f32 v[6:7], v[12:13], v[14:15]
	global_store_dwordx2 v[10:11], v[6:7], off offset:128
	global_load_dwordx2 v[6:7], v[4:5], off
	v_pk_mul_f32 v[8:9], v[8:9], s[0:1] op_sel_hi:[0,1]
	v_pk_fma_f32 v[10:11], v[22:23], s[0:1], v[8:9] op_sel:[0,1,0] op_sel_hi:[1,0,1] neg_lo:[0,0,1] neg_hi:[0,0,1]
	v_pk_fma_f32 v[8:9], v[22:23], s[0:1], v[8:9] op_sel:[0,1,0] op_sel_hi:[0,0,1]
	v_mov_b32_e32 v11, v9
	s_waitcnt vmcnt(0)
	v_pk_mul_f32 v[2:3], v[6:7], s[2:3] op_sel_hi:[1,0]
	s_nop 0
	v_pk_fma_f32 v[8:9], v[6:7], s[6:7], v[2:3] op_sel:[0,0,1] op_sel_hi:[1,1,0] neg_lo:[0,0,1] neg_hi:[0,0,1]
	v_pk_fma_f32 v[2:3], v[6:7], s[6:7], v[2:3] op_sel:[0,0,1] op_sel_hi:[1,0,0]
	v_mov_b32_e32 v6, v20
	v_mov_b32_e32 v9, v3
	v_pk_add_f32 v[2:3], v[10:11], v[8:9]
	global_store_dwordx2 v[0:1], v[2:3], off
	global_load_dwordx2 v[2:3], v[4:5], off offset:128
	v_mul_f32_e32 v4, s1, v20
	s_mov_b32 s1, s7
	s_mov_b64 s[2:3], 0x80
	v_fma_f32 v8, -v21, s0, v4
	v_lshl_add_u64 v[4:5], v[0:1], 0, s[2:3]
	s_waitcnt vmcnt(0)
	v_mul_f32_e32 v9, s7, v3
	v_mov_b32_e32 v7, v2
	v_fma_f32 v9, v2, s6, -v9
	v_mov_b32_e32 v2, v21
	v_pk_mul_f32 v[2:3], v[2:3], s[10:11]
	v_add_f32_e32 v8, v8, v9
	v_pk_fma_f32 v[2:3], v[6:7], s[0:1], v[2:3]
	global_store_dword v[0:1], v8, off offset:128
	v_add_f32_e32 v6, v2, v3
.LBB99_7:
	global_store_dword v[4:5], v6, off offset:4
	s_endpgm
	.section	.rodata,"a",@progbits
	.p2align	6, 0x0
	.amdhsa_kernel _ZN12_GLOBAL__N_127rocblas_gemm_batched_kernelI19rocblas_complex_numIfELi16ELi16ELi32ELi32ELi8ELi32ELi8ELi8ELi32ELc84ELc78EKS2_S3_S2_EEvlllT_PT11_llS6_llS4_PT12_llPT13_lli
		.amdhsa_group_segment_fixed_size 4096
		.amdhsa_private_segment_fixed_size 0
		.amdhsa_kernarg_size 140
		.amdhsa_user_sgpr_count 2
		.amdhsa_user_sgpr_dispatch_ptr 0
		.amdhsa_user_sgpr_queue_ptr 0
		.amdhsa_user_sgpr_kernarg_segment_ptr 1
		.amdhsa_user_sgpr_dispatch_id 0
		.amdhsa_user_sgpr_kernarg_preload_length 0
		.amdhsa_user_sgpr_kernarg_preload_offset 0
		.amdhsa_user_sgpr_private_segment_size 0
		.amdhsa_uses_dynamic_stack 0
		.amdhsa_enable_private_segment 0
		.amdhsa_system_sgpr_workgroup_id_x 1
		.amdhsa_system_sgpr_workgroup_id_y 1
		.amdhsa_system_sgpr_workgroup_id_z 1
		.amdhsa_system_sgpr_workgroup_info 0
		.amdhsa_system_vgpr_workitem_id 1
		.amdhsa_next_free_vgpr 102
		.amdhsa_next_free_sgpr 28
		.amdhsa_accum_offset 104
		.amdhsa_reserve_vcc 1
		.amdhsa_float_round_mode_32 0
		.amdhsa_float_round_mode_16_64 0
		.amdhsa_float_denorm_mode_32 3
		.amdhsa_float_denorm_mode_16_64 3
		.amdhsa_dx10_clamp 1
		.amdhsa_ieee_mode 1
		.amdhsa_fp16_overflow 0
		.amdhsa_tg_split 0
		.amdhsa_exception_fp_ieee_invalid_op 0
		.amdhsa_exception_fp_denorm_src 0
		.amdhsa_exception_fp_ieee_div_zero 0
		.amdhsa_exception_fp_ieee_overflow 0
		.amdhsa_exception_fp_ieee_underflow 0
		.amdhsa_exception_fp_ieee_inexact 0
		.amdhsa_exception_int_div_zero 0
	.end_amdhsa_kernel
	.section	.text._ZN12_GLOBAL__N_127rocblas_gemm_batched_kernelI19rocblas_complex_numIfELi16ELi16ELi32ELi32ELi8ELi32ELi8ELi8ELi32ELc84ELc78EKS2_S3_S2_EEvlllT_PT11_llS6_llS4_PT12_llPT13_lli,"axG",@progbits,_ZN12_GLOBAL__N_127rocblas_gemm_batched_kernelI19rocblas_complex_numIfELi16ELi16ELi32ELi32ELi8ELi32ELi8ELi8ELi32ELc84ELc78EKS2_S3_S2_EEvlllT_PT11_llS6_llS4_PT12_llPT13_lli,comdat
.Lfunc_end99:
	.size	_ZN12_GLOBAL__N_127rocblas_gemm_batched_kernelI19rocblas_complex_numIfELi16ELi16ELi32ELi32ELi8ELi32ELi8ELi8ELi32ELc84ELc78EKS2_S3_S2_EEvlllT_PT11_llS6_llS4_PT12_llPT13_lli, .Lfunc_end99-_ZN12_GLOBAL__N_127rocblas_gemm_batched_kernelI19rocblas_complex_numIfELi16ELi16ELi32ELi32ELi8ELi32ELi8ELi8ELi32ELc84ELc78EKS2_S3_S2_EEvlllT_PT11_llS6_llS4_PT12_llPT13_lli
                                        ; -- End function
	.set _ZN12_GLOBAL__N_127rocblas_gemm_batched_kernelI19rocblas_complex_numIfELi16ELi16ELi32ELi32ELi8ELi32ELi8ELi8ELi32ELc84ELc78EKS2_S3_S2_EEvlllT_PT11_llS6_llS4_PT12_llPT13_lli.num_vgpr, 102
	.set _ZN12_GLOBAL__N_127rocblas_gemm_batched_kernelI19rocblas_complex_numIfELi16ELi16ELi32ELi32ELi8ELi32ELi8ELi8ELi32ELc84ELc78EKS2_S3_S2_EEvlllT_PT11_llS6_llS4_PT12_llPT13_lli.num_agpr, 0
	.set _ZN12_GLOBAL__N_127rocblas_gemm_batched_kernelI19rocblas_complex_numIfELi16ELi16ELi32ELi32ELi8ELi32ELi8ELi8ELi32ELc84ELc78EKS2_S3_S2_EEvlllT_PT11_llS6_llS4_PT12_llPT13_lli.numbered_sgpr, 28
	.set _ZN12_GLOBAL__N_127rocblas_gemm_batched_kernelI19rocblas_complex_numIfELi16ELi16ELi32ELi32ELi8ELi32ELi8ELi8ELi32ELc84ELc78EKS2_S3_S2_EEvlllT_PT11_llS6_llS4_PT12_llPT13_lli.num_named_barrier, 0
	.set _ZN12_GLOBAL__N_127rocblas_gemm_batched_kernelI19rocblas_complex_numIfELi16ELi16ELi32ELi32ELi8ELi32ELi8ELi8ELi32ELc84ELc78EKS2_S3_S2_EEvlllT_PT11_llS6_llS4_PT12_llPT13_lli.private_seg_size, 0
	.set _ZN12_GLOBAL__N_127rocblas_gemm_batched_kernelI19rocblas_complex_numIfELi16ELi16ELi32ELi32ELi8ELi32ELi8ELi8ELi32ELc84ELc78EKS2_S3_S2_EEvlllT_PT11_llS6_llS4_PT12_llPT13_lli.uses_vcc, 1
	.set _ZN12_GLOBAL__N_127rocblas_gemm_batched_kernelI19rocblas_complex_numIfELi16ELi16ELi32ELi32ELi8ELi32ELi8ELi8ELi32ELc84ELc78EKS2_S3_S2_EEvlllT_PT11_llS6_llS4_PT12_llPT13_lli.uses_flat_scratch, 0
	.set _ZN12_GLOBAL__N_127rocblas_gemm_batched_kernelI19rocblas_complex_numIfELi16ELi16ELi32ELi32ELi8ELi32ELi8ELi8ELi32ELc84ELc78EKS2_S3_S2_EEvlllT_PT11_llS6_llS4_PT12_llPT13_lli.has_dyn_sized_stack, 0
	.set _ZN12_GLOBAL__N_127rocblas_gemm_batched_kernelI19rocblas_complex_numIfELi16ELi16ELi32ELi32ELi8ELi32ELi8ELi8ELi32ELc84ELc78EKS2_S3_S2_EEvlllT_PT11_llS6_llS4_PT12_llPT13_lli.has_recursion, 0
	.set _ZN12_GLOBAL__N_127rocblas_gemm_batched_kernelI19rocblas_complex_numIfELi16ELi16ELi32ELi32ELi8ELi32ELi8ELi8ELi32ELc84ELc78EKS2_S3_S2_EEvlllT_PT11_llS6_llS4_PT12_llPT13_lli.has_indirect_call, 0
	.section	.AMDGPU.csdata,"",@progbits
; Kernel info:
; codeLenInByte = 2512
; TotalNumSgprs: 34
; NumVgprs: 102
; NumAgprs: 0
; TotalNumVgprs: 102
; ScratchSize: 0
; MemoryBound: 0
; FloatMode: 240
; IeeeMode: 1
; LDSByteSize: 4096 bytes/workgroup (compile time only)
; SGPRBlocks: 4
; VGPRBlocks: 12
; NumSGPRsForWavesPerEU: 34
; NumVGPRsForWavesPerEU: 102
; AccumOffset: 104
; Occupancy: 4
; WaveLimiterHint : 1
; COMPUTE_PGM_RSRC2:SCRATCH_EN: 0
; COMPUTE_PGM_RSRC2:USER_SGPR: 2
; COMPUTE_PGM_RSRC2:TRAP_HANDLER: 0
; COMPUTE_PGM_RSRC2:TGID_X_EN: 1
; COMPUTE_PGM_RSRC2:TGID_Y_EN: 1
; COMPUTE_PGM_RSRC2:TGID_Z_EN: 1
; COMPUTE_PGM_RSRC2:TIDIG_COMP_CNT: 1
; COMPUTE_PGM_RSRC3_GFX90A:ACCUM_OFFSET: 25
; COMPUTE_PGM_RSRC3_GFX90A:TG_SPLIT: 0
	.section	.text._ZN12_GLOBAL__N_127rocblas_gemm_batched_kernelI19rocblas_complex_numIfELi16ELi16ELi32ELi32ELi8ELi32ELi8ELi8ELi32ELc78ELc84EKS2_S3_S2_EEvlllT_PT11_llS6_llS4_PT12_llPT13_lli,"axG",@progbits,_ZN12_GLOBAL__N_127rocblas_gemm_batched_kernelI19rocblas_complex_numIfELi16ELi16ELi32ELi32ELi8ELi32ELi8ELi8ELi32ELc78ELc84EKS2_S3_S2_EEvlllT_PT11_llS6_llS4_PT12_llPT13_lli,comdat
	.globl	_ZN12_GLOBAL__N_127rocblas_gemm_batched_kernelI19rocblas_complex_numIfELi16ELi16ELi32ELi32ELi8ELi32ELi8ELi8ELi32ELc78ELc84EKS2_S3_S2_EEvlllT_PT11_llS6_llS4_PT12_llPT13_lli ; -- Begin function _ZN12_GLOBAL__N_127rocblas_gemm_batched_kernelI19rocblas_complex_numIfELi16ELi16ELi32ELi32ELi8ELi32ELi8ELi8ELi32ELc78ELc84EKS2_S3_S2_EEvlllT_PT11_llS6_llS4_PT12_llPT13_lli
	.p2align	8
	.type	_ZN12_GLOBAL__N_127rocblas_gemm_batched_kernelI19rocblas_complex_numIfELi16ELi16ELi32ELi32ELi8ELi32ELi8ELi8ELi32ELc78ELc84EKS2_S3_S2_EEvlllT_PT11_llS6_llS4_PT12_llPT13_lli,@function
_ZN12_GLOBAL__N_127rocblas_gemm_batched_kernelI19rocblas_complex_numIfELi16ELi16ELi32ELi32ELi8ELi32ELi8ELi8ELi32ELc78ELc84EKS2_S3_S2_EEvlllT_PT11_llS6_llS4_PT12_llPT13_lli: ; @_ZN12_GLOBAL__N_127rocblas_gemm_batched_kernelI19rocblas_complex_numIfELi16ELi16ELi32ELi32ELi8ELi32ELi8ELi8ELi32ELc78ELc84EKS2_S3_S2_EEvlllT_PT11_llS6_llS4_PT12_llPT13_lli
; %bb.0:
	s_load_dwordx16 s[8:23], s[0:1], 0x10
	s_load_dwordx2 s[6:7], s[0:1], 0x50
	s_mov_b32 s24, s3
	v_mov_b32_e32 v27, 0
	s_ashr_i32 s3, s2, 31
	s_ashr_i32 s25, s24, 31
	s_waitcnt lgkmcnt(0)
	v_cmp_lt_i64_e64 s[26:27], s[8:9], 1
	v_bfe_u32 v26, v0, 10, 10
	v_and_b32_e32 v24, 0x3ff, v0
	v_mov_b32_e32 v25, v27
	s_lshl_b64 s[2:3], s[2:3], 5
	s_lshl_b64 s[24:25], s[24:25], 5
	s_and_b64 vcc, exec, s[26:27]
	v_mov_b32_e32 v21, v27
	v_mov_b32_e32 v20, v27
	;; [unrolled: 1-line block ×8, first 2 shown]
	s_cbranch_vccnz .LBB100_3
; %bb.1:
	v_lshl_add_u32 v4, v26, 4, v24
	v_lshrrev_b32_e32 v22, 3, v4
	v_mov_b32_e32 v23, 0
	v_lshl_add_u64 v[0:1], v[22:23], 0, s[24:25]
	v_and_b32_e32 v5, 7, v24
	v_mad_u64_u32 v[0:1], s[26:27], s20, v5, v[0:1]
	v_mov_b32_e32 v2, v1
	v_mad_u64_u32 v[2:3], s[26:27], s21, v5, v[2:3]
	v_mov_b32_e32 v1, v2
	v_and_b32_e32 v2, 31, v4
	v_lshrrev_b32_e32 v7, 5, v4
	v_lshlrev_b32_e32 v4, 3, v2
	v_lshl_or_b32 v29, v7, 8, v4
	v_lshlrev_b32_e32 v4, 3, v5
	v_lshl_or_b32 v4, v22, 6, v4
	v_add_u32_e32 v31, 0x800, v4
	v_mov_b32_e32 v4, 0x800
	v_lshl_add_u32 v35, v26, 6, v4
	v_mov_b64_e32 v[4:5], s[2:3]
	s_mul_i32 s5, s17, s4
	s_mul_hi_u32 s17, s16, s4
	v_mad_u64_u32 v[4:5], s[26:27], s14, v7, v[4:5]
	s_add_i32 s17, s17, s5
	s_mul_i32 s16, s16, s4
	v_mov_b32_e32 v6, v5
	s_lshl_b64 s[16:17], s[16:17], 3
	v_mad_u64_u32 v[6:7], s[26:27], s15, v7, v[6:7]
	v_mov_b32_e32 v3, v23
	v_mov_b32_e32 v5, v6
	s_add_u32 s12, s12, s16
	v_lshl_add_u64 v[2:3], v[4:5], 0, v[2:3]
	s_addc_u32 s13, s13, s17
	v_lshl_add_u64 v[36:37], v[2:3], 3, s[12:13]
	s_lshl_b64 s[12:13], s[14:15], 6
	s_mul_i32 s5, s23, s4
	s_mul_hi_u32 s14, s22, s4
	s_add_i32 s15, s14, s5
	s_mul_i32 s14, s22, s4
	s_lshl_b64 s[14:15], s[14:15], 3
	s_add_u32 s14, s18, s14
	s_addc_u32 s15, s19, s15
	v_lshlrev_b32_e32 v33, 3, v24
	v_lshl_add_u64 v[38:39], v[0:1], 3, s[14:15]
	s_lshl_b64 s[14:15], s[20:21], 6
	s_mov_b64 s[16:17], 0
	v_mov_b64_e32 v[40:41], s[8:9]
	v_mov_b32_e32 v22, v23
	v_mov_b32_e32 v30, v23
	;; [unrolled: 1-line block ×7, first 2 shown]
.LBB100_2:                              ; =>This Inner Loop Header: Depth=1
	global_load_dwordx2 v[0:1], v[36:37], off
	global_load_dwordx2 v[2:3], v[38:39], off
	s_add_u32 s16, s16, 8
	s_addc_u32 s17, s17, 0
	v_cmp_lt_i64_e32 vcc, s[16:17], v[40:41]
	v_lshl_add_u64 v[36:37], v[36:37], 0, s[12:13]
	v_lshl_add_u64 v[38:39], v[38:39], 0, s[14:15]
	s_and_b64 vcc, exec, vcc
	s_waitcnt vmcnt(1)
	ds_write_b64 v29, v[0:1]
	s_waitcnt vmcnt(0)
	ds_write_b64 v31, v[2:3]
	s_waitcnt lgkmcnt(0)
	s_barrier
	ds_read2_b64 v[4:7], v33 offset1:16
	ds_read_b128 v[8:11], v35
	ds_read_b128 v[0:3], v35 offset:16
	ds_read2_b64 v[12:15], v33 offset0:32 offset1:48
	ds_read_b128 v[16:19], v35 offset:1024
	ds_read_b128 v[42:45], v35 offset:1040
	ds_read2_b64 v[46:49], v33 offset0:64 offset1:80
	ds_read2_b64 v[50:53], v33 offset0:96 offset1:112
	;; [unrolled: 1-line block ×4, first 2 shown]
	ds_read_b128 v[62:65], v35 offset:1056
	ds_read_b128 v[66:69], v35 offset:32
	;; [unrolled: 1-line block ×3, first 2 shown]
	s_waitcnt lgkmcnt(11)
	v_mul_f32_e32 v78, v9, v5
	v_mul_f32_e32 v80, v8, v5
	;; [unrolled: 1-line block ×4, first 2 shown]
	s_waitcnt lgkmcnt(9)
	v_mul_f32_e32 v82, v11, v13
	v_mul_f32_e32 v83, v10, v13
	;; [unrolled: 1-line block ×4, first 2 shown]
	s_waitcnt lgkmcnt(8)
	v_mul_f32_e32 v86, v17, v5
	v_mul_f32_e32 v87, v16, v5
	v_pk_mul_f32 v[74:75], v[16:17], v[6:7] op_sel:[1,1] op_sel_hi:[0,1]
	v_mul_f32_e32 v5, v19, v13
	v_mul_f32_e32 v88, v18, v13
	v_pk_mul_f32 v[76:77], v[18:19], v[14:15] op_sel:[1,1] op_sel_hi:[0,1]
	v_fma_f32 v89, v8, v4, -v78
	v_fmac_f32_e32 v80, v9, v4
	v_fma_f32 v90, v8, v6, -v79
	v_fmac_f32_e32 v81, v9, v6
	;; [unrolled: 2-line block ×5, first 2 shown]
	v_pk_fma_f32 v[78:79], v[16:17], v[6:7], v[74:75] neg_lo:[0,0,1] neg_hi:[0,0,1]
	v_pk_fma_f32 v[16:17], v[16:17], v[6:7], v[74:75] op_sel_hi:[1,0,1]
	v_fma_f32 v74, v18, v12, -v5
	v_fmac_f32_e32 v88, v19, v12
	v_pk_fma_f32 v[12:13], v[18:19], v[14:15], v[76:77] neg_lo:[0,0,1] neg_hi:[0,0,1]
	v_pk_fma_f32 v[14:15], v[18:19], v[14:15], v[76:77] op_sel_hi:[1,0,1]
	s_waitcnt lgkmcnt(5)
	v_mul_f32_e32 v7, v3, v51
	v_mul_f32_e32 v9, v3, v53
	;; [unrolled: 1-line block ×4, first 2 shown]
	v_pk_mul_f32 v[4:5], v[42:43], v[48:49] op_sel:[1,1] op_sel_hi:[0,1]
	v_mul_f32_e32 v8, v1, v47
	v_mul_f32_e32 v91, v0, v47
	;; [unrolled: 1-line block ×6, first 2 shown]
	v_fma_f32 v93, v2, v50, -v7
	v_fma_f32 v94, v2, v52, -v9
	v_mul_f32_e32 v2, v45, v51
	v_fma_f32 v96, v42, v46, -v10
	v_fmac_f32_e32 v76, v43, v46
	v_pk_fma_f32 v[18:19], v[42:43], v[48:49], v[4:5] neg_lo:[0,0,1] neg_hi:[0,0,1]
	v_pk_fma_f32 v[42:43], v[42:43], v[48:49], v[4:5] op_sel_hi:[1,0,1]
	s_waitcnt lgkmcnt(1)
	v_mul_f32_e32 v98, v68, v59
	v_mul_f32_e32 v99, v68, v61
	;; [unrolled: 1-line block ×3, first 2 shown]
	v_fma_f32 v77, v0, v46, -v8
	v_fmac_f32_e32 v91, v1, v46
	v_fma_f32 v92, v0, v48, -v6
	v_fmac_f32_e32 v16, v1, v48
	v_fmac_f32_e32 v14, v3, v50
	;; [unrolled: 1-line block ×3, first 2 shown]
	v_mul_f32_e32 v95, v44, v51
	v_pk_mul_f32 v[0:1], v[44:45], v[52:53] op_sel:[1,1] op_sel_hi:[0,1]
	v_fma_f32 v42, v44, v50, -v2
	v_mul_f32_e32 v2, v69, v59
	v_mul_f32_e32 v3, v69, v61
	v_fmac_f32_e32 v98, v69, v58
	v_fmac_f32_e32 v99, v69, v60
	v_fma_f32 v69, v62, v54, -v4
	v_pk_mul_f32 v[4:5], v[62:63], v[56:57] op_sel:[1,1] op_sel_hi:[0,1]
	v_fmac_f32_e32 v95, v45, v50
	v_pk_fma_f32 v[46:47], v[44:45], v[52:53], v[0:1] neg_lo:[0,0,1] neg_hi:[0,0,1]
	v_pk_fma_f32 v[44:45], v[44:45], v[52:53], v[0:1] op_sel_hi:[1,0,1]
	v_pk_fma_f32 v[48:49], v[62:63], v[56:57], v[4:5] neg_lo:[0,0,1] neg_hi:[0,0,1]
	v_pk_fma_f32 v[50:51], v[62:63], v[56:57], v[4:5] op_sel_hi:[1,0,1]
	v_mul_f32_e32 v4, v65, v59
	v_mul_f32_e32 v0, v67, v55
	;; [unrolled: 1-line block ×4, first 2 shown]
	v_fma_f32 v50, v64, v58, -v4
	v_pk_mul_f32 v[4:5], v[64:65], v[60:61] op_sel:[1,1] op_sel_hi:[0,1]
	v_fma_f32 v100, v66, v54, -v0
	v_fmac_f32_e32 v44, v67, v54
	v_fmac_f32_e32 v101, v63, v54
	v_pk_fma_f32 v[52:53], v[64:65], v[60:61], v[4:5] neg_lo:[0,0,1] neg_hi:[0,0,1]
	v_pk_fma_f32 v[54:55], v[64:65], v[60:61], v[4:5] op_sel_hi:[1,0,1]
	ds_read2_b64 v[4:7], v33 offset0:192 offset1:208
	v_mul_f32_e32 v97, v66, v57
	v_mul_f32_e32 v1, v67, v57
	v_fmac_f32_e32 v97, v67, v56
	v_fma_f32 v67, v68, v58, -v2
	s_waitcnt lgkmcnt(0)
	v_mul_f32_e32 v8, v71, v5
	v_fma_f32 v54, v70, v4, -v8
	v_mul_f32_e32 v8, v71, v7
	v_fma_f32 v68, v68, v60, -v3
	v_fma_f32 v60, v70, v6, -v8
	ds_read2_b64 v[8:11], v33 offset0:224 offset1:240
	v_fma_f32 v66, v66, v56, -v1
	ds_read_b128 v[0:3], v35 offset:1072
	v_mul_f32_e32 v59, v64, v59
	v_fmac_f32_e32 v59, v65, v58
	s_waitcnt lgkmcnt(1)
	v_mul_f32_e32 v13, v73, v9
	v_mul_f32_e32 v58, v70, v5
	;; [unrolled: 1-line block ×3, first 2 shown]
	v_fma_f32 v62, v72, v8, -v13
	v_mul_f32_e32 v13, v73, v11
	v_fmac_f32_e32 v58, v71, v4
	v_fmac_f32_e32 v61, v71, v6
	v_fma_f32 v64, v72, v10, -v13
	s_waitcnt lgkmcnt(0)
	v_mul_f32_e32 v13, v1, v5
	v_mul_f32_e32 v71, v0, v5
	v_fma_f32 v70, v0, v4, -v13
	v_fmac_f32_e32 v71, v1, v4
	v_pk_mul_f32 v[4:5], v[0:1], v[6:7] op_sel:[1,1] op_sel_hi:[0,1]
	v_pk_fma_f32 v[56:57], v[0:1], v[6:7], v[4:5] neg_lo:[0,0,1] neg_hi:[0,0,1]
	v_pk_fma_f32 v[0:1], v[0:1], v[6:7], v[4:5] op_sel_hi:[1,0,1]
	v_mul_f32_e32 v63, v72, v9
	v_mul_f32_e32 v0, v3, v9
	;; [unrolled: 1-line block ×3, first 2 shown]
	v_pk_mul_f32 v[4:5], v[2:3], v[10:11] op_sel:[1,1] op_sel_hi:[0,1]
	v_mul_f32_e32 v65, v72, v11
	v_fma_f32 v72, v2, v8, -v0
	v_fmac_f32_e32 v9, v3, v8
	v_pk_fma_f32 v[6:7], v[2:3], v[10:11], v[4:5] neg_lo:[0,0,1] neg_hi:[0,0,1]
	v_pk_fma_f32 v[2:3], v[2:3], v[10:11], v[4:5] op_sel_hi:[1,0,1]
	v_mov_b32_e32 v79, v17
	v_fmac_f32_e32 v63, v73, v8
	v_fmac_f32_e32 v65, v73, v10
	v_add_f32_e32 v2, v32, v89
	v_add_f32_e32 v4, v34, v80
	;; [unrolled: 1-line block ×6, first 2 shown]
	v_mov_b32_e32 v13, v15
	v_mov_b32_e32 v57, v1
	v_pk_add_f32 v[0:1], v[20:21], v[78:79]
	v_mov_b32_e32 v19, v43
	v_mov_b32_e32 v7, v3
	v_add_f32_e32 v2, v2, v82
	v_add_f32_e32 v3, v4, v83
	v_add_f32_e32 v4, v5, v84
	v_add_f32_e32 v5, v8, v85
	v_add_f32_e32 v8, v10, v74
	v_add_f32_e32 v10, v11, v88
	v_pk_add_f32 v[0:1], v[0:1], v[12:13]
	v_mov_b32_e32 v47, v45
	v_add_f32_e32 v2, v2, v77
	v_add_f32_e32 v3, v3, v91
	v_add_f32_e32 v4, v4, v92
	v_add_f32_e32 v5, v5, v16
	v_add_f32_e32 v8, v8, v96
	v_add_f32_e32 v10, v10, v76
	v_pk_add_f32 v[0:1], v[0:1], v[18:19]
	;; [unrolled: 8-line block ×4, first 2 shown]
	v_add_f32_e32 v2, v2, v67
	v_add_f32_e32 v3, v3, v98
	v_add_f32_e32 v4, v4, v68
	v_add_f32_e32 v5, v5, v99
	v_add_f32_e32 v8, v8, v50
	v_add_f32_e32 v10, v10, v59
	v_pk_add_f32 v[0:1], v[0:1], v[52:53]
	v_add_f32_e32 v2, v2, v54
	v_add_f32_e32 v3, v3, v58
	v_add_f32_e32 v4, v4, v60
	v_add_f32_e32 v5, v5, v61
	v_add_f32_e32 v8, v8, v70
	v_add_f32_e32 v10, v10, v71
	v_pk_add_f32 v[0:1], v[0:1], v[56:57]
	;; [unrolled: 7-line block ×3, first 2 shown]
	s_barrier
	s_cbranch_vccnz .LBB100_2
.LBB100_3:
	s_load_dwordx4 s[20:23], s[0:1], 0x78
	s_load_dwordx8 s[12:19], s[0:1], 0x58
	v_lshl_add_u64 v[0:1], s[24:25], 0, v[26:27]
	v_lshl_add_u64 v[2:3], s[2:3], 0, v[24:25]
	s_waitcnt lgkmcnt(0)
	s_mul_i32 s1, s23, s4
	s_mul_hi_u32 s5, s22, s4
	s_mul_i32 s0, s22, s4
	s_add_i32 s1, s5, s1
	s_lshl_b64 s[0:1], s[0:1], 3
	s_add_u32 s8, s18, s0
	s_addc_u32 s9, s19, s1
	s_or_b32 s0, s6, s7
	s_bitset0_b32 s0, 31
	s_cmp_lg_u32 s0, 0
	s_mov_b32 s0, s11
	s_mov_b32 s1, s10
	s_cbranch_scc1 .LBB100_5
; %bb.4:
	v_mul_lo_u32 v6, v1, s20
	v_mul_lo_u32 v7, v0, s21
	v_mad_u64_u32 v[4:5], s[2:3], v0, s20, 0
	v_add3_u32 v5, v5, v7, v6
	v_pk_mul_f32 v[10:11], v[34:35], s[0:1] op_sel_hi:[0,1]
	v_lshl_add_u64 v[4:5], v[4:5], 3, s[8:9]
	v_lshlrev_b64 v[6:7], 3, v[2:3]
	v_pk_fma_f32 v[12:13], v[32:33], s[0:1], v[10:11] op_sel:[0,1,0] op_sel_hi:[1,0,1] neg_lo:[0,0,1] neg_hi:[0,0,1]
	v_pk_fma_f32 v[10:11], v[32:33], s[0:1], v[10:11] op_sel:[0,1,0] op_sel_hi:[0,0,1]
	v_lshl_add_u64 v[8:9], v[4:5], 0, v[6:7]
	v_mov_b32_e32 v13, v11
	v_pk_mul_f32 v[10:11], v[30:31], s[0:1] op_sel_hi:[0,1]
	global_store_dwordx2 v[8:9], v[12:13], off
	v_pk_fma_f32 v[12:13], v[28:29], s[0:1], v[10:11] op_sel:[0,1,0] op_sel_hi:[1,0,1] neg_lo:[0,0,1] neg_hi:[0,0,1]
	v_pk_fma_f32 v[10:11], v[28:29], s[0:1], v[10:11] op_sel:[0,1,0] op_sel_hi:[0,0,1]
	s_lshl_b64 s[2:3], s[20:21], 7
	v_mov_b32_e32 v13, v11
	v_lshl_add_u64 v[4:5], v[4:5], 0, s[2:3]
	global_store_dwordx2 v[8:9], v[12:13], off offset:128
	v_lshl_add_u64 v[8:9], v[4:5], 0, v[6:7]
	v_mov_b32_e32 v4, v23
	v_pk_mul_f32 v[4:5], v[4:5], s[0:1] op_sel_hi:[0,1]
	v_pk_fma_f32 v[6:7], v[22:23], s[0:1], v[4:5] op_sel:[0,1,0] op_sel_hi:[1,0,1] neg_lo:[0,0,1] neg_hi:[0,0,1]
	v_pk_fma_f32 v[4:5], v[22:23], s[0:1], v[4:5] op_sel:[0,1,0] op_sel_hi:[0,0,1]
	v_mov_b32_e32 v7, v5
	v_mul_f32_e32 v4, s1, v20
	global_store_dwordx2 v[8:9], v[6:7], off
	v_fma_f32 v7, -v21, s0, v4
	v_pk_mul_f32 v[4:5], v[20:21], s[0:1]
	s_mov_b64 s[2:3], 0x80
	v_add_f32_e32 v6, v4, v5
	v_lshl_add_u64 v[4:5], v[8:9], 0, s[2:3]
	global_store_dword v[8:9], v7, off offset:128
	s_cbranch_execz .LBB100_6
	s_branch .LBB100_7
.LBB100_5:
                                        ; implicit-def: $vgpr6
                                        ; implicit-def: $vgpr4_vgpr5
.LBB100_6:
	s_mul_i32 s2, s17, s4
	s_mul_hi_u32 s3, s16, s4
	s_add_i32 s3, s3, s2
	s_mul_i32 s2, s16, s4
	s_lshl_b64 s[2:3], s[2:3], 3
	s_add_u32 s2, s12, s2
	v_mul_lo_u32 v6, v1, s14
	v_mul_lo_u32 v7, v0, s15
	v_mad_u64_u32 v[4:5], s[4:5], v0, s14, 0
	s_addc_u32 s3, s13, s3
	v_add3_u32 v5, v5, v7, v6
	v_lshl_add_u64 v[4:5], v[4:5], 3, s[2:3]
	v_lshlrev_b64 v[2:3], 3, v[2:3]
	v_lshl_add_u64 v[6:7], v[4:5], 0, v[2:3]
	global_load_dwordx2 v[8:9], v[6:7], off
	v_mul_lo_u32 v12, v1, s20
	v_mul_lo_u32 v13, v0, s21
	v_mad_u64_u32 v[0:1], s[2:3], v0, s20, 0
	s_mov_b32 s2, s7
	v_pk_mul_f32 v[10:11], v[34:35], s[0:1] op_sel_hi:[0,1]
	v_add3_u32 v1, v1, v13, v12
	v_pk_fma_f32 v[12:13], v[32:33], s[0:1], v[10:11] op_sel:[0,1,0] op_sel_hi:[1,0,1] neg_lo:[0,0,1] neg_hi:[0,0,1]
	v_pk_fma_f32 v[10:11], v[32:33], s[0:1], v[10:11] op_sel:[0,1,0] op_sel_hi:[0,0,1]
	v_lshl_add_u64 v[0:1], v[0:1], 3, s[8:9]
	v_mov_b32_e32 v13, v11
	v_lshl_add_u64 v[10:11], v[0:1], 0, v[2:3]
	s_lshl_b64 s[4:5], s[14:15], 7
	v_lshl_add_u64 v[4:5], v[4:5], 0, s[4:5]
	v_lshl_add_u64 v[4:5], v[4:5], 0, v[2:3]
	s_lshl_b64 s[4:5], s[20:21], 7
	v_lshl_add_u64 v[0:1], v[0:1], 0, s[4:5]
	v_lshl_add_u64 v[0:1], v[0:1], 0, v[2:3]
	s_mov_b32 s11, s6
	s_waitcnt vmcnt(0)
	v_pk_mul_f32 v[14:15], v[8:9], s[2:3] op_sel_hi:[1,0]
	s_nop 0
	v_pk_fma_f32 v[16:17], v[8:9], s[6:7], v[14:15] op_sel:[0,0,1] op_sel_hi:[1,1,0] neg_lo:[0,0,1] neg_hi:[0,0,1]
	v_pk_fma_f32 v[8:9], v[8:9], s[6:7], v[14:15] op_sel:[0,0,1] op_sel_hi:[1,0,0]
	s_nop 0
	v_mov_b32_e32 v17, v9
	v_pk_add_f32 v[8:9], v[12:13], v[16:17]
	global_store_dwordx2 v[10:11], v[8:9], off
	global_load_dwordx2 v[6:7], v[6:7], off offset:128
	v_pk_mul_f32 v[8:9], v[30:31], s[0:1] op_sel_hi:[0,1]
	v_pk_fma_f32 v[12:13], v[28:29], s[0:1], v[8:9] op_sel:[0,1,0] op_sel_hi:[1,0,1] neg_lo:[0,0,1] neg_hi:[0,0,1]
	v_pk_fma_f32 v[8:9], v[28:29], s[0:1], v[8:9] op_sel:[0,1,0] op_sel_hi:[0,0,1]
	v_mov_b32_e32 v13, v9
	s_waitcnt vmcnt(0)
	v_pk_mul_f32 v[8:9], v[6:7], s[2:3] op_sel_hi:[1,0]
	s_nop 0
	v_pk_fma_f32 v[14:15], v[6:7], s[6:7], v[8:9] op_sel:[0,0,1] op_sel_hi:[1,1,0] neg_lo:[0,0,1] neg_hi:[0,0,1]
	v_pk_fma_f32 v[6:7], v[6:7], s[6:7], v[8:9] op_sel:[0,0,1] op_sel_hi:[1,0,0]
	v_mov_b32_e32 v8, v23
	v_mov_b32_e32 v15, v7
	v_pk_add_f32 v[6:7], v[12:13], v[14:15]
	global_store_dwordx2 v[10:11], v[6:7], off offset:128
	global_load_dwordx2 v[6:7], v[4:5], off
	v_pk_mul_f32 v[8:9], v[8:9], s[0:1] op_sel_hi:[0,1]
	v_pk_fma_f32 v[10:11], v[22:23], s[0:1], v[8:9] op_sel:[0,1,0] op_sel_hi:[1,0,1] neg_lo:[0,0,1] neg_hi:[0,0,1]
	v_pk_fma_f32 v[8:9], v[22:23], s[0:1], v[8:9] op_sel:[0,1,0] op_sel_hi:[0,0,1]
	v_mov_b32_e32 v11, v9
	s_waitcnt vmcnt(0)
	v_pk_mul_f32 v[2:3], v[6:7], s[2:3] op_sel_hi:[1,0]
	s_nop 0
	v_pk_fma_f32 v[8:9], v[6:7], s[6:7], v[2:3] op_sel:[0,0,1] op_sel_hi:[1,1,0] neg_lo:[0,0,1] neg_hi:[0,0,1]
	v_pk_fma_f32 v[2:3], v[6:7], s[6:7], v[2:3] op_sel:[0,0,1] op_sel_hi:[1,0,0]
	v_mov_b32_e32 v6, v20
	v_mov_b32_e32 v9, v3
	v_pk_add_f32 v[2:3], v[10:11], v[8:9]
	global_store_dwordx2 v[0:1], v[2:3], off
	global_load_dwordx2 v[2:3], v[4:5], off offset:128
	v_mul_f32_e32 v4, s1, v20
	s_mov_b32 s1, s7
	s_mov_b64 s[2:3], 0x80
	v_fma_f32 v8, -v21, s0, v4
	v_lshl_add_u64 v[4:5], v[0:1], 0, s[2:3]
	s_waitcnt vmcnt(0)
	v_mul_f32_e32 v9, s7, v3
	v_mov_b32_e32 v7, v2
	v_fma_f32 v9, v2, s6, -v9
	v_mov_b32_e32 v2, v21
	v_pk_mul_f32 v[2:3], v[2:3], s[10:11]
	v_add_f32_e32 v8, v8, v9
	v_pk_fma_f32 v[2:3], v[6:7], s[0:1], v[2:3]
	global_store_dword v[0:1], v8, off offset:128
	v_add_f32_e32 v6, v2, v3
.LBB100_7:
	global_store_dword v[4:5], v6, off offset:4
	s_endpgm
	.section	.rodata,"a",@progbits
	.p2align	6, 0x0
	.amdhsa_kernel _ZN12_GLOBAL__N_127rocblas_gemm_batched_kernelI19rocblas_complex_numIfELi16ELi16ELi32ELi32ELi8ELi32ELi8ELi8ELi32ELc78ELc84EKS2_S3_S2_EEvlllT_PT11_llS6_llS4_PT12_llPT13_lli
		.amdhsa_group_segment_fixed_size 4096
		.amdhsa_private_segment_fixed_size 0
		.amdhsa_kernarg_size 140
		.amdhsa_user_sgpr_count 2
		.amdhsa_user_sgpr_dispatch_ptr 0
		.amdhsa_user_sgpr_queue_ptr 0
		.amdhsa_user_sgpr_kernarg_segment_ptr 1
		.amdhsa_user_sgpr_dispatch_id 0
		.amdhsa_user_sgpr_kernarg_preload_length 0
		.amdhsa_user_sgpr_kernarg_preload_offset 0
		.amdhsa_user_sgpr_private_segment_size 0
		.amdhsa_uses_dynamic_stack 0
		.amdhsa_enable_private_segment 0
		.amdhsa_system_sgpr_workgroup_id_x 1
		.amdhsa_system_sgpr_workgroup_id_y 1
		.amdhsa_system_sgpr_workgroup_id_z 1
		.amdhsa_system_sgpr_workgroup_info 0
		.amdhsa_system_vgpr_workitem_id 1
		.amdhsa_next_free_vgpr 102
		.amdhsa_next_free_sgpr 28
		.amdhsa_accum_offset 104
		.amdhsa_reserve_vcc 1
		.amdhsa_float_round_mode_32 0
		.amdhsa_float_round_mode_16_64 0
		.amdhsa_float_denorm_mode_32 3
		.amdhsa_float_denorm_mode_16_64 3
		.amdhsa_dx10_clamp 1
		.amdhsa_ieee_mode 1
		.amdhsa_fp16_overflow 0
		.amdhsa_tg_split 0
		.amdhsa_exception_fp_ieee_invalid_op 0
		.amdhsa_exception_fp_denorm_src 0
		.amdhsa_exception_fp_ieee_div_zero 0
		.amdhsa_exception_fp_ieee_overflow 0
		.amdhsa_exception_fp_ieee_underflow 0
		.amdhsa_exception_fp_ieee_inexact 0
		.amdhsa_exception_int_div_zero 0
	.end_amdhsa_kernel
	.section	.text._ZN12_GLOBAL__N_127rocblas_gemm_batched_kernelI19rocblas_complex_numIfELi16ELi16ELi32ELi32ELi8ELi32ELi8ELi8ELi32ELc78ELc84EKS2_S3_S2_EEvlllT_PT11_llS6_llS4_PT12_llPT13_lli,"axG",@progbits,_ZN12_GLOBAL__N_127rocblas_gemm_batched_kernelI19rocblas_complex_numIfELi16ELi16ELi32ELi32ELi8ELi32ELi8ELi8ELi32ELc78ELc84EKS2_S3_S2_EEvlllT_PT11_llS6_llS4_PT12_llPT13_lli,comdat
.Lfunc_end100:
	.size	_ZN12_GLOBAL__N_127rocblas_gemm_batched_kernelI19rocblas_complex_numIfELi16ELi16ELi32ELi32ELi8ELi32ELi8ELi8ELi32ELc78ELc84EKS2_S3_S2_EEvlllT_PT11_llS6_llS4_PT12_llPT13_lli, .Lfunc_end100-_ZN12_GLOBAL__N_127rocblas_gemm_batched_kernelI19rocblas_complex_numIfELi16ELi16ELi32ELi32ELi8ELi32ELi8ELi8ELi32ELc78ELc84EKS2_S3_S2_EEvlllT_PT11_llS6_llS4_PT12_llPT13_lli
                                        ; -- End function
	.set _ZN12_GLOBAL__N_127rocblas_gemm_batched_kernelI19rocblas_complex_numIfELi16ELi16ELi32ELi32ELi8ELi32ELi8ELi8ELi32ELc78ELc84EKS2_S3_S2_EEvlllT_PT11_llS6_llS4_PT12_llPT13_lli.num_vgpr, 102
	.set _ZN12_GLOBAL__N_127rocblas_gemm_batched_kernelI19rocblas_complex_numIfELi16ELi16ELi32ELi32ELi8ELi32ELi8ELi8ELi32ELc78ELc84EKS2_S3_S2_EEvlllT_PT11_llS6_llS4_PT12_llPT13_lli.num_agpr, 0
	.set _ZN12_GLOBAL__N_127rocblas_gemm_batched_kernelI19rocblas_complex_numIfELi16ELi16ELi32ELi32ELi8ELi32ELi8ELi8ELi32ELc78ELc84EKS2_S3_S2_EEvlllT_PT11_llS6_llS4_PT12_llPT13_lli.numbered_sgpr, 28
	.set _ZN12_GLOBAL__N_127rocblas_gemm_batched_kernelI19rocblas_complex_numIfELi16ELi16ELi32ELi32ELi8ELi32ELi8ELi8ELi32ELc78ELc84EKS2_S3_S2_EEvlllT_PT11_llS6_llS4_PT12_llPT13_lli.num_named_barrier, 0
	.set _ZN12_GLOBAL__N_127rocblas_gemm_batched_kernelI19rocblas_complex_numIfELi16ELi16ELi32ELi32ELi8ELi32ELi8ELi8ELi32ELc78ELc84EKS2_S3_S2_EEvlllT_PT11_llS6_llS4_PT12_llPT13_lli.private_seg_size, 0
	.set _ZN12_GLOBAL__N_127rocblas_gemm_batched_kernelI19rocblas_complex_numIfELi16ELi16ELi32ELi32ELi8ELi32ELi8ELi8ELi32ELc78ELc84EKS2_S3_S2_EEvlllT_PT11_llS6_llS4_PT12_llPT13_lli.uses_vcc, 1
	.set _ZN12_GLOBAL__N_127rocblas_gemm_batched_kernelI19rocblas_complex_numIfELi16ELi16ELi32ELi32ELi8ELi32ELi8ELi8ELi32ELc78ELc84EKS2_S3_S2_EEvlllT_PT11_llS6_llS4_PT12_llPT13_lli.uses_flat_scratch, 0
	.set _ZN12_GLOBAL__N_127rocblas_gemm_batched_kernelI19rocblas_complex_numIfELi16ELi16ELi32ELi32ELi8ELi32ELi8ELi8ELi32ELc78ELc84EKS2_S3_S2_EEvlllT_PT11_llS6_llS4_PT12_llPT13_lli.has_dyn_sized_stack, 0
	.set _ZN12_GLOBAL__N_127rocblas_gemm_batched_kernelI19rocblas_complex_numIfELi16ELi16ELi32ELi32ELi8ELi32ELi8ELi8ELi32ELc78ELc84EKS2_S3_S2_EEvlllT_PT11_llS6_llS4_PT12_llPT13_lli.has_recursion, 0
	.set _ZN12_GLOBAL__N_127rocblas_gemm_batched_kernelI19rocblas_complex_numIfELi16ELi16ELi32ELi32ELi8ELi32ELi8ELi8ELi32ELc78ELc84EKS2_S3_S2_EEvlllT_PT11_llS6_llS4_PT12_llPT13_lli.has_indirect_call, 0
	.section	.AMDGPU.csdata,"",@progbits
; Kernel info:
; codeLenInByte = 2484
; TotalNumSgprs: 34
; NumVgprs: 102
; NumAgprs: 0
; TotalNumVgprs: 102
; ScratchSize: 0
; MemoryBound: 0
; FloatMode: 240
; IeeeMode: 1
; LDSByteSize: 4096 bytes/workgroup (compile time only)
; SGPRBlocks: 4
; VGPRBlocks: 12
; NumSGPRsForWavesPerEU: 34
; NumVGPRsForWavesPerEU: 102
; AccumOffset: 104
; Occupancy: 4
; WaveLimiterHint : 1
; COMPUTE_PGM_RSRC2:SCRATCH_EN: 0
; COMPUTE_PGM_RSRC2:USER_SGPR: 2
; COMPUTE_PGM_RSRC2:TRAP_HANDLER: 0
; COMPUTE_PGM_RSRC2:TGID_X_EN: 1
; COMPUTE_PGM_RSRC2:TGID_Y_EN: 1
; COMPUTE_PGM_RSRC2:TGID_Z_EN: 1
; COMPUTE_PGM_RSRC2:TIDIG_COMP_CNT: 1
; COMPUTE_PGM_RSRC3_GFX90A:ACCUM_OFFSET: 25
; COMPUTE_PGM_RSRC3_GFX90A:TG_SPLIT: 0
	.section	.text._ZN12_GLOBAL__N_127rocblas_gemm_batched_kernelI19rocblas_complex_numIfELi16ELi16ELi32ELi32ELi8ELi32ELi8ELi8ELi32ELc84ELc84EKS2_S3_S2_EEvlllT_PT11_llS6_llS4_PT12_llPT13_lli,"axG",@progbits,_ZN12_GLOBAL__N_127rocblas_gemm_batched_kernelI19rocblas_complex_numIfELi16ELi16ELi32ELi32ELi8ELi32ELi8ELi8ELi32ELc84ELc84EKS2_S3_S2_EEvlllT_PT11_llS6_llS4_PT12_llPT13_lli,comdat
	.globl	_ZN12_GLOBAL__N_127rocblas_gemm_batched_kernelI19rocblas_complex_numIfELi16ELi16ELi32ELi32ELi8ELi32ELi8ELi8ELi32ELc84ELc84EKS2_S3_S2_EEvlllT_PT11_llS6_llS4_PT12_llPT13_lli ; -- Begin function _ZN12_GLOBAL__N_127rocblas_gemm_batched_kernelI19rocblas_complex_numIfELi16ELi16ELi32ELi32ELi8ELi32ELi8ELi8ELi32ELc84ELc84EKS2_S3_S2_EEvlllT_PT11_llS6_llS4_PT12_llPT13_lli
	.p2align	8
	.type	_ZN12_GLOBAL__N_127rocblas_gemm_batched_kernelI19rocblas_complex_numIfELi16ELi16ELi32ELi32ELi8ELi32ELi8ELi8ELi32ELc84ELc84EKS2_S3_S2_EEvlllT_PT11_llS6_llS4_PT12_llPT13_lli,@function
_ZN12_GLOBAL__N_127rocblas_gemm_batched_kernelI19rocblas_complex_numIfELi16ELi16ELi32ELi32ELi8ELi32ELi8ELi8ELi32ELc84ELc84EKS2_S3_S2_EEvlllT_PT11_llS6_llS4_PT12_llPT13_lli: ; @_ZN12_GLOBAL__N_127rocblas_gemm_batched_kernelI19rocblas_complex_numIfELi16ELi16ELi32ELi32ELi8ELi32ELi8ELi8ELi32ELc84ELc84EKS2_S3_S2_EEvlllT_PT11_llS6_llS4_PT12_llPT13_lli
; %bb.0:
	s_load_dwordx16 s[8:23], s[0:1], 0x10
	s_load_dwordx2 s[6:7], s[0:1], 0x50
	s_mov_b32 s24, s3
	v_mov_b32_e32 v27, 0
	s_ashr_i32 s3, s2, 31
	s_ashr_i32 s25, s24, 31
	s_waitcnt lgkmcnt(0)
	v_cmp_lt_i64_e64 s[26:27], s[8:9], 1
	v_bfe_u32 v26, v0, 10, 10
	v_and_b32_e32 v24, 0x3ff, v0
	v_mov_b32_e32 v25, v27
	s_lshl_b64 s[2:3], s[2:3], 5
	s_lshl_b64 s[24:25], s[24:25], 5
	s_and_b64 vcc, exec, s[26:27]
	v_mov_b32_e32 v21, v27
	v_mov_b32_e32 v20, v27
	v_mov_b32_e32 v32, v27
	v_mov_b32_e32 v34, v27
	v_mov_b32_e32 v28, v27
	v_mov_b32_e32 v30, v27
	v_mov_b32_e32 v22, v27
	v_mov_b32_e32 v23, v27
	s_cbranch_vccnz .LBB101_3
; %bb.1:
	v_lshl_add_u32 v4, v26, 4, v24
	v_lshrrev_b32_e32 v22, 3, v4
	v_mov_b32_e32 v23, 0
	v_lshl_add_u64 v[0:1], v[22:23], 0, s[24:25]
	v_and_b32_e32 v5, 7, v24
	v_mad_u64_u32 v[0:1], s[26:27], s20, v5, v[0:1]
	v_mov_b32_e32 v2, v1
	v_mad_u64_u32 v[2:3], s[26:27], s21, v5, v[2:3]
	v_lshlrev_b32_e32 v5, 3, v5
	v_mov_b32_e32 v1, v2
	v_and_b32_e32 v2, 31, v4
	v_mov_b32_e32 v3, v23
	v_lshl_or_b32 v5, v22, 6, v5
	v_lshrrev_b32_e32 v4, 5, v4
	v_lshlrev_b32_e32 v6, 3, v2
	v_add_u32_e32 v31, 0x800, v5
	v_mov_b32_e32 v5, 0x800
	v_lshl_add_u64 v[2:3], s[2:3], 0, v[2:3]
	v_lshl_or_b32 v29, v4, 8, v6
	v_lshl_add_u32 v35, v26, 6, v5
	v_mul_lo_u32 v5, s15, v2
	v_mul_lo_u32 v6, s14, v3
	v_mad_u64_u32 v[2:3], s[14:15], s14, v2, 0
	s_mul_i32 s5, s17, s4
	s_mul_hi_u32 s14, s16, s4
	s_add_i32 s15, s14, s5
	s_mul_i32 s14, s16, s4
	v_add3_u32 v3, v3, v6, v5
	s_lshl_b64 s[14:15], s[14:15], 3
	v_lshl_add_u64 v[2:3], v[2:3], 3, s[14:15]
	v_lshlrev_b32_e32 v22, 3, v4
	v_lshl_add_u64 v[2:3], v[2:3], 0, v[22:23]
	v_lshl_add_u64 v[36:37], s[12:13], 0, v[2:3]
	s_mul_i32 s5, s23, s4
	s_mul_hi_u32 s12, s22, s4
	s_add_i32 s13, s12, s5
	s_mul_i32 s12, s22, s4
	s_lshl_b64 s[12:13], s[12:13], 3
	s_add_u32 s12, s18, s12
	s_addc_u32 s13, s19, s13
	v_lshlrev_b32_e32 v33, 3, v24
	v_lshl_add_u64 v[38:39], v[0:1], 3, s[12:13]
	s_lshl_b64 s[12:13], s[20:21], 6
	s_mov_b64 s[14:15], 0
	v_mov_b64_e32 v[40:41], s[8:9]
	v_mov_b32_e32 v22, v23
	v_mov_b32_e32 v30, v23
	;; [unrolled: 1-line block ×7, first 2 shown]
.LBB101_2:                              ; =>This Inner Loop Header: Depth=1
	global_load_dwordx2 v[0:1], v[36:37], off
	global_load_dwordx2 v[2:3], v[38:39], off
	s_add_u32 s14, s14, 8
	s_addc_u32 s15, s15, 0
	v_cmp_lt_i64_e32 vcc, s[14:15], v[40:41]
	v_lshl_add_u64 v[36:37], v[36:37], 0, 64
	v_lshl_add_u64 v[38:39], v[38:39], 0, s[12:13]
	s_and_b64 vcc, exec, vcc
	s_waitcnt vmcnt(1)
	ds_write_b64 v29, v[0:1]
	s_waitcnt vmcnt(0)
	ds_write_b64 v31, v[2:3]
	s_waitcnt lgkmcnt(0)
	s_barrier
	ds_read2_b64 v[4:7], v33 offset1:16
	ds_read_b128 v[8:11], v35
	ds_read_b128 v[0:3], v35 offset:16
	ds_read2_b64 v[12:15], v33 offset0:32 offset1:48
	ds_read_b128 v[16:19], v35 offset:1024
	ds_read_b128 v[42:45], v35 offset:1040
	ds_read2_b64 v[46:49], v33 offset0:64 offset1:80
	ds_read2_b64 v[50:53], v33 offset0:96 offset1:112
	;; [unrolled: 1-line block ×4, first 2 shown]
	ds_read_b128 v[62:65], v35 offset:1056
	ds_read_b128 v[66:69], v35 offset:32
	;; [unrolled: 1-line block ×3, first 2 shown]
	s_waitcnt lgkmcnt(11)
	v_mul_f32_e32 v78, v9, v5
	v_mul_f32_e32 v80, v8, v5
	;; [unrolled: 1-line block ×4, first 2 shown]
	s_waitcnt lgkmcnt(9)
	v_mul_f32_e32 v82, v11, v13
	v_mul_f32_e32 v83, v10, v13
	;; [unrolled: 1-line block ×4, first 2 shown]
	s_waitcnt lgkmcnt(8)
	v_mul_f32_e32 v86, v17, v5
	v_mul_f32_e32 v87, v16, v5
	v_pk_mul_f32 v[74:75], v[16:17], v[6:7] op_sel:[1,1] op_sel_hi:[0,1]
	v_mul_f32_e32 v5, v19, v13
	v_mul_f32_e32 v88, v18, v13
	v_pk_mul_f32 v[76:77], v[18:19], v[14:15] op_sel:[1,1] op_sel_hi:[0,1]
	v_fma_f32 v89, v8, v4, -v78
	v_fmac_f32_e32 v80, v9, v4
	v_fma_f32 v90, v8, v6, -v79
	v_fmac_f32_e32 v81, v9, v6
	;; [unrolled: 2-line block ×5, first 2 shown]
	v_pk_fma_f32 v[78:79], v[16:17], v[6:7], v[74:75] neg_lo:[0,0,1] neg_hi:[0,0,1]
	v_pk_fma_f32 v[16:17], v[16:17], v[6:7], v[74:75] op_sel_hi:[1,0,1]
	v_fma_f32 v74, v18, v12, -v5
	v_fmac_f32_e32 v88, v19, v12
	v_pk_fma_f32 v[12:13], v[18:19], v[14:15], v[76:77] neg_lo:[0,0,1] neg_hi:[0,0,1]
	v_pk_fma_f32 v[14:15], v[18:19], v[14:15], v[76:77] op_sel_hi:[1,0,1]
	s_waitcnt lgkmcnt(5)
	v_mul_f32_e32 v7, v3, v51
	v_mul_f32_e32 v9, v3, v53
	;; [unrolled: 1-line block ×4, first 2 shown]
	v_pk_mul_f32 v[4:5], v[42:43], v[48:49] op_sel:[1,1] op_sel_hi:[0,1]
	v_mul_f32_e32 v8, v1, v47
	v_mul_f32_e32 v91, v0, v47
	;; [unrolled: 1-line block ×6, first 2 shown]
	v_fma_f32 v93, v2, v50, -v7
	v_fma_f32 v94, v2, v52, -v9
	v_mul_f32_e32 v2, v45, v51
	v_fma_f32 v96, v42, v46, -v10
	v_fmac_f32_e32 v76, v43, v46
	v_pk_fma_f32 v[18:19], v[42:43], v[48:49], v[4:5] neg_lo:[0,0,1] neg_hi:[0,0,1]
	v_pk_fma_f32 v[42:43], v[42:43], v[48:49], v[4:5] op_sel_hi:[1,0,1]
	s_waitcnt lgkmcnt(1)
	v_mul_f32_e32 v98, v68, v59
	v_mul_f32_e32 v99, v68, v61
	;; [unrolled: 1-line block ×3, first 2 shown]
	v_fma_f32 v77, v0, v46, -v8
	v_fmac_f32_e32 v91, v1, v46
	v_fma_f32 v92, v0, v48, -v6
	v_fmac_f32_e32 v16, v1, v48
	v_fmac_f32_e32 v14, v3, v50
	;; [unrolled: 1-line block ×3, first 2 shown]
	v_mul_f32_e32 v95, v44, v51
	v_pk_mul_f32 v[0:1], v[44:45], v[52:53] op_sel:[1,1] op_sel_hi:[0,1]
	v_fma_f32 v42, v44, v50, -v2
	v_mul_f32_e32 v2, v69, v59
	v_mul_f32_e32 v3, v69, v61
	v_fmac_f32_e32 v98, v69, v58
	v_fmac_f32_e32 v99, v69, v60
	v_fma_f32 v69, v62, v54, -v4
	v_pk_mul_f32 v[4:5], v[62:63], v[56:57] op_sel:[1,1] op_sel_hi:[0,1]
	v_fmac_f32_e32 v95, v45, v50
	v_pk_fma_f32 v[46:47], v[44:45], v[52:53], v[0:1] neg_lo:[0,0,1] neg_hi:[0,0,1]
	v_pk_fma_f32 v[44:45], v[44:45], v[52:53], v[0:1] op_sel_hi:[1,0,1]
	v_pk_fma_f32 v[48:49], v[62:63], v[56:57], v[4:5] neg_lo:[0,0,1] neg_hi:[0,0,1]
	v_pk_fma_f32 v[50:51], v[62:63], v[56:57], v[4:5] op_sel_hi:[1,0,1]
	v_mul_f32_e32 v4, v65, v59
	v_mul_f32_e32 v0, v67, v55
	;; [unrolled: 1-line block ×4, first 2 shown]
	v_fma_f32 v50, v64, v58, -v4
	v_pk_mul_f32 v[4:5], v[64:65], v[60:61] op_sel:[1,1] op_sel_hi:[0,1]
	v_fma_f32 v100, v66, v54, -v0
	v_fmac_f32_e32 v44, v67, v54
	v_fmac_f32_e32 v101, v63, v54
	v_pk_fma_f32 v[52:53], v[64:65], v[60:61], v[4:5] neg_lo:[0,0,1] neg_hi:[0,0,1]
	v_pk_fma_f32 v[54:55], v[64:65], v[60:61], v[4:5] op_sel_hi:[1,0,1]
	ds_read2_b64 v[4:7], v33 offset0:192 offset1:208
	v_mul_f32_e32 v97, v66, v57
	v_mul_f32_e32 v1, v67, v57
	v_fmac_f32_e32 v97, v67, v56
	v_fma_f32 v67, v68, v58, -v2
	s_waitcnt lgkmcnt(0)
	v_mul_f32_e32 v8, v71, v5
	v_fma_f32 v54, v70, v4, -v8
	v_mul_f32_e32 v8, v71, v7
	v_fma_f32 v68, v68, v60, -v3
	v_fma_f32 v60, v70, v6, -v8
	ds_read2_b64 v[8:11], v33 offset0:224 offset1:240
	v_fma_f32 v66, v66, v56, -v1
	ds_read_b128 v[0:3], v35 offset:1072
	v_mul_f32_e32 v59, v64, v59
	v_fmac_f32_e32 v59, v65, v58
	s_waitcnt lgkmcnt(1)
	v_mul_f32_e32 v13, v73, v9
	v_mul_f32_e32 v58, v70, v5
	;; [unrolled: 1-line block ×3, first 2 shown]
	v_fma_f32 v62, v72, v8, -v13
	v_mul_f32_e32 v13, v73, v11
	v_fmac_f32_e32 v58, v71, v4
	v_fmac_f32_e32 v61, v71, v6
	v_fma_f32 v64, v72, v10, -v13
	s_waitcnt lgkmcnt(0)
	v_mul_f32_e32 v13, v1, v5
	v_mul_f32_e32 v71, v0, v5
	v_fma_f32 v70, v0, v4, -v13
	v_fmac_f32_e32 v71, v1, v4
	v_pk_mul_f32 v[4:5], v[0:1], v[6:7] op_sel:[1,1] op_sel_hi:[0,1]
	v_pk_fma_f32 v[56:57], v[0:1], v[6:7], v[4:5] neg_lo:[0,0,1] neg_hi:[0,0,1]
	v_pk_fma_f32 v[0:1], v[0:1], v[6:7], v[4:5] op_sel_hi:[1,0,1]
	v_mul_f32_e32 v63, v72, v9
	v_mul_f32_e32 v0, v3, v9
	;; [unrolled: 1-line block ×3, first 2 shown]
	v_pk_mul_f32 v[4:5], v[2:3], v[10:11] op_sel:[1,1] op_sel_hi:[0,1]
	v_mul_f32_e32 v65, v72, v11
	v_fma_f32 v72, v2, v8, -v0
	v_fmac_f32_e32 v9, v3, v8
	v_pk_fma_f32 v[6:7], v[2:3], v[10:11], v[4:5] neg_lo:[0,0,1] neg_hi:[0,0,1]
	v_pk_fma_f32 v[2:3], v[2:3], v[10:11], v[4:5] op_sel_hi:[1,0,1]
	v_mov_b32_e32 v79, v17
	v_fmac_f32_e32 v63, v73, v8
	v_fmac_f32_e32 v65, v73, v10
	v_add_f32_e32 v2, v32, v89
	v_add_f32_e32 v4, v34, v80
	;; [unrolled: 1-line block ×6, first 2 shown]
	v_mov_b32_e32 v13, v15
	v_mov_b32_e32 v57, v1
	v_pk_add_f32 v[0:1], v[20:21], v[78:79]
	v_mov_b32_e32 v19, v43
	v_mov_b32_e32 v7, v3
	v_add_f32_e32 v2, v2, v82
	v_add_f32_e32 v3, v4, v83
	v_add_f32_e32 v4, v5, v84
	v_add_f32_e32 v5, v8, v85
	v_add_f32_e32 v8, v10, v74
	v_add_f32_e32 v10, v11, v88
	v_pk_add_f32 v[0:1], v[0:1], v[12:13]
	v_mov_b32_e32 v47, v45
	v_add_f32_e32 v2, v2, v77
	v_add_f32_e32 v3, v3, v91
	v_add_f32_e32 v4, v4, v92
	v_add_f32_e32 v5, v5, v16
	v_add_f32_e32 v8, v8, v96
	v_add_f32_e32 v10, v10, v76
	v_pk_add_f32 v[0:1], v[0:1], v[18:19]
	;; [unrolled: 8-line block ×4, first 2 shown]
	v_add_f32_e32 v2, v2, v67
	v_add_f32_e32 v3, v3, v98
	v_add_f32_e32 v4, v4, v68
	v_add_f32_e32 v5, v5, v99
	v_add_f32_e32 v8, v8, v50
	v_add_f32_e32 v10, v10, v59
	v_pk_add_f32 v[0:1], v[0:1], v[52:53]
	v_add_f32_e32 v2, v2, v54
	v_add_f32_e32 v3, v3, v58
	v_add_f32_e32 v4, v4, v60
	v_add_f32_e32 v5, v5, v61
	v_add_f32_e32 v8, v8, v70
	v_add_f32_e32 v10, v10, v71
	v_pk_add_f32 v[0:1], v[0:1], v[56:57]
	;; [unrolled: 7-line block ×3, first 2 shown]
	s_barrier
	s_cbranch_vccnz .LBB101_2
.LBB101_3:
	s_load_dwordx4 s[20:23], s[0:1], 0x78
	s_load_dwordx8 s[12:19], s[0:1], 0x58
	v_lshl_add_u64 v[0:1], s[24:25], 0, v[26:27]
	v_lshl_add_u64 v[2:3], s[2:3], 0, v[24:25]
	s_waitcnt lgkmcnt(0)
	s_mul_i32 s1, s23, s4
	s_mul_hi_u32 s5, s22, s4
	s_mul_i32 s0, s22, s4
	s_add_i32 s1, s5, s1
	s_lshl_b64 s[0:1], s[0:1], 3
	s_add_u32 s8, s18, s0
	s_addc_u32 s9, s19, s1
	s_or_b32 s0, s6, s7
	s_bitset0_b32 s0, 31
	s_cmp_lg_u32 s0, 0
	s_mov_b32 s0, s11
	s_mov_b32 s1, s10
	s_cbranch_scc1 .LBB101_5
; %bb.4:
	v_mul_lo_u32 v6, v1, s20
	v_mul_lo_u32 v7, v0, s21
	v_mad_u64_u32 v[4:5], s[2:3], v0, s20, 0
	v_add3_u32 v5, v5, v7, v6
	v_pk_mul_f32 v[10:11], v[34:35], s[0:1] op_sel_hi:[0,1]
	v_lshl_add_u64 v[4:5], v[4:5], 3, s[8:9]
	v_lshlrev_b64 v[6:7], 3, v[2:3]
	v_pk_fma_f32 v[12:13], v[32:33], s[0:1], v[10:11] op_sel:[0,1,0] op_sel_hi:[1,0,1] neg_lo:[0,0,1] neg_hi:[0,0,1]
	v_pk_fma_f32 v[10:11], v[32:33], s[0:1], v[10:11] op_sel:[0,1,0] op_sel_hi:[0,0,1]
	v_lshl_add_u64 v[8:9], v[4:5], 0, v[6:7]
	v_mov_b32_e32 v13, v11
	v_pk_mul_f32 v[10:11], v[30:31], s[0:1] op_sel_hi:[0,1]
	global_store_dwordx2 v[8:9], v[12:13], off
	v_pk_fma_f32 v[12:13], v[28:29], s[0:1], v[10:11] op_sel:[0,1,0] op_sel_hi:[1,0,1] neg_lo:[0,0,1] neg_hi:[0,0,1]
	v_pk_fma_f32 v[10:11], v[28:29], s[0:1], v[10:11] op_sel:[0,1,0] op_sel_hi:[0,0,1]
	s_lshl_b64 s[2:3], s[20:21], 7
	v_mov_b32_e32 v13, v11
	v_lshl_add_u64 v[4:5], v[4:5], 0, s[2:3]
	global_store_dwordx2 v[8:9], v[12:13], off offset:128
	v_lshl_add_u64 v[8:9], v[4:5], 0, v[6:7]
	v_mov_b32_e32 v4, v23
	v_pk_mul_f32 v[4:5], v[4:5], s[0:1] op_sel_hi:[0,1]
	v_pk_fma_f32 v[6:7], v[22:23], s[0:1], v[4:5] op_sel:[0,1,0] op_sel_hi:[1,0,1] neg_lo:[0,0,1] neg_hi:[0,0,1]
	v_pk_fma_f32 v[4:5], v[22:23], s[0:1], v[4:5] op_sel:[0,1,0] op_sel_hi:[0,0,1]
	v_mov_b32_e32 v7, v5
	v_mul_f32_e32 v4, s1, v20
	global_store_dwordx2 v[8:9], v[6:7], off
	v_fma_f32 v7, -v21, s0, v4
	v_pk_mul_f32 v[4:5], v[20:21], s[0:1]
	s_mov_b64 s[2:3], 0x80
	v_add_f32_e32 v6, v4, v5
	v_lshl_add_u64 v[4:5], v[8:9], 0, s[2:3]
	global_store_dword v[8:9], v7, off offset:128
	s_cbranch_execz .LBB101_6
	s_branch .LBB101_7
.LBB101_5:
                                        ; implicit-def: $vgpr6
                                        ; implicit-def: $vgpr4_vgpr5
.LBB101_6:
	s_mul_i32 s2, s17, s4
	s_mul_hi_u32 s3, s16, s4
	s_add_i32 s3, s3, s2
	s_mul_i32 s2, s16, s4
	s_lshl_b64 s[2:3], s[2:3], 3
	s_add_u32 s2, s12, s2
	v_mul_lo_u32 v6, v1, s14
	v_mul_lo_u32 v7, v0, s15
	v_mad_u64_u32 v[4:5], s[4:5], v0, s14, 0
	s_addc_u32 s3, s13, s3
	v_add3_u32 v5, v5, v7, v6
	v_lshl_add_u64 v[4:5], v[4:5], 3, s[2:3]
	v_lshlrev_b64 v[2:3], 3, v[2:3]
	v_lshl_add_u64 v[6:7], v[4:5], 0, v[2:3]
	global_load_dwordx2 v[8:9], v[6:7], off
	v_mul_lo_u32 v12, v1, s20
	v_mul_lo_u32 v13, v0, s21
	v_mad_u64_u32 v[0:1], s[2:3], v0, s20, 0
	s_mov_b32 s2, s7
	v_pk_mul_f32 v[10:11], v[34:35], s[0:1] op_sel_hi:[0,1]
	v_add3_u32 v1, v1, v13, v12
	v_pk_fma_f32 v[12:13], v[32:33], s[0:1], v[10:11] op_sel:[0,1,0] op_sel_hi:[1,0,1] neg_lo:[0,0,1] neg_hi:[0,0,1]
	v_pk_fma_f32 v[10:11], v[32:33], s[0:1], v[10:11] op_sel:[0,1,0] op_sel_hi:[0,0,1]
	v_lshl_add_u64 v[0:1], v[0:1], 3, s[8:9]
	v_mov_b32_e32 v13, v11
	v_lshl_add_u64 v[10:11], v[0:1], 0, v[2:3]
	s_lshl_b64 s[4:5], s[14:15], 7
	v_lshl_add_u64 v[4:5], v[4:5], 0, s[4:5]
	v_lshl_add_u64 v[4:5], v[4:5], 0, v[2:3]
	s_lshl_b64 s[4:5], s[20:21], 7
	v_lshl_add_u64 v[0:1], v[0:1], 0, s[4:5]
	v_lshl_add_u64 v[0:1], v[0:1], 0, v[2:3]
	s_mov_b32 s11, s6
	s_waitcnt vmcnt(0)
	v_pk_mul_f32 v[14:15], v[8:9], s[2:3] op_sel_hi:[1,0]
	s_nop 0
	v_pk_fma_f32 v[16:17], v[8:9], s[6:7], v[14:15] op_sel:[0,0,1] op_sel_hi:[1,1,0] neg_lo:[0,0,1] neg_hi:[0,0,1]
	v_pk_fma_f32 v[8:9], v[8:9], s[6:7], v[14:15] op_sel:[0,0,1] op_sel_hi:[1,0,0]
	s_nop 0
	v_mov_b32_e32 v17, v9
	v_pk_add_f32 v[8:9], v[12:13], v[16:17]
	global_store_dwordx2 v[10:11], v[8:9], off
	global_load_dwordx2 v[6:7], v[6:7], off offset:128
	v_pk_mul_f32 v[8:9], v[30:31], s[0:1] op_sel_hi:[0,1]
	v_pk_fma_f32 v[12:13], v[28:29], s[0:1], v[8:9] op_sel:[0,1,0] op_sel_hi:[1,0,1] neg_lo:[0,0,1] neg_hi:[0,0,1]
	v_pk_fma_f32 v[8:9], v[28:29], s[0:1], v[8:9] op_sel:[0,1,0] op_sel_hi:[0,0,1]
	v_mov_b32_e32 v13, v9
	s_waitcnt vmcnt(0)
	v_pk_mul_f32 v[8:9], v[6:7], s[2:3] op_sel_hi:[1,0]
	s_nop 0
	v_pk_fma_f32 v[14:15], v[6:7], s[6:7], v[8:9] op_sel:[0,0,1] op_sel_hi:[1,1,0] neg_lo:[0,0,1] neg_hi:[0,0,1]
	v_pk_fma_f32 v[6:7], v[6:7], s[6:7], v[8:9] op_sel:[0,0,1] op_sel_hi:[1,0,0]
	v_mov_b32_e32 v8, v23
	v_mov_b32_e32 v15, v7
	v_pk_add_f32 v[6:7], v[12:13], v[14:15]
	global_store_dwordx2 v[10:11], v[6:7], off offset:128
	global_load_dwordx2 v[6:7], v[4:5], off
	v_pk_mul_f32 v[8:9], v[8:9], s[0:1] op_sel_hi:[0,1]
	v_pk_fma_f32 v[10:11], v[22:23], s[0:1], v[8:9] op_sel:[0,1,0] op_sel_hi:[1,0,1] neg_lo:[0,0,1] neg_hi:[0,0,1]
	v_pk_fma_f32 v[8:9], v[22:23], s[0:1], v[8:9] op_sel:[0,1,0] op_sel_hi:[0,0,1]
	v_mov_b32_e32 v11, v9
	s_waitcnt vmcnt(0)
	v_pk_mul_f32 v[2:3], v[6:7], s[2:3] op_sel_hi:[1,0]
	s_nop 0
	v_pk_fma_f32 v[8:9], v[6:7], s[6:7], v[2:3] op_sel:[0,0,1] op_sel_hi:[1,1,0] neg_lo:[0,0,1] neg_hi:[0,0,1]
	v_pk_fma_f32 v[2:3], v[6:7], s[6:7], v[2:3] op_sel:[0,0,1] op_sel_hi:[1,0,0]
	v_mov_b32_e32 v6, v20
	v_mov_b32_e32 v9, v3
	v_pk_add_f32 v[2:3], v[10:11], v[8:9]
	global_store_dwordx2 v[0:1], v[2:3], off
	global_load_dwordx2 v[2:3], v[4:5], off offset:128
	v_mul_f32_e32 v4, s1, v20
	s_mov_b32 s1, s7
	s_mov_b64 s[2:3], 0x80
	v_fma_f32 v8, -v21, s0, v4
	v_lshl_add_u64 v[4:5], v[0:1], 0, s[2:3]
	s_waitcnt vmcnt(0)
	v_mul_f32_e32 v9, s7, v3
	v_mov_b32_e32 v7, v2
	v_fma_f32 v9, v2, s6, -v9
	v_mov_b32_e32 v2, v21
	v_pk_mul_f32 v[2:3], v[2:3], s[10:11]
	v_add_f32_e32 v8, v8, v9
	v_pk_fma_f32 v[2:3], v[6:7], s[0:1], v[2:3]
	global_store_dword v[0:1], v8, off offset:128
	v_add_f32_e32 v6, v2, v3
.LBB101_7:
	global_store_dword v[4:5], v6, off offset:4
	s_endpgm
	.section	.rodata,"a",@progbits
	.p2align	6, 0x0
	.amdhsa_kernel _ZN12_GLOBAL__N_127rocblas_gemm_batched_kernelI19rocblas_complex_numIfELi16ELi16ELi32ELi32ELi8ELi32ELi8ELi8ELi32ELc84ELc84EKS2_S3_S2_EEvlllT_PT11_llS6_llS4_PT12_llPT13_lli
		.amdhsa_group_segment_fixed_size 4096
		.amdhsa_private_segment_fixed_size 0
		.amdhsa_kernarg_size 140
		.amdhsa_user_sgpr_count 2
		.amdhsa_user_sgpr_dispatch_ptr 0
		.amdhsa_user_sgpr_queue_ptr 0
		.amdhsa_user_sgpr_kernarg_segment_ptr 1
		.amdhsa_user_sgpr_dispatch_id 0
		.amdhsa_user_sgpr_kernarg_preload_length 0
		.amdhsa_user_sgpr_kernarg_preload_offset 0
		.amdhsa_user_sgpr_private_segment_size 0
		.amdhsa_uses_dynamic_stack 0
		.amdhsa_enable_private_segment 0
		.amdhsa_system_sgpr_workgroup_id_x 1
		.amdhsa_system_sgpr_workgroup_id_y 1
		.amdhsa_system_sgpr_workgroup_id_z 1
		.amdhsa_system_sgpr_workgroup_info 0
		.amdhsa_system_vgpr_workitem_id 1
		.amdhsa_next_free_vgpr 102
		.amdhsa_next_free_sgpr 28
		.amdhsa_accum_offset 104
		.amdhsa_reserve_vcc 1
		.amdhsa_float_round_mode_32 0
		.amdhsa_float_round_mode_16_64 0
		.amdhsa_float_denorm_mode_32 3
		.amdhsa_float_denorm_mode_16_64 3
		.amdhsa_dx10_clamp 1
		.amdhsa_ieee_mode 1
		.amdhsa_fp16_overflow 0
		.amdhsa_tg_split 0
		.amdhsa_exception_fp_ieee_invalid_op 0
		.amdhsa_exception_fp_denorm_src 0
		.amdhsa_exception_fp_ieee_div_zero 0
		.amdhsa_exception_fp_ieee_overflow 0
		.amdhsa_exception_fp_ieee_underflow 0
		.amdhsa_exception_fp_ieee_inexact 0
		.amdhsa_exception_int_div_zero 0
	.end_amdhsa_kernel
	.section	.text._ZN12_GLOBAL__N_127rocblas_gemm_batched_kernelI19rocblas_complex_numIfELi16ELi16ELi32ELi32ELi8ELi32ELi8ELi8ELi32ELc84ELc84EKS2_S3_S2_EEvlllT_PT11_llS6_llS4_PT12_llPT13_lli,"axG",@progbits,_ZN12_GLOBAL__N_127rocblas_gemm_batched_kernelI19rocblas_complex_numIfELi16ELi16ELi32ELi32ELi8ELi32ELi8ELi8ELi32ELc84ELc84EKS2_S3_S2_EEvlllT_PT11_llS6_llS4_PT12_llPT13_lli,comdat
.Lfunc_end101:
	.size	_ZN12_GLOBAL__N_127rocblas_gemm_batched_kernelI19rocblas_complex_numIfELi16ELi16ELi32ELi32ELi8ELi32ELi8ELi8ELi32ELc84ELc84EKS2_S3_S2_EEvlllT_PT11_llS6_llS4_PT12_llPT13_lli, .Lfunc_end101-_ZN12_GLOBAL__N_127rocblas_gemm_batched_kernelI19rocblas_complex_numIfELi16ELi16ELi32ELi32ELi8ELi32ELi8ELi8ELi32ELc84ELc84EKS2_S3_S2_EEvlllT_PT11_llS6_llS4_PT12_llPT13_lli
                                        ; -- End function
	.set _ZN12_GLOBAL__N_127rocblas_gemm_batched_kernelI19rocblas_complex_numIfELi16ELi16ELi32ELi32ELi8ELi32ELi8ELi8ELi32ELc84ELc84EKS2_S3_S2_EEvlllT_PT11_llS6_llS4_PT12_llPT13_lli.num_vgpr, 102
	.set _ZN12_GLOBAL__N_127rocblas_gemm_batched_kernelI19rocblas_complex_numIfELi16ELi16ELi32ELi32ELi8ELi32ELi8ELi8ELi32ELc84ELc84EKS2_S3_S2_EEvlllT_PT11_llS6_llS4_PT12_llPT13_lli.num_agpr, 0
	.set _ZN12_GLOBAL__N_127rocblas_gemm_batched_kernelI19rocblas_complex_numIfELi16ELi16ELi32ELi32ELi8ELi32ELi8ELi8ELi32ELc84ELc84EKS2_S3_S2_EEvlllT_PT11_llS6_llS4_PT12_llPT13_lli.numbered_sgpr, 28
	.set _ZN12_GLOBAL__N_127rocblas_gemm_batched_kernelI19rocblas_complex_numIfELi16ELi16ELi32ELi32ELi8ELi32ELi8ELi8ELi32ELc84ELc84EKS2_S3_S2_EEvlllT_PT11_llS6_llS4_PT12_llPT13_lli.num_named_barrier, 0
	.set _ZN12_GLOBAL__N_127rocblas_gemm_batched_kernelI19rocblas_complex_numIfELi16ELi16ELi32ELi32ELi8ELi32ELi8ELi8ELi32ELc84ELc84EKS2_S3_S2_EEvlllT_PT11_llS6_llS4_PT12_llPT13_lli.private_seg_size, 0
	.set _ZN12_GLOBAL__N_127rocblas_gemm_batched_kernelI19rocblas_complex_numIfELi16ELi16ELi32ELi32ELi8ELi32ELi8ELi8ELi32ELc84ELc84EKS2_S3_S2_EEvlllT_PT11_llS6_llS4_PT12_llPT13_lli.uses_vcc, 1
	.set _ZN12_GLOBAL__N_127rocblas_gemm_batched_kernelI19rocblas_complex_numIfELi16ELi16ELi32ELi32ELi8ELi32ELi8ELi8ELi32ELc84ELc84EKS2_S3_S2_EEvlllT_PT11_llS6_llS4_PT12_llPT13_lli.uses_flat_scratch, 0
	.set _ZN12_GLOBAL__N_127rocblas_gemm_batched_kernelI19rocblas_complex_numIfELi16ELi16ELi32ELi32ELi8ELi32ELi8ELi8ELi32ELc84ELc84EKS2_S3_S2_EEvlllT_PT11_llS6_llS4_PT12_llPT13_lli.has_dyn_sized_stack, 0
	.set _ZN12_GLOBAL__N_127rocblas_gemm_batched_kernelI19rocblas_complex_numIfELi16ELi16ELi32ELi32ELi8ELi32ELi8ELi8ELi32ELc84ELc84EKS2_S3_S2_EEvlllT_PT11_llS6_llS4_PT12_llPT13_lli.has_recursion, 0
	.set _ZN12_GLOBAL__N_127rocblas_gemm_batched_kernelI19rocblas_complex_numIfELi16ELi16ELi32ELi32ELi8ELi32ELi8ELi8ELi32ELc84ELc84EKS2_S3_S2_EEvlllT_PT11_llS6_llS4_PT12_llPT13_lli.has_indirect_call, 0
	.section	.AMDGPU.csdata,"",@progbits
; Kernel info:
; codeLenInByte = 2496
; TotalNumSgprs: 34
; NumVgprs: 102
; NumAgprs: 0
; TotalNumVgprs: 102
; ScratchSize: 0
; MemoryBound: 0
; FloatMode: 240
; IeeeMode: 1
; LDSByteSize: 4096 bytes/workgroup (compile time only)
; SGPRBlocks: 4
; VGPRBlocks: 12
; NumSGPRsForWavesPerEU: 34
; NumVGPRsForWavesPerEU: 102
; AccumOffset: 104
; Occupancy: 4
; WaveLimiterHint : 1
; COMPUTE_PGM_RSRC2:SCRATCH_EN: 0
; COMPUTE_PGM_RSRC2:USER_SGPR: 2
; COMPUTE_PGM_RSRC2:TRAP_HANDLER: 0
; COMPUTE_PGM_RSRC2:TGID_X_EN: 1
; COMPUTE_PGM_RSRC2:TGID_Y_EN: 1
; COMPUTE_PGM_RSRC2:TGID_Z_EN: 1
; COMPUTE_PGM_RSRC2:TIDIG_COMP_CNT: 1
; COMPUTE_PGM_RSRC3_GFX90A:ACCUM_OFFSET: 25
; COMPUTE_PGM_RSRC3_GFX90A:TG_SPLIT: 0
	.section	.text._ZN12_GLOBAL__N_127rocblas_gemm_batched_kernelI19rocblas_complex_numIfELi16ELi16ELi32ELi32ELi8ELi32ELi8ELi8ELi32ELc67ELc67EKS2_S3_S2_EEvlllT_PT11_llS6_llS4_PT12_llPT13_lli,"axG",@progbits,_ZN12_GLOBAL__N_127rocblas_gemm_batched_kernelI19rocblas_complex_numIfELi16ELi16ELi32ELi32ELi8ELi32ELi8ELi8ELi32ELc67ELc67EKS2_S3_S2_EEvlllT_PT11_llS6_llS4_PT12_llPT13_lli,comdat
	.globl	_ZN12_GLOBAL__N_127rocblas_gemm_batched_kernelI19rocblas_complex_numIfELi16ELi16ELi32ELi32ELi8ELi32ELi8ELi8ELi32ELc67ELc67EKS2_S3_S2_EEvlllT_PT11_llS6_llS4_PT12_llPT13_lli ; -- Begin function _ZN12_GLOBAL__N_127rocblas_gemm_batched_kernelI19rocblas_complex_numIfELi16ELi16ELi32ELi32ELi8ELi32ELi8ELi8ELi32ELc67ELc67EKS2_S3_S2_EEvlllT_PT11_llS6_llS4_PT12_llPT13_lli
	.p2align	8
	.type	_ZN12_GLOBAL__N_127rocblas_gemm_batched_kernelI19rocblas_complex_numIfELi16ELi16ELi32ELi32ELi8ELi32ELi8ELi8ELi32ELc67ELc67EKS2_S3_S2_EEvlllT_PT11_llS6_llS4_PT12_llPT13_lli,@function
_ZN12_GLOBAL__N_127rocblas_gemm_batched_kernelI19rocblas_complex_numIfELi16ELi16ELi32ELi32ELi8ELi32ELi8ELi8ELi32ELc67ELc67EKS2_S3_S2_EEvlllT_PT11_llS6_llS4_PT12_llPT13_lli: ; @_ZN12_GLOBAL__N_127rocblas_gemm_batched_kernelI19rocblas_complex_numIfELi16ELi16ELi32ELi32ELi8ELi32ELi8ELi8ELi32ELc67ELc67EKS2_S3_S2_EEvlllT_PT11_llS6_llS4_PT12_llPT13_lli
; %bb.0:
	s_load_dwordx16 s[8:23], s[0:1], 0x10
	s_load_dwordx2 s[6:7], s[0:1], 0x50
	s_mov_b32 s24, s3
	v_mov_b32_e32 v27, 0
	s_ashr_i32 s3, s2, 31
	s_ashr_i32 s25, s24, 31
	s_waitcnt lgkmcnt(0)
	v_cmp_lt_i64_e64 s[26:27], s[8:9], 1
	v_bfe_u32 v26, v0, 10, 10
	v_and_b32_e32 v24, 0x3ff, v0
	v_mov_b32_e32 v25, v27
	s_lshl_b64 s[2:3], s[2:3], 5
	s_lshl_b64 s[24:25], s[24:25], 5
	s_and_b64 vcc, exec, s[26:27]
	v_mov_b32_e32 v21, v27
	v_mov_b32_e32 v20, v27
	;; [unrolled: 1-line block ×8, first 2 shown]
	s_cbranch_vccnz .LBB102_3
; %bb.1:
	v_lshl_add_u32 v4, v26, 4, v24
	v_lshrrev_b32_e32 v22, 3, v4
	v_mov_b32_e32 v23, 0
	v_lshl_add_u64 v[0:1], v[22:23], 0, s[24:25]
	v_and_b32_e32 v5, 7, v24
	v_mad_u64_u32 v[0:1], s[26:27], s20, v5, v[0:1]
	v_mov_b32_e32 v2, v1
	v_mad_u64_u32 v[2:3], s[26:27], s21, v5, v[2:3]
	v_lshlrev_b32_e32 v5, 3, v5
	v_mov_b32_e32 v1, v2
	v_and_b32_e32 v2, 31, v4
	v_mov_b32_e32 v3, v23
	v_lshl_or_b32 v5, v22, 6, v5
	v_lshrrev_b32_e32 v4, 5, v4
	v_lshlrev_b32_e32 v6, 3, v2
	v_add_u32_e32 v31, 0x800, v5
	v_mov_b32_e32 v5, 0x800
	v_lshl_add_u64 v[2:3], s[2:3], 0, v[2:3]
	v_lshl_or_b32 v29, v4, 8, v6
	v_lshl_add_u32 v35, v26, 6, v5
	v_mul_lo_u32 v5, s15, v2
	v_mul_lo_u32 v6, s14, v3
	v_mad_u64_u32 v[2:3], s[14:15], s14, v2, 0
	s_mul_i32 s5, s17, s4
	s_mul_hi_u32 s14, s16, s4
	s_add_i32 s15, s14, s5
	s_mul_i32 s14, s16, s4
	v_add3_u32 v3, v3, v6, v5
	s_lshl_b64 s[14:15], s[14:15], 3
	v_lshl_add_u64 v[2:3], v[2:3], 3, s[14:15]
	v_lshlrev_b32_e32 v22, 3, v4
	v_lshl_add_u64 v[2:3], v[2:3], 0, v[22:23]
	v_lshl_add_u64 v[36:37], s[12:13], 0, v[2:3]
	s_mul_i32 s5, s23, s4
	s_mul_hi_u32 s12, s22, s4
	s_add_i32 s13, s12, s5
	s_mul_i32 s12, s22, s4
	s_lshl_b64 s[12:13], s[12:13], 3
	s_add_u32 s12, s18, s12
	s_addc_u32 s13, s19, s13
	v_lshl_add_u64 v[0:1], v[0:1], 3, s[12:13]
	v_lshlrev_b32_e32 v33, 3, v24
	v_lshl_add_u64 v[38:39], v[0:1], 0, 4
	s_lshl_b64 s[12:13], s[20:21], 6
	s_mov_b64 s[14:15], 0
	v_mov_b64_e32 v[40:41], s[8:9]
	v_mov_b32_e32 v22, v23
	v_mov_b32_e32 v30, v23
	;; [unrolled: 1-line block ×7, first 2 shown]
.LBB102_2:                              ; =>This Inner Loop Header: Depth=1
	global_load_dwordx2 v[0:1], v[36:37], off
	global_load_dwordx2 v[2:3], v[38:39], off offset:-4
	s_add_u32 s14, s14, 8
	s_addc_u32 s15, s15, 0
	v_cmp_lt_i64_e32 vcc, s[14:15], v[40:41]
	v_lshl_add_u64 v[36:37], v[36:37], 0, 64
	v_lshl_add_u64 v[38:39], v[38:39], 0, s[12:13]
	s_and_b64 vcc, exec, vcc
	s_waitcnt vmcnt(1)
	v_xor_b32_e32 v1, 0x80000000, v1
	s_waitcnt vmcnt(0)
	v_xor_b32_e32 v3, 0x80000000, v3
	ds_write_b64 v29, v[0:1]
	ds_write_b64 v31, v[2:3]
	s_waitcnt lgkmcnt(0)
	s_barrier
	ds_read2_b64 v[4:7], v33 offset1:16
	ds_read_b128 v[8:11], v35
	ds_read_b128 v[0:3], v35 offset:16
	ds_read2_b64 v[12:15], v33 offset0:32 offset1:48
	ds_read_b128 v[16:19], v35 offset:1024
	ds_read_b128 v[42:45], v35 offset:1040
	ds_read2_b64 v[46:49], v33 offset0:64 offset1:80
	ds_read2_b64 v[50:53], v33 offset0:96 offset1:112
	;; [unrolled: 1-line block ×4, first 2 shown]
	ds_read_b128 v[62:65], v35 offset:1056
	ds_read_b128 v[66:69], v35 offset:32
	;; [unrolled: 1-line block ×3, first 2 shown]
	s_waitcnt lgkmcnt(11)
	v_mul_f32_e32 v78, v9, v5
	v_mul_f32_e32 v80, v8, v5
	;; [unrolled: 1-line block ×4, first 2 shown]
	s_waitcnt lgkmcnt(9)
	v_mul_f32_e32 v82, v11, v13
	v_mul_f32_e32 v83, v10, v13
	;; [unrolled: 1-line block ×4, first 2 shown]
	s_waitcnt lgkmcnt(8)
	v_mul_f32_e32 v86, v17, v5
	v_mul_f32_e32 v87, v16, v5
	v_pk_mul_f32 v[74:75], v[16:17], v[6:7] op_sel:[1,1] op_sel_hi:[0,1]
	v_mul_f32_e32 v5, v19, v13
	v_mul_f32_e32 v88, v18, v13
	v_pk_mul_f32 v[76:77], v[18:19], v[14:15] op_sel:[1,1] op_sel_hi:[0,1]
	v_fma_f32 v89, v8, v4, -v78
	v_fmac_f32_e32 v80, v9, v4
	v_fma_f32 v90, v8, v6, -v79
	v_fmac_f32_e32 v81, v9, v6
	;; [unrolled: 2-line block ×5, first 2 shown]
	v_pk_fma_f32 v[78:79], v[16:17], v[6:7], v[74:75] neg_lo:[0,0,1] neg_hi:[0,0,1]
	v_pk_fma_f32 v[16:17], v[16:17], v[6:7], v[74:75] op_sel_hi:[1,0,1]
	v_fma_f32 v74, v18, v12, -v5
	v_fmac_f32_e32 v88, v19, v12
	v_pk_fma_f32 v[12:13], v[18:19], v[14:15], v[76:77] neg_lo:[0,0,1] neg_hi:[0,0,1]
	v_pk_fma_f32 v[14:15], v[18:19], v[14:15], v[76:77] op_sel_hi:[1,0,1]
	s_waitcnt lgkmcnt(5)
	v_mul_f32_e32 v7, v3, v51
	v_mul_f32_e32 v9, v3, v53
	;; [unrolled: 1-line block ×4, first 2 shown]
	v_pk_mul_f32 v[4:5], v[42:43], v[48:49] op_sel:[1,1] op_sel_hi:[0,1]
	v_mul_f32_e32 v8, v1, v47
	v_mul_f32_e32 v91, v0, v47
	;; [unrolled: 1-line block ×6, first 2 shown]
	v_fma_f32 v93, v2, v50, -v7
	v_fma_f32 v94, v2, v52, -v9
	v_mul_f32_e32 v2, v45, v51
	v_fma_f32 v96, v42, v46, -v10
	v_fmac_f32_e32 v76, v43, v46
	v_pk_fma_f32 v[18:19], v[42:43], v[48:49], v[4:5] neg_lo:[0,0,1] neg_hi:[0,0,1]
	v_pk_fma_f32 v[42:43], v[42:43], v[48:49], v[4:5] op_sel_hi:[1,0,1]
	s_waitcnt lgkmcnt(1)
	v_mul_f32_e32 v98, v68, v59
	v_mul_f32_e32 v99, v68, v61
	;; [unrolled: 1-line block ×3, first 2 shown]
	v_fma_f32 v77, v0, v46, -v8
	v_fmac_f32_e32 v91, v1, v46
	v_fma_f32 v92, v0, v48, -v6
	v_fmac_f32_e32 v16, v1, v48
	v_fmac_f32_e32 v14, v3, v50
	v_fmac_f32_e32 v75, v3, v52
	v_mul_f32_e32 v95, v44, v51
	v_pk_mul_f32 v[0:1], v[44:45], v[52:53] op_sel:[1,1] op_sel_hi:[0,1]
	v_fma_f32 v42, v44, v50, -v2
	v_mul_f32_e32 v2, v69, v59
	v_mul_f32_e32 v3, v69, v61
	v_fmac_f32_e32 v98, v69, v58
	v_fmac_f32_e32 v99, v69, v60
	v_fma_f32 v69, v62, v54, -v4
	v_pk_mul_f32 v[4:5], v[62:63], v[56:57] op_sel:[1,1] op_sel_hi:[0,1]
	v_fmac_f32_e32 v95, v45, v50
	v_pk_fma_f32 v[46:47], v[44:45], v[52:53], v[0:1] neg_lo:[0,0,1] neg_hi:[0,0,1]
	v_pk_fma_f32 v[44:45], v[44:45], v[52:53], v[0:1] op_sel_hi:[1,0,1]
	v_pk_fma_f32 v[48:49], v[62:63], v[56:57], v[4:5] neg_lo:[0,0,1] neg_hi:[0,0,1]
	v_pk_fma_f32 v[50:51], v[62:63], v[56:57], v[4:5] op_sel_hi:[1,0,1]
	v_mul_f32_e32 v4, v65, v59
	v_mul_f32_e32 v0, v67, v55
	;; [unrolled: 1-line block ×4, first 2 shown]
	v_fma_f32 v50, v64, v58, -v4
	v_pk_mul_f32 v[4:5], v[64:65], v[60:61] op_sel:[1,1] op_sel_hi:[0,1]
	v_fma_f32 v100, v66, v54, -v0
	v_fmac_f32_e32 v44, v67, v54
	v_fmac_f32_e32 v101, v63, v54
	v_pk_fma_f32 v[52:53], v[64:65], v[60:61], v[4:5] neg_lo:[0,0,1] neg_hi:[0,0,1]
	v_pk_fma_f32 v[54:55], v[64:65], v[60:61], v[4:5] op_sel_hi:[1,0,1]
	ds_read2_b64 v[4:7], v33 offset0:192 offset1:208
	v_mul_f32_e32 v97, v66, v57
	v_mul_f32_e32 v1, v67, v57
	v_fmac_f32_e32 v97, v67, v56
	v_fma_f32 v67, v68, v58, -v2
	s_waitcnt lgkmcnt(0)
	v_mul_f32_e32 v8, v71, v5
	v_fma_f32 v54, v70, v4, -v8
	v_mul_f32_e32 v8, v71, v7
	v_fma_f32 v68, v68, v60, -v3
	v_fma_f32 v60, v70, v6, -v8
	ds_read2_b64 v[8:11], v33 offset0:224 offset1:240
	v_fma_f32 v66, v66, v56, -v1
	ds_read_b128 v[0:3], v35 offset:1072
	v_mul_f32_e32 v59, v64, v59
	v_fmac_f32_e32 v59, v65, v58
	s_waitcnt lgkmcnt(1)
	v_mul_f32_e32 v13, v73, v9
	v_mul_f32_e32 v58, v70, v5
	;; [unrolled: 1-line block ×3, first 2 shown]
	v_fma_f32 v62, v72, v8, -v13
	v_mul_f32_e32 v13, v73, v11
	v_fmac_f32_e32 v58, v71, v4
	v_fmac_f32_e32 v61, v71, v6
	v_fma_f32 v64, v72, v10, -v13
	s_waitcnt lgkmcnt(0)
	v_mul_f32_e32 v13, v1, v5
	v_mul_f32_e32 v71, v0, v5
	v_fma_f32 v70, v0, v4, -v13
	v_fmac_f32_e32 v71, v1, v4
	v_pk_mul_f32 v[4:5], v[0:1], v[6:7] op_sel:[1,1] op_sel_hi:[0,1]
	v_pk_fma_f32 v[56:57], v[0:1], v[6:7], v[4:5] neg_lo:[0,0,1] neg_hi:[0,0,1]
	v_pk_fma_f32 v[0:1], v[0:1], v[6:7], v[4:5] op_sel_hi:[1,0,1]
	v_mul_f32_e32 v63, v72, v9
	v_mul_f32_e32 v0, v3, v9
	;; [unrolled: 1-line block ×3, first 2 shown]
	v_pk_mul_f32 v[4:5], v[2:3], v[10:11] op_sel:[1,1] op_sel_hi:[0,1]
	v_mul_f32_e32 v65, v72, v11
	v_fma_f32 v72, v2, v8, -v0
	v_fmac_f32_e32 v9, v3, v8
	v_pk_fma_f32 v[6:7], v[2:3], v[10:11], v[4:5] neg_lo:[0,0,1] neg_hi:[0,0,1]
	v_pk_fma_f32 v[2:3], v[2:3], v[10:11], v[4:5] op_sel_hi:[1,0,1]
	v_mov_b32_e32 v79, v17
	v_fmac_f32_e32 v63, v73, v8
	v_fmac_f32_e32 v65, v73, v10
	v_add_f32_e32 v2, v32, v89
	v_add_f32_e32 v4, v34, v80
	;; [unrolled: 1-line block ×6, first 2 shown]
	v_mov_b32_e32 v13, v15
	v_mov_b32_e32 v57, v1
	v_pk_add_f32 v[0:1], v[20:21], v[78:79]
	v_mov_b32_e32 v19, v43
	v_mov_b32_e32 v7, v3
	v_add_f32_e32 v2, v2, v82
	v_add_f32_e32 v3, v4, v83
	v_add_f32_e32 v4, v5, v84
	v_add_f32_e32 v5, v8, v85
	v_add_f32_e32 v8, v10, v74
	v_add_f32_e32 v10, v11, v88
	v_pk_add_f32 v[0:1], v[0:1], v[12:13]
	v_mov_b32_e32 v47, v45
	v_add_f32_e32 v2, v2, v77
	v_add_f32_e32 v3, v3, v91
	v_add_f32_e32 v4, v4, v92
	v_add_f32_e32 v5, v5, v16
	v_add_f32_e32 v8, v8, v96
	v_add_f32_e32 v10, v10, v76
	v_pk_add_f32 v[0:1], v[0:1], v[18:19]
	;; [unrolled: 8-line block ×4, first 2 shown]
	v_add_f32_e32 v2, v2, v67
	v_add_f32_e32 v3, v3, v98
	v_add_f32_e32 v4, v4, v68
	v_add_f32_e32 v5, v5, v99
	v_add_f32_e32 v8, v8, v50
	v_add_f32_e32 v10, v10, v59
	v_pk_add_f32 v[0:1], v[0:1], v[52:53]
	v_add_f32_e32 v2, v2, v54
	v_add_f32_e32 v3, v3, v58
	v_add_f32_e32 v4, v4, v60
	v_add_f32_e32 v5, v5, v61
	v_add_f32_e32 v8, v8, v70
	v_add_f32_e32 v10, v10, v71
	v_pk_add_f32 v[0:1], v[0:1], v[56:57]
	;; [unrolled: 7-line block ×3, first 2 shown]
	s_barrier
	s_cbranch_vccnz .LBB102_2
.LBB102_3:
	s_load_dwordx4 s[20:23], s[0:1], 0x78
	s_load_dwordx8 s[12:19], s[0:1], 0x58
	v_lshl_add_u64 v[0:1], s[24:25], 0, v[26:27]
	v_lshl_add_u64 v[2:3], s[2:3], 0, v[24:25]
	s_waitcnt lgkmcnt(0)
	s_mul_i32 s1, s23, s4
	s_mul_hi_u32 s5, s22, s4
	s_mul_i32 s0, s22, s4
	s_add_i32 s1, s5, s1
	s_lshl_b64 s[0:1], s[0:1], 3
	s_add_u32 s8, s18, s0
	s_addc_u32 s9, s19, s1
	s_or_b32 s0, s6, s7
	s_bitset0_b32 s0, 31
	s_cmp_lg_u32 s0, 0
	s_mov_b32 s0, s11
	s_mov_b32 s1, s10
	s_cbranch_scc1 .LBB102_5
; %bb.4:
	v_mul_lo_u32 v6, v1, s20
	v_mul_lo_u32 v7, v0, s21
	v_mad_u64_u32 v[4:5], s[2:3], v0, s20, 0
	v_add3_u32 v5, v5, v7, v6
	v_pk_mul_f32 v[10:11], v[34:35], s[0:1] op_sel_hi:[0,1]
	v_lshl_add_u64 v[4:5], v[4:5], 3, s[8:9]
	v_lshlrev_b64 v[6:7], 3, v[2:3]
	v_pk_fma_f32 v[12:13], v[32:33], s[0:1], v[10:11] op_sel:[0,1,0] op_sel_hi:[1,0,1] neg_lo:[0,0,1] neg_hi:[0,0,1]
	v_pk_fma_f32 v[10:11], v[32:33], s[0:1], v[10:11] op_sel:[0,1,0] op_sel_hi:[0,0,1]
	v_lshl_add_u64 v[8:9], v[4:5], 0, v[6:7]
	v_mov_b32_e32 v13, v11
	v_pk_mul_f32 v[10:11], v[30:31], s[0:1] op_sel_hi:[0,1]
	global_store_dwordx2 v[8:9], v[12:13], off
	v_pk_fma_f32 v[12:13], v[28:29], s[0:1], v[10:11] op_sel:[0,1,0] op_sel_hi:[1,0,1] neg_lo:[0,0,1] neg_hi:[0,0,1]
	v_pk_fma_f32 v[10:11], v[28:29], s[0:1], v[10:11] op_sel:[0,1,0] op_sel_hi:[0,0,1]
	s_lshl_b64 s[2:3], s[20:21], 7
	v_mov_b32_e32 v13, v11
	v_lshl_add_u64 v[4:5], v[4:5], 0, s[2:3]
	global_store_dwordx2 v[8:9], v[12:13], off offset:128
	v_lshl_add_u64 v[8:9], v[4:5], 0, v[6:7]
	v_mov_b32_e32 v4, v23
	v_pk_mul_f32 v[4:5], v[4:5], s[0:1] op_sel_hi:[0,1]
	v_pk_fma_f32 v[6:7], v[22:23], s[0:1], v[4:5] op_sel:[0,1,0] op_sel_hi:[1,0,1] neg_lo:[0,0,1] neg_hi:[0,0,1]
	v_pk_fma_f32 v[4:5], v[22:23], s[0:1], v[4:5] op_sel:[0,1,0] op_sel_hi:[0,0,1]
	v_mov_b32_e32 v7, v5
	v_mul_f32_e32 v4, s1, v20
	global_store_dwordx2 v[8:9], v[6:7], off
	v_fma_f32 v7, -v21, s0, v4
	v_pk_mul_f32 v[4:5], v[20:21], s[0:1]
	s_mov_b64 s[2:3], 0x80
	v_add_f32_e32 v6, v4, v5
	v_lshl_add_u64 v[4:5], v[8:9], 0, s[2:3]
	global_store_dword v[8:9], v7, off offset:128
	s_cbranch_execz .LBB102_6
	s_branch .LBB102_7
.LBB102_5:
                                        ; implicit-def: $vgpr6
                                        ; implicit-def: $vgpr4_vgpr5
.LBB102_6:
	s_mul_i32 s2, s17, s4
	s_mul_hi_u32 s3, s16, s4
	s_add_i32 s3, s3, s2
	s_mul_i32 s2, s16, s4
	s_lshl_b64 s[2:3], s[2:3], 3
	s_add_u32 s2, s12, s2
	v_mul_lo_u32 v6, v1, s14
	v_mul_lo_u32 v7, v0, s15
	v_mad_u64_u32 v[4:5], s[4:5], v0, s14, 0
	s_addc_u32 s3, s13, s3
	v_add3_u32 v5, v5, v7, v6
	v_lshl_add_u64 v[4:5], v[4:5], 3, s[2:3]
	v_lshlrev_b64 v[2:3], 3, v[2:3]
	v_lshl_add_u64 v[6:7], v[4:5], 0, v[2:3]
	global_load_dwordx2 v[8:9], v[6:7], off
	v_mul_lo_u32 v12, v1, s20
	v_mul_lo_u32 v13, v0, s21
	v_mad_u64_u32 v[0:1], s[2:3], v0, s20, 0
	s_mov_b32 s2, s7
	v_pk_mul_f32 v[10:11], v[34:35], s[0:1] op_sel_hi:[0,1]
	v_add3_u32 v1, v1, v13, v12
	v_pk_fma_f32 v[12:13], v[32:33], s[0:1], v[10:11] op_sel:[0,1,0] op_sel_hi:[1,0,1] neg_lo:[0,0,1] neg_hi:[0,0,1]
	v_pk_fma_f32 v[10:11], v[32:33], s[0:1], v[10:11] op_sel:[0,1,0] op_sel_hi:[0,0,1]
	v_lshl_add_u64 v[0:1], v[0:1], 3, s[8:9]
	v_mov_b32_e32 v13, v11
	v_lshl_add_u64 v[10:11], v[0:1], 0, v[2:3]
	s_lshl_b64 s[4:5], s[14:15], 7
	v_lshl_add_u64 v[4:5], v[4:5], 0, s[4:5]
	v_lshl_add_u64 v[4:5], v[4:5], 0, v[2:3]
	s_lshl_b64 s[4:5], s[20:21], 7
	v_lshl_add_u64 v[0:1], v[0:1], 0, s[4:5]
	v_lshl_add_u64 v[0:1], v[0:1], 0, v[2:3]
	s_mov_b32 s11, s6
	s_waitcnt vmcnt(0)
	v_pk_mul_f32 v[14:15], v[8:9], s[2:3] op_sel_hi:[1,0]
	s_nop 0
	v_pk_fma_f32 v[16:17], v[8:9], s[6:7], v[14:15] op_sel:[0,0,1] op_sel_hi:[1,1,0] neg_lo:[0,0,1] neg_hi:[0,0,1]
	v_pk_fma_f32 v[8:9], v[8:9], s[6:7], v[14:15] op_sel:[0,0,1] op_sel_hi:[1,0,0]
	s_nop 0
	v_mov_b32_e32 v17, v9
	v_pk_add_f32 v[8:9], v[12:13], v[16:17]
	global_store_dwordx2 v[10:11], v[8:9], off
	global_load_dwordx2 v[6:7], v[6:7], off offset:128
	v_pk_mul_f32 v[8:9], v[30:31], s[0:1] op_sel_hi:[0,1]
	v_pk_fma_f32 v[12:13], v[28:29], s[0:1], v[8:9] op_sel:[0,1,0] op_sel_hi:[1,0,1] neg_lo:[0,0,1] neg_hi:[0,0,1]
	v_pk_fma_f32 v[8:9], v[28:29], s[0:1], v[8:9] op_sel:[0,1,0] op_sel_hi:[0,0,1]
	v_mov_b32_e32 v13, v9
	s_waitcnt vmcnt(0)
	v_pk_mul_f32 v[8:9], v[6:7], s[2:3] op_sel_hi:[1,0]
	s_nop 0
	v_pk_fma_f32 v[14:15], v[6:7], s[6:7], v[8:9] op_sel:[0,0,1] op_sel_hi:[1,1,0] neg_lo:[0,0,1] neg_hi:[0,0,1]
	v_pk_fma_f32 v[6:7], v[6:7], s[6:7], v[8:9] op_sel:[0,0,1] op_sel_hi:[1,0,0]
	v_mov_b32_e32 v8, v23
	v_mov_b32_e32 v15, v7
	v_pk_add_f32 v[6:7], v[12:13], v[14:15]
	global_store_dwordx2 v[10:11], v[6:7], off offset:128
	global_load_dwordx2 v[6:7], v[4:5], off
	v_pk_mul_f32 v[8:9], v[8:9], s[0:1] op_sel_hi:[0,1]
	v_pk_fma_f32 v[10:11], v[22:23], s[0:1], v[8:9] op_sel:[0,1,0] op_sel_hi:[1,0,1] neg_lo:[0,0,1] neg_hi:[0,0,1]
	v_pk_fma_f32 v[8:9], v[22:23], s[0:1], v[8:9] op_sel:[0,1,0] op_sel_hi:[0,0,1]
	v_mov_b32_e32 v11, v9
	s_waitcnt vmcnt(0)
	v_pk_mul_f32 v[2:3], v[6:7], s[2:3] op_sel_hi:[1,0]
	s_nop 0
	v_pk_fma_f32 v[8:9], v[6:7], s[6:7], v[2:3] op_sel:[0,0,1] op_sel_hi:[1,1,0] neg_lo:[0,0,1] neg_hi:[0,0,1]
	v_pk_fma_f32 v[2:3], v[6:7], s[6:7], v[2:3] op_sel:[0,0,1] op_sel_hi:[1,0,0]
	v_mov_b32_e32 v6, v20
	v_mov_b32_e32 v9, v3
	v_pk_add_f32 v[2:3], v[10:11], v[8:9]
	global_store_dwordx2 v[0:1], v[2:3], off
	global_load_dwordx2 v[2:3], v[4:5], off offset:128
	v_mul_f32_e32 v4, s1, v20
	s_mov_b32 s1, s7
	s_mov_b64 s[2:3], 0x80
	v_fma_f32 v8, -v21, s0, v4
	v_lshl_add_u64 v[4:5], v[0:1], 0, s[2:3]
	s_waitcnt vmcnt(0)
	v_mul_f32_e32 v9, s7, v3
	v_mov_b32_e32 v7, v2
	v_fma_f32 v9, v2, s6, -v9
	v_mov_b32_e32 v2, v21
	v_pk_mul_f32 v[2:3], v[2:3], s[10:11]
	v_add_f32_e32 v8, v8, v9
	v_pk_fma_f32 v[2:3], v[6:7], s[0:1], v[2:3]
	global_store_dword v[0:1], v8, off offset:128
	v_add_f32_e32 v6, v2, v3
.LBB102_7:
	global_store_dword v[4:5], v6, off offset:4
	s_endpgm
	.section	.rodata,"a",@progbits
	.p2align	6, 0x0
	.amdhsa_kernel _ZN12_GLOBAL__N_127rocblas_gemm_batched_kernelI19rocblas_complex_numIfELi16ELi16ELi32ELi32ELi8ELi32ELi8ELi8ELi32ELc67ELc67EKS2_S3_S2_EEvlllT_PT11_llS6_llS4_PT12_llPT13_lli
		.amdhsa_group_segment_fixed_size 4096
		.amdhsa_private_segment_fixed_size 0
		.amdhsa_kernarg_size 140
		.amdhsa_user_sgpr_count 2
		.amdhsa_user_sgpr_dispatch_ptr 0
		.amdhsa_user_sgpr_queue_ptr 0
		.amdhsa_user_sgpr_kernarg_segment_ptr 1
		.amdhsa_user_sgpr_dispatch_id 0
		.amdhsa_user_sgpr_kernarg_preload_length 0
		.amdhsa_user_sgpr_kernarg_preload_offset 0
		.amdhsa_user_sgpr_private_segment_size 0
		.amdhsa_uses_dynamic_stack 0
		.amdhsa_enable_private_segment 0
		.amdhsa_system_sgpr_workgroup_id_x 1
		.amdhsa_system_sgpr_workgroup_id_y 1
		.amdhsa_system_sgpr_workgroup_id_z 1
		.amdhsa_system_sgpr_workgroup_info 0
		.amdhsa_system_vgpr_workitem_id 1
		.amdhsa_next_free_vgpr 102
		.amdhsa_next_free_sgpr 28
		.amdhsa_accum_offset 104
		.amdhsa_reserve_vcc 1
		.amdhsa_float_round_mode_32 0
		.amdhsa_float_round_mode_16_64 0
		.amdhsa_float_denorm_mode_32 3
		.amdhsa_float_denorm_mode_16_64 3
		.amdhsa_dx10_clamp 1
		.amdhsa_ieee_mode 1
		.amdhsa_fp16_overflow 0
		.amdhsa_tg_split 0
		.amdhsa_exception_fp_ieee_invalid_op 0
		.amdhsa_exception_fp_denorm_src 0
		.amdhsa_exception_fp_ieee_div_zero 0
		.amdhsa_exception_fp_ieee_overflow 0
		.amdhsa_exception_fp_ieee_underflow 0
		.amdhsa_exception_fp_ieee_inexact 0
		.amdhsa_exception_int_div_zero 0
	.end_amdhsa_kernel
	.section	.text._ZN12_GLOBAL__N_127rocblas_gemm_batched_kernelI19rocblas_complex_numIfELi16ELi16ELi32ELi32ELi8ELi32ELi8ELi8ELi32ELc67ELc67EKS2_S3_S2_EEvlllT_PT11_llS6_llS4_PT12_llPT13_lli,"axG",@progbits,_ZN12_GLOBAL__N_127rocblas_gemm_batched_kernelI19rocblas_complex_numIfELi16ELi16ELi32ELi32ELi8ELi32ELi8ELi8ELi32ELc67ELc67EKS2_S3_S2_EEvlllT_PT11_llS6_llS4_PT12_llPT13_lli,comdat
.Lfunc_end102:
	.size	_ZN12_GLOBAL__N_127rocblas_gemm_batched_kernelI19rocblas_complex_numIfELi16ELi16ELi32ELi32ELi8ELi32ELi8ELi8ELi32ELc67ELc67EKS2_S3_S2_EEvlllT_PT11_llS6_llS4_PT12_llPT13_lli, .Lfunc_end102-_ZN12_GLOBAL__N_127rocblas_gemm_batched_kernelI19rocblas_complex_numIfELi16ELi16ELi32ELi32ELi8ELi32ELi8ELi8ELi32ELc67ELc67EKS2_S3_S2_EEvlllT_PT11_llS6_llS4_PT12_llPT13_lli
                                        ; -- End function
	.set _ZN12_GLOBAL__N_127rocblas_gemm_batched_kernelI19rocblas_complex_numIfELi16ELi16ELi32ELi32ELi8ELi32ELi8ELi8ELi32ELc67ELc67EKS2_S3_S2_EEvlllT_PT11_llS6_llS4_PT12_llPT13_lli.num_vgpr, 102
	.set _ZN12_GLOBAL__N_127rocblas_gemm_batched_kernelI19rocblas_complex_numIfELi16ELi16ELi32ELi32ELi8ELi32ELi8ELi8ELi32ELc67ELc67EKS2_S3_S2_EEvlllT_PT11_llS6_llS4_PT12_llPT13_lli.num_agpr, 0
	.set _ZN12_GLOBAL__N_127rocblas_gemm_batched_kernelI19rocblas_complex_numIfELi16ELi16ELi32ELi32ELi8ELi32ELi8ELi8ELi32ELc67ELc67EKS2_S3_S2_EEvlllT_PT11_llS6_llS4_PT12_llPT13_lli.numbered_sgpr, 28
	.set _ZN12_GLOBAL__N_127rocblas_gemm_batched_kernelI19rocblas_complex_numIfELi16ELi16ELi32ELi32ELi8ELi32ELi8ELi8ELi32ELc67ELc67EKS2_S3_S2_EEvlllT_PT11_llS6_llS4_PT12_llPT13_lli.num_named_barrier, 0
	.set _ZN12_GLOBAL__N_127rocblas_gemm_batched_kernelI19rocblas_complex_numIfELi16ELi16ELi32ELi32ELi8ELi32ELi8ELi8ELi32ELc67ELc67EKS2_S3_S2_EEvlllT_PT11_llS6_llS4_PT12_llPT13_lli.private_seg_size, 0
	.set _ZN12_GLOBAL__N_127rocblas_gemm_batched_kernelI19rocblas_complex_numIfELi16ELi16ELi32ELi32ELi8ELi32ELi8ELi8ELi32ELc67ELc67EKS2_S3_S2_EEvlllT_PT11_llS6_llS4_PT12_llPT13_lli.uses_vcc, 1
	.set _ZN12_GLOBAL__N_127rocblas_gemm_batched_kernelI19rocblas_complex_numIfELi16ELi16ELi32ELi32ELi8ELi32ELi8ELi8ELi32ELc67ELc67EKS2_S3_S2_EEvlllT_PT11_llS6_llS4_PT12_llPT13_lli.uses_flat_scratch, 0
	.set _ZN12_GLOBAL__N_127rocblas_gemm_batched_kernelI19rocblas_complex_numIfELi16ELi16ELi32ELi32ELi8ELi32ELi8ELi8ELi32ELc67ELc67EKS2_S3_S2_EEvlllT_PT11_llS6_llS4_PT12_llPT13_lli.has_dyn_sized_stack, 0
	.set _ZN12_GLOBAL__N_127rocblas_gemm_batched_kernelI19rocblas_complex_numIfELi16ELi16ELi32ELi32ELi8ELi32ELi8ELi8ELi32ELc67ELc67EKS2_S3_S2_EEvlllT_PT11_llS6_llS4_PT12_llPT13_lli.has_recursion, 0
	.set _ZN12_GLOBAL__N_127rocblas_gemm_batched_kernelI19rocblas_complex_numIfELi16ELi16ELi32ELi32ELi8ELi32ELi8ELi8ELi32ELc67ELc67EKS2_S3_S2_EEvlllT_PT11_llS6_llS4_PT12_llPT13_lli.has_indirect_call, 0
	.section	.AMDGPU.csdata,"",@progbits
; Kernel info:
; codeLenInByte = 2520
; TotalNumSgprs: 34
; NumVgprs: 102
; NumAgprs: 0
; TotalNumVgprs: 102
; ScratchSize: 0
; MemoryBound: 0
; FloatMode: 240
; IeeeMode: 1
; LDSByteSize: 4096 bytes/workgroup (compile time only)
; SGPRBlocks: 4
; VGPRBlocks: 12
; NumSGPRsForWavesPerEU: 34
; NumVGPRsForWavesPerEU: 102
; AccumOffset: 104
; Occupancy: 4
; WaveLimiterHint : 1
; COMPUTE_PGM_RSRC2:SCRATCH_EN: 0
; COMPUTE_PGM_RSRC2:USER_SGPR: 2
; COMPUTE_PGM_RSRC2:TRAP_HANDLER: 0
; COMPUTE_PGM_RSRC2:TGID_X_EN: 1
; COMPUTE_PGM_RSRC2:TGID_Y_EN: 1
; COMPUTE_PGM_RSRC2:TGID_Z_EN: 1
; COMPUTE_PGM_RSRC2:TIDIG_COMP_CNT: 1
; COMPUTE_PGM_RSRC3_GFX90A:ACCUM_OFFSET: 25
; COMPUTE_PGM_RSRC3_GFX90A:TG_SPLIT: 0
	.section	.text._ZN12_GLOBAL__N_127rocblas_gemm_batched_kernelI19rocblas_complex_numIfELi16ELi16ELi32ELi32ELi8ELi32ELi8ELi8ELi32ELc67ELc78EKS2_S3_S2_EEvlllT_PT11_llS6_llS4_PT12_llPT13_lli,"axG",@progbits,_ZN12_GLOBAL__N_127rocblas_gemm_batched_kernelI19rocblas_complex_numIfELi16ELi16ELi32ELi32ELi8ELi32ELi8ELi8ELi32ELc67ELc78EKS2_S3_S2_EEvlllT_PT11_llS6_llS4_PT12_llPT13_lli,comdat
	.globl	_ZN12_GLOBAL__N_127rocblas_gemm_batched_kernelI19rocblas_complex_numIfELi16ELi16ELi32ELi32ELi8ELi32ELi8ELi8ELi32ELc67ELc78EKS2_S3_S2_EEvlllT_PT11_llS6_llS4_PT12_llPT13_lli ; -- Begin function _ZN12_GLOBAL__N_127rocblas_gemm_batched_kernelI19rocblas_complex_numIfELi16ELi16ELi32ELi32ELi8ELi32ELi8ELi8ELi32ELc67ELc78EKS2_S3_S2_EEvlllT_PT11_llS6_llS4_PT12_llPT13_lli
	.p2align	8
	.type	_ZN12_GLOBAL__N_127rocblas_gemm_batched_kernelI19rocblas_complex_numIfELi16ELi16ELi32ELi32ELi8ELi32ELi8ELi8ELi32ELc67ELc78EKS2_S3_S2_EEvlllT_PT11_llS6_llS4_PT12_llPT13_lli,@function
_ZN12_GLOBAL__N_127rocblas_gemm_batched_kernelI19rocblas_complex_numIfELi16ELi16ELi32ELi32ELi8ELi32ELi8ELi8ELi32ELc67ELc78EKS2_S3_S2_EEvlllT_PT11_llS6_llS4_PT12_llPT13_lli: ; @_ZN12_GLOBAL__N_127rocblas_gemm_batched_kernelI19rocblas_complex_numIfELi16ELi16ELi32ELi32ELi8ELi32ELi8ELi8ELi32ELc67ELc78EKS2_S3_S2_EEvlllT_PT11_llS6_llS4_PT12_llPT13_lli
; %bb.0:
	s_load_dwordx16 s[8:23], s[0:1], 0x10
	s_load_dwordx2 s[6:7], s[0:1], 0x50
	s_mov_b32 s24, s3
	v_mov_b32_e32 v27, 0
	s_ashr_i32 s3, s2, 31
	s_ashr_i32 s25, s24, 31
	s_waitcnt lgkmcnt(0)
	v_cmp_lt_i64_e64 s[26:27], s[8:9], 1
	v_bfe_u32 v26, v0, 10, 10
	v_and_b32_e32 v24, 0x3ff, v0
	v_mov_b32_e32 v25, v27
	s_lshl_b64 s[2:3], s[2:3], 5
	s_lshl_b64 s[24:25], s[24:25], 5
	s_and_b64 vcc, exec, s[26:27]
	v_mov_b32_e32 v21, v27
	v_mov_b32_e32 v20, v27
	;; [unrolled: 1-line block ×8, first 2 shown]
	s_cbranch_vccnz .LBB103_3
; %bb.1:
	v_lshl_add_u32 v4, v26, 4, v24
	v_and_b32_e32 v2, 31, v4
	v_lshrrev_b32_e32 v22, 3, v4
	v_and_b32_e32 v5, 7, v24
	v_lshrrev_b32_e32 v6, 5, v4
	v_lshlrev_b32_e32 v4, 3, v2
	v_mov_b32_e32 v23, 0
	v_lshl_or_b32 v29, v6, 8, v4
	v_lshlrev_b32_e32 v4, 3, v5
	v_mov_b32_e32 v3, v23
	v_lshl_or_b32 v5, v22, 6, v4
	v_add_u32_e32 v31, 0x800, v5
	v_mov_b32_e32 v5, 0x800
	v_lshl_add_u64 v[2:3], s[2:3], 0, v[2:3]
	v_lshl_add_u32 v35, v26, 6, v5
	v_mul_lo_u32 v5, s15, v2
	v_mul_lo_u32 v7, s14, v3
	v_mad_u64_u32 v[2:3], s[14:15], s14, v2, 0
	s_mul_i32 s5, s17, s4
	s_mul_hi_u32 s14, s16, s4
	s_add_i32 s15, s14, s5
	s_mul_i32 s14, s16, s4
	v_add3_u32 v3, v3, v7, v5
	s_lshl_b64 s[14:15], s[14:15], 3
	v_lshl_add_u64 v[0:1], v[22:23], 0, s[24:25]
	v_lshl_add_u64 v[2:3], v[2:3], 3, s[14:15]
	v_lshlrev_b32_e32 v22, 3, v6
	v_lshl_add_u64 v[2:3], v[2:3], 0, v[22:23]
	v_lshl_add_u64 v[2:3], s[12:13], 0, v[2:3]
	;; [unrolled: 1-line block ×3, first 2 shown]
	v_mul_lo_u32 v2, s21, v0
	v_mul_lo_u32 v3, s20, v1
	v_mad_u64_u32 v[0:1], s[12:13], s20, v0, 0
	s_mul_i32 s5, s23, s4
	s_mul_hi_u32 s12, s22, s4
	s_add_i32 s13, s12, s5
	s_mul_i32 s12, s22, s4
	v_add3_u32 v1, v1, v3, v2
	s_lshl_b64 s[12:13], s[12:13], 3
	v_lshl_add_u64 v[0:1], v[0:1], 3, s[12:13]
	v_mov_b32_e32 v5, v23
	v_lshl_add_u64 v[0:1], v[0:1], 0, v[4:5]
	v_lshlrev_b32_e32 v33, 3, v24
	v_lshl_add_u64 v[38:39], s[18:19], 0, v[0:1]
	s_mov_b64 s[12:13], 0
	v_mov_b64_e32 v[40:41], s[8:9]
	v_mov_b32_e32 v22, v23
	v_mov_b32_e32 v30, v23
	;; [unrolled: 1-line block ×7, first 2 shown]
.LBB103_2:                              ; =>This Inner Loop Header: Depth=1
	global_load_dwordx2 v[0:1], v[36:37], off offset:-4
	global_load_dwordx2 v[2:3], v[38:39], off
	s_add_u32 s12, s12, 8
	s_addc_u32 s13, s13, 0
	v_cmp_lt_i64_e32 vcc, s[12:13], v[40:41]
	v_lshl_add_u64 v[36:37], v[36:37], 0, 64
	v_lshl_add_u64 v[38:39], v[38:39], 0, 64
	s_and_b64 vcc, exec, vcc
	s_waitcnt vmcnt(1)
	v_xor_b32_e32 v1, 0x80000000, v1
	s_waitcnt vmcnt(0)
	ds_write_b64 v31, v[2:3]
	ds_write_b64 v29, v[0:1]
	s_waitcnt lgkmcnt(0)
	s_barrier
	ds_read2_b64 v[4:7], v33 offset1:16
	ds_read_b128 v[8:11], v35
	ds_read_b128 v[0:3], v35 offset:16
	ds_read2_b64 v[12:15], v33 offset0:32 offset1:48
	ds_read_b128 v[16:19], v35 offset:1024
	ds_read_b128 v[42:45], v35 offset:1040
	ds_read2_b64 v[46:49], v33 offset0:64 offset1:80
	ds_read2_b64 v[50:53], v33 offset0:96 offset1:112
	;; [unrolled: 1-line block ×4, first 2 shown]
	ds_read_b128 v[62:65], v35 offset:1056
	ds_read_b128 v[66:69], v35 offset:32
	ds_read_b128 v[70:73], v35 offset:48
	s_waitcnt lgkmcnt(11)
	v_mul_f32_e32 v78, v9, v5
	v_mul_f32_e32 v80, v8, v5
	;; [unrolled: 1-line block ×4, first 2 shown]
	s_waitcnt lgkmcnt(9)
	v_mul_f32_e32 v82, v11, v13
	v_mul_f32_e32 v83, v10, v13
	;; [unrolled: 1-line block ×4, first 2 shown]
	s_waitcnt lgkmcnt(8)
	v_mul_f32_e32 v86, v17, v5
	v_mul_f32_e32 v87, v16, v5
	v_pk_mul_f32 v[74:75], v[16:17], v[6:7] op_sel:[1,1] op_sel_hi:[0,1]
	v_mul_f32_e32 v5, v19, v13
	v_mul_f32_e32 v88, v18, v13
	v_pk_mul_f32 v[76:77], v[18:19], v[14:15] op_sel:[1,1] op_sel_hi:[0,1]
	v_fma_f32 v89, v8, v4, -v78
	v_fmac_f32_e32 v80, v9, v4
	v_fma_f32 v90, v8, v6, -v79
	v_fmac_f32_e32 v81, v9, v6
	v_fma_f32 v82, v10, v12, -v82
	v_fmac_f32_e32 v83, v11, v12
	v_fma_f32 v84, v10, v14, -v84
	v_fmac_f32_e32 v85, v11, v14
	v_fma_f32 v86, v16, v4, -v86
	v_fmac_f32_e32 v87, v17, v4
	v_pk_fma_f32 v[78:79], v[16:17], v[6:7], v[74:75] neg_lo:[0,0,1] neg_hi:[0,0,1]
	v_pk_fma_f32 v[16:17], v[16:17], v[6:7], v[74:75] op_sel_hi:[1,0,1]
	v_fma_f32 v74, v18, v12, -v5
	v_fmac_f32_e32 v88, v19, v12
	v_pk_fma_f32 v[12:13], v[18:19], v[14:15], v[76:77] neg_lo:[0,0,1] neg_hi:[0,0,1]
	v_pk_fma_f32 v[14:15], v[18:19], v[14:15], v[76:77] op_sel_hi:[1,0,1]
	s_waitcnt lgkmcnt(5)
	v_mul_f32_e32 v7, v3, v51
	v_mul_f32_e32 v9, v3, v53
	v_mul_f32_e32 v10, v43, v47
	v_mul_f32_e32 v76, v42, v47
	v_pk_mul_f32 v[4:5], v[42:43], v[48:49] op_sel:[1,1] op_sel_hi:[0,1]
	v_mul_f32_e32 v8, v1, v47
	v_mul_f32_e32 v91, v0, v47
	;; [unrolled: 1-line block ×6, first 2 shown]
	v_fma_f32 v93, v2, v50, -v7
	v_fma_f32 v94, v2, v52, -v9
	v_mul_f32_e32 v2, v45, v51
	v_fma_f32 v96, v42, v46, -v10
	v_fmac_f32_e32 v76, v43, v46
	v_pk_fma_f32 v[18:19], v[42:43], v[48:49], v[4:5] neg_lo:[0,0,1] neg_hi:[0,0,1]
	v_pk_fma_f32 v[42:43], v[42:43], v[48:49], v[4:5] op_sel_hi:[1,0,1]
	s_waitcnt lgkmcnt(1)
	v_mul_f32_e32 v98, v68, v59
	v_mul_f32_e32 v99, v68, v61
	;; [unrolled: 1-line block ×3, first 2 shown]
	v_fma_f32 v77, v0, v46, -v8
	v_fmac_f32_e32 v91, v1, v46
	v_fma_f32 v92, v0, v48, -v6
	v_fmac_f32_e32 v16, v1, v48
	v_fmac_f32_e32 v14, v3, v50
	;; [unrolled: 1-line block ×3, first 2 shown]
	v_mul_f32_e32 v95, v44, v51
	v_pk_mul_f32 v[0:1], v[44:45], v[52:53] op_sel:[1,1] op_sel_hi:[0,1]
	v_fma_f32 v42, v44, v50, -v2
	v_mul_f32_e32 v2, v69, v59
	v_mul_f32_e32 v3, v69, v61
	v_fmac_f32_e32 v98, v69, v58
	v_fmac_f32_e32 v99, v69, v60
	v_fma_f32 v69, v62, v54, -v4
	v_pk_mul_f32 v[4:5], v[62:63], v[56:57] op_sel:[1,1] op_sel_hi:[0,1]
	v_fmac_f32_e32 v95, v45, v50
	v_pk_fma_f32 v[46:47], v[44:45], v[52:53], v[0:1] neg_lo:[0,0,1] neg_hi:[0,0,1]
	v_pk_fma_f32 v[44:45], v[44:45], v[52:53], v[0:1] op_sel_hi:[1,0,1]
	v_pk_fma_f32 v[48:49], v[62:63], v[56:57], v[4:5] neg_lo:[0,0,1] neg_hi:[0,0,1]
	v_pk_fma_f32 v[50:51], v[62:63], v[56:57], v[4:5] op_sel_hi:[1,0,1]
	v_mul_f32_e32 v4, v65, v59
	v_mul_f32_e32 v0, v67, v55
	;; [unrolled: 1-line block ×4, first 2 shown]
	v_fma_f32 v50, v64, v58, -v4
	v_pk_mul_f32 v[4:5], v[64:65], v[60:61] op_sel:[1,1] op_sel_hi:[0,1]
	v_fma_f32 v100, v66, v54, -v0
	v_fmac_f32_e32 v44, v67, v54
	v_fmac_f32_e32 v101, v63, v54
	v_pk_fma_f32 v[52:53], v[64:65], v[60:61], v[4:5] neg_lo:[0,0,1] neg_hi:[0,0,1]
	v_pk_fma_f32 v[54:55], v[64:65], v[60:61], v[4:5] op_sel_hi:[1,0,1]
	ds_read2_b64 v[4:7], v33 offset0:192 offset1:208
	v_mul_f32_e32 v97, v66, v57
	v_mul_f32_e32 v1, v67, v57
	v_fmac_f32_e32 v97, v67, v56
	v_fma_f32 v67, v68, v58, -v2
	s_waitcnt lgkmcnt(0)
	v_mul_f32_e32 v8, v71, v5
	v_fma_f32 v54, v70, v4, -v8
	v_mul_f32_e32 v8, v71, v7
	v_fma_f32 v68, v68, v60, -v3
	v_fma_f32 v60, v70, v6, -v8
	ds_read2_b64 v[8:11], v33 offset0:224 offset1:240
	v_fma_f32 v66, v66, v56, -v1
	ds_read_b128 v[0:3], v35 offset:1072
	v_mul_f32_e32 v59, v64, v59
	v_fmac_f32_e32 v59, v65, v58
	s_waitcnt lgkmcnt(1)
	v_mul_f32_e32 v13, v73, v9
	v_mul_f32_e32 v58, v70, v5
	v_mul_f32_e32 v61, v70, v7
	v_fma_f32 v62, v72, v8, -v13
	v_mul_f32_e32 v13, v73, v11
	v_fmac_f32_e32 v58, v71, v4
	v_fmac_f32_e32 v61, v71, v6
	v_fma_f32 v64, v72, v10, -v13
	s_waitcnt lgkmcnt(0)
	v_mul_f32_e32 v13, v1, v5
	v_mul_f32_e32 v71, v0, v5
	v_fma_f32 v70, v0, v4, -v13
	v_fmac_f32_e32 v71, v1, v4
	v_pk_mul_f32 v[4:5], v[0:1], v[6:7] op_sel:[1,1] op_sel_hi:[0,1]
	v_pk_fma_f32 v[56:57], v[0:1], v[6:7], v[4:5] neg_lo:[0,0,1] neg_hi:[0,0,1]
	v_pk_fma_f32 v[0:1], v[0:1], v[6:7], v[4:5] op_sel_hi:[1,0,1]
	v_mul_f32_e32 v63, v72, v9
	v_mul_f32_e32 v0, v3, v9
	;; [unrolled: 1-line block ×3, first 2 shown]
	v_pk_mul_f32 v[4:5], v[2:3], v[10:11] op_sel:[1,1] op_sel_hi:[0,1]
	v_mul_f32_e32 v65, v72, v11
	v_fma_f32 v72, v2, v8, -v0
	v_fmac_f32_e32 v9, v3, v8
	v_pk_fma_f32 v[6:7], v[2:3], v[10:11], v[4:5] neg_lo:[0,0,1] neg_hi:[0,0,1]
	v_pk_fma_f32 v[2:3], v[2:3], v[10:11], v[4:5] op_sel_hi:[1,0,1]
	v_mov_b32_e32 v79, v17
	v_fmac_f32_e32 v63, v73, v8
	v_fmac_f32_e32 v65, v73, v10
	v_add_f32_e32 v2, v32, v89
	v_add_f32_e32 v4, v34, v80
	v_add_f32_e32 v5, v28, v90
	v_add_f32_e32 v8, v30, v81
	v_add_f32_e32 v10, v22, v86
	v_add_f32_e32 v11, v23, v87
	v_mov_b32_e32 v13, v15
	v_mov_b32_e32 v57, v1
	v_pk_add_f32 v[0:1], v[20:21], v[78:79]
	v_mov_b32_e32 v19, v43
	v_mov_b32_e32 v7, v3
	v_add_f32_e32 v2, v2, v82
	v_add_f32_e32 v3, v4, v83
	v_add_f32_e32 v4, v5, v84
	v_add_f32_e32 v5, v8, v85
	v_add_f32_e32 v8, v10, v74
	v_add_f32_e32 v10, v11, v88
	v_pk_add_f32 v[0:1], v[0:1], v[12:13]
	v_mov_b32_e32 v47, v45
	v_add_f32_e32 v2, v2, v77
	v_add_f32_e32 v3, v3, v91
	v_add_f32_e32 v4, v4, v92
	v_add_f32_e32 v5, v5, v16
	v_add_f32_e32 v8, v8, v96
	v_add_f32_e32 v10, v10, v76
	v_pk_add_f32 v[0:1], v[0:1], v[18:19]
	;; [unrolled: 8-line block ×4, first 2 shown]
	v_add_f32_e32 v2, v2, v67
	v_add_f32_e32 v3, v3, v98
	v_add_f32_e32 v4, v4, v68
	v_add_f32_e32 v5, v5, v99
	v_add_f32_e32 v8, v8, v50
	v_add_f32_e32 v10, v10, v59
	v_pk_add_f32 v[0:1], v[0:1], v[52:53]
	v_add_f32_e32 v2, v2, v54
	v_add_f32_e32 v3, v3, v58
	v_add_f32_e32 v4, v4, v60
	v_add_f32_e32 v5, v5, v61
	v_add_f32_e32 v8, v8, v70
	v_add_f32_e32 v10, v10, v71
	v_pk_add_f32 v[0:1], v[0:1], v[56:57]
	;; [unrolled: 7-line block ×3, first 2 shown]
	s_barrier
	s_cbranch_vccnz .LBB103_2
.LBB103_3:
	s_load_dwordx4 s[20:23], s[0:1], 0x78
	s_load_dwordx8 s[12:19], s[0:1], 0x58
	v_lshl_add_u64 v[0:1], s[24:25], 0, v[26:27]
	v_lshl_add_u64 v[2:3], s[2:3], 0, v[24:25]
	s_waitcnt lgkmcnt(0)
	s_mul_i32 s1, s23, s4
	s_mul_hi_u32 s5, s22, s4
	s_mul_i32 s0, s22, s4
	s_add_i32 s1, s5, s1
	s_lshl_b64 s[0:1], s[0:1], 3
	s_add_u32 s8, s18, s0
	s_addc_u32 s9, s19, s1
	s_or_b32 s0, s6, s7
	s_bitset0_b32 s0, 31
	s_cmp_lg_u32 s0, 0
	s_mov_b32 s0, s11
	s_mov_b32 s1, s10
	s_cbranch_scc1 .LBB103_5
; %bb.4:
	v_mul_lo_u32 v6, v1, s20
	v_mul_lo_u32 v7, v0, s21
	v_mad_u64_u32 v[4:5], s[2:3], v0, s20, 0
	v_add3_u32 v5, v5, v7, v6
	v_pk_mul_f32 v[10:11], v[34:35], s[0:1] op_sel_hi:[0,1]
	v_lshl_add_u64 v[4:5], v[4:5], 3, s[8:9]
	v_lshlrev_b64 v[6:7], 3, v[2:3]
	v_pk_fma_f32 v[12:13], v[32:33], s[0:1], v[10:11] op_sel:[0,1,0] op_sel_hi:[1,0,1] neg_lo:[0,0,1] neg_hi:[0,0,1]
	v_pk_fma_f32 v[10:11], v[32:33], s[0:1], v[10:11] op_sel:[0,1,0] op_sel_hi:[0,0,1]
	v_lshl_add_u64 v[8:9], v[4:5], 0, v[6:7]
	v_mov_b32_e32 v13, v11
	v_pk_mul_f32 v[10:11], v[30:31], s[0:1] op_sel_hi:[0,1]
	global_store_dwordx2 v[8:9], v[12:13], off
	v_pk_fma_f32 v[12:13], v[28:29], s[0:1], v[10:11] op_sel:[0,1,0] op_sel_hi:[1,0,1] neg_lo:[0,0,1] neg_hi:[0,0,1]
	v_pk_fma_f32 v[10:11], v[28:29], s[0:1], v[10:11] op_sel:[0,1,0] op_sel_hi:[0,0,1]
	s_lshl_b64 s[2:3], s[20:21], 7
	v_mov_b32_e32 v13, v11
	v_lshl_add_u64 v[4:5], v[4:5], 0, s[2:3]
	global_store_dwordx2 v[8:9], v[12:13], off offset:128
	v_lshl_add_u64 v[8:9], v[4:5], 0, v[6:7]
	v_mov_b32_e32 v4, v23
	v_pk_mul_f32 v[4:5], v[4:5], s[0:1] op_sel_hi:[0,1]
	v_pk_fma_f32 v[6:7], v[22:23], s[0:1], v[4:5] op_sel:[0,1,0] op_sel_hi:[1,0,1] neg_lo:[0,0,1] neg_hi:[0,0,1]
	v_pk_fma_f32 v[4:5], v[22:23], s[0:1], v[4:5] op_sel:[0,1,0] op_sel_hi:[0,0,1]
	v_mov_b32_e32 v7, v5
	v_mul_f32_e32 v4, s1, v20
	global_store_dwordx2 v[8:9], v[6:7], off
	v_fma_f32 v7, -v21, s0, v4
	v_pk_mul_f32 v[4:5], v[20:21], s[0:1]
	s_mov_b64 s[2:3], 0x80
	v_add_f32_e32 v6, v4, v5
	v_lshl_add_u64 v[4:5], v[8:9], 0, s[2:3]
	global_store_dword v[8:9], v7, off offset:128
	s_cbranch_execz .LBB103_6
	s_branch .LBB103_7
.LBB103_5:
                                        ; implicit-def: $vgpr6
                                        ; implicit-def: $vgpr4_vgpr5
.LBB103_6:
	s_mul_i32 s2, s17, s4
	s_mul_hi_u32 s3, s16, s4
	s_add_i32 s3, s3, s2
	s_mul_i32 s2, s16, s4
	s_lshl_b64 s[2:3], s[2:3], 3
	s_add_u32 s2, s12, s2
	v_mul_lo_u32 v6, v1, s14
	v_mul_lo_u32 v7, v0, s15
	v_mad_u64_u32 v[4:5], s[4:5], v0, s14, 0
	s_addc_u32 s3, s13, s3
	v_add3_u32 v5, v5, v7, v6
	v_lshl_add_u64 v[4:5], v[4:5], 3, s[2:3]
	v_lshlrev_b64 v[2:3], 3, v[2:3]
	v_lshl_add_u64 v[6:7], v[4:5], 0, v[2:3]
	global_load_dwordx2 v[8:9], v[6:7], off
	v_mul_lo_u32 v12, v1, s20
	v_mul_lo_u32 v13, v0, s21
	v_mad_u64_u32 v[0:1], s[2:3], v0, s20, 0
	s_mov_b32 s2, s7
	v_pk_mul_f32 v[10:11], v[34:35], s[0:1] op_sel_hi:[0,1]
	v_add3_u32 v1, v1, v13, v12
	v_pk_fma_f32 v[12:13], v[32:33], s[0:1], v[10:11] op_sel:[0,1,0] op_sel_hi:[1,0,1] neg_lo:[0,0,1] neg_hi:[0,0,1]
	v_pk_fma_f32 v[10:11], v[32:33], s[0:1], v[10:11] op_sel:[0,1,0] op_sel_hi:[0,0,1]
	v_lshl_add_u64 v[0:1], v[0:1], 3, s[8:9]
	v_mov_b32_e32 v13, v11
	v_lshl_add_u64 v[10:11], v[0:1], 0, v[2:3]
	s_lshl_b64 s[4:5], s[14:15], 7
	v_lshl_add_u64 v[4:5], v[4:5], 0, s[4:5]
	v_lshl_add_u64 v[4:5], v[4:5], 0, v[2:3]
	s_lshl_b64 s[4:5], s[20:21], 7
	v_lshl_add_u64 v[0:1], v[0:1], 0, s[4:5]
	v_lshl_add_u64 v[0:1], v[0:1], 0, v[2:3]
	s_mov_b32 s11, s6
	s_waitcnt vmcnt(0)
	v_pk_mul_f32 v[14:15], v[8:9], s[2:3] op_sel_hi:[1,0]
	s_nop 0
	v_pk_fma_f32 v[16:17], v[8:9], s[6:7], v[14:15] op_sel:[0,0,1] op_sel_hi:[1,1,0] neg_lo:[0,0,1] neg_hi:[0,0,1]
	v_pk_fma_f32 v[8:9], v[8:9], s[6:7], v[14:15] op_sel:[0,0,1] op_sel_hi:[1,0,0]
	s_nop 0
	v_mov_b32_e32 v17, v9
	v_pk_add_f32 v[8:9], v[12:13], v[16:17]
	global_store_dwordx2 v[10:11], v[8:9], off
	global_load_dwordx2 v[6:7], v[6:7], off offset:128
	v_pk_mul_f32 v[8:9], v[30:31], s[0:1] op_sel_hi:[0,1]
	v_pk_fma_f32 v[12:13], v[28:29], s[0:1], v[8:9] op_sel:[0,1,0] op_sel_hi:[1,0,1] neg_lo:[0,0,1] neg_hi:[0,0,1]
	v_pk_fma_f32 v[8:9], v[28:29], s[0:1], v[8:9] op_sel:[0,1,0] op_sel_hi:[0,0,1]
	v_mov_b32_e32 v13, v9
	s_waitcnt vmcnt(0)
	v_pk_mul_f32 v[8:9], v[6:7], s[2:3] op_sel_hi:[1,0]
	s_nop 0
	v_pk_fma_f32 v[14:15], v[6:7], s[6:7], v[8:9] op_sel:[0,0,1] op_sel_hi:[1,1,0] neg_lo:[0,0,1] neg_hi:[0,0,1]
	v_pk_fma_f32 v[6:7], v[6:7], s[6:7], v[8:9] op_sel:[0,0,1] op_sel_hi:[1,0,0]
	v_mov_b32_e32 v8, v23
	v_mov_b32_e32 v15, v7
	v_pk_add_f32 v[6:7], v[12:13], v[14:15]
	global_store_dwordx2 v[10:11], v[6:7], off offset:128
	global_load_dwordx2 v[6:7], v[4:5], off
	v_pk_mul_f32 v[8:9], v[8:9], s[0:1] op_sel_hi:[0,1]
	v_pk_fma_f32 v[10:11], v[22:23], s[0:1], v[8:9] op_sel:[0,1,0] op_sel_hi:[1,0,1] neg_lo:[0,0,1] neg_hi:[0,0,1]
	v_pk_fma_f32 v[8:9], v[22:23], s[0:1], v[8:9] op_sel:[0,1,0] op_sel_hi:[0,0,1]
	v_mov_b32_e32 v11, v9
	s_waitcnt vmcnt(0)
	v_pk_mul_f32 v[2:3], v[6:7], s[2:3] op_sel_hi:[1,0]
	s_nop 0
	v_pk_fma_f32 v[8:9], v[6:7], s[6:7], v[2:3] op_sel:[0,0,1] op_sel_hi:[1,1,0] neg_lo:[0,0,1] neg_hi:[0,0,1]
	v_pk_fma_f32 v[2:3], v[6:7], s[6:7], v[2:3] op_sel:[0,0,1] op_sel_hi:[1,0,0]
	v_mov_b32_e32 v6, v20
	v_mov_b32_e32 v9, v3
	v_pk_add_f32 v[2:3], v[10:11], v[8:9]
	global_store_dwordx2 v[0:1], v[2:3], off
	global_load_dwordx2 v[2:3], v[4:5], off offset:128
	v_mul_f32_e32 v4, s1, v20
	s_mov_b32 s1, s7
	s_mov_b64 s[2:3], 0x80
	v_fma_f32 v8, -v21, s0, v4
	v_lshl_add_u64 v[4:5], v[0:1], 0, s[2:3]
	s_waitcnt vmcnt(0)
	v_mul_f32_e32 v9, s7, v3
	v_mov_b32_e32 v7, v2
	v_fma_f32 v9, v2, s6, -v9
	v_mov_b32_e32 v2, v21
	v_pk_mul_f32 v[2:3], v[2:3], s[10:11]
	v_add_f32_e32 v8, v8, v9
	v_pk_fma_f32 v[2:3], v[6:7], s[0:1], v[2:3]
	global_store_dword v[0:1], v8, off offset:128
	v_add_f32_e32 v6, v2, v3
.LBB103_7:
	global_store_dword v[4:5], v6, off offset:4
	s_endpgm
	.section	.rodata,"a",@progbits
	.p2align	6, 0x0
	.amdhsa_kernel _ZN12_GLOBAL__N_127rocblas_gemm_batched_kernelI19rocblas_complex_numIfELi16ELi16ELi32ELi32ELi8ELi32ELi8ELi8ELi32ELc67ELc78EKS2_S3_S2_EEvlllT_PT11_llS6_llS4_PT12_llPT13_lli
		.amdhsa_group_segment_fixed_size 4096
		.amdhsa_private_segment_fixed_size 0
		.amdhsa_kernarg_size 140
		.amdhsa_user_sgpr_count 2
		.amdhsa_user_sgpr_dispatch_ptr 0
		.amdhsa_user_sgpr_queue_ptr 0
		.amdhsa_user_sgpr_kernarg_segment_ptr 1
		.amdhsa_user_sgpr_dispatch_id 0
		.amdhsa_user_sgpr_kernarg_preload_length 0
		.amdhsa_user_sgpr_kernarg_preload_offset 0
		.amdhsa_user_sgpr_private_segment_size 0
		.amdhsa_uses_dynamic_stack 0
		.amdhsa_enable_private_segment 0
		.amdhsa_system_sgpr_workgroup_id_x 1
		.amdhsa_system_sgpr_workgroup_id_y 1
		.amdhsa_system_sgpr_workgroup_id_z 1
		.amdhsa_system_sgpr_workgroup_info 0
		.amdhsa_system_vgpr_workitem_id 1
		.amdhsa_next_free_vgpr 102
		.amdhsa_next_free_sgpr 28
		.amdhsa_accum_offset 104
		.amdhsa_reserve_vcc 1
		.amdhsa_float_round_mode_32 0
		.amdhsa_float_round_mode_16_64 0
		.amdhsa_float_denorm_mode_32 3
		.amdhsa_float_denorm_mode_16_64 3
		.amdhsa_dx10_clamp 1
		.amdhsa_ieee_mode 1
		.amdhsa_fp16_overflow 0
		.amdhsa_tg_split 0
		.amdhsa_exception_fp_ieee_invalid_op 0
		.amdhsa_exception_fp_denorm_src 0
		.amdhsa_exception_fp_ieee_div_zero 0
		.amdhsa_exception_fp_ieee_overflow 0
		.amdhsa_exception_fp_ieee_underflow 0
		.amdhsa_exception_fp_ieee_inexact 0
		.amdhsa_exception_int_div_zero 0
	.end_amdhsa_kernel
	.section	.text._ZN12_GLOBAL__N_127rocblas_gemm_batched_kernelI19rocblas_complex_numIfELi16ELi16ELi32ELi32ELi8ELi32ELi8ELi8ELi32ELc67ELc78EKS2_S3_S2_EEvlllT_PT11_llS6_llS4_PT12_llPT13_lli,"axG",@progbits,_ZN12_GLOBAL__N_127rocblas_gemm_batched_kernelI19rocblas_complex_numIfELi16ELi16ELi32ELi32ELi8ELi32ELi8ELi8ELi32ELc67ELc78EKS2_S3_S2_EEvlllT_PT11_llS6_llS4_PT12_llPT13_lli,comdat
.Lfunc_end103:
	.size	_ZN12_GLOBAL__N_127rocblas_gemm_batched_kernelI19rocblas_complex_numIfELi16ELi16ELi32ELi32ELi8ELi32ELi8ELi8ELi32ELc67ELc78EKS2_S3_S2_EEvlllT_PT11_llS6_llS4_PT12_llPT13_lli, .Lfunc_end103-_ZN12_GLOBAL__N_127rocblas_gemm_batched_kernelI19rocblas_complex_numIfELi16ELi16ELi32ELi32ELi8ELi32ELi8ELi8ELi32ELc67ELc78EKS2_S3_S2_EEvlllT_PT11_llS6_llS4_PT12_llPT13_lli
                                        ; -- End function
	.set _ZN12_GLOBAL__N_127rocblas_gemm_batched_kernelI19rocblas_complex_numIfELi16ELi16ELi32ELi32ELi8ELi32ELi8ELi8ELi32ELc67ELc78EKS2_S3_S2_EEvlllT_PT11_llS6_llS4_PT12_llPT13_lli.num_vgpr, 102
	.set _ZN12_GLOBAL__N_127rocblas_gemm_batched_kernelI19rocblas_complex_numIfELi16ELi16ELi32ELi32ELi8ELi32ELi8ELi8ELi32ELc67ELc78EKS2_S3_S2_EEvlllT_PT11_llS6_llS4_PT12_llPT13_lli.num_agpr, 0
	.set _ZN12_GLOBAL__N_127rocblas_gemm_batched_kernelI19rocblas_complex_numIfELi16ELi16ELi32ELi32ELi8ELi32ELi8ELi8ELi32ELc67ELc78EKS2_S3_S2_EEvlllT_PT11_llS6_llS4_PT12_llPT13_lli.numbered_sgpr, 28
	.set _ZN12_GLOBAL__N_127rocblas_gemm_batched_kernelI19rocblas_complex_numIfELi16ELi16ELi32ELi32ELi8ELi32ELi8ELi8ELi32ELc67ELc78EKS2_S3_S2_EEvlllT_PT11_llS6_llS4_PT12_llPT13_lli.num_named_barrier, 0
	.set _ZN12_GLOBAL__N_127rocblas_gemm_batched_kernelI19rocblas_complex_numIfELi16ELi16ELi32ELi32ELi8ELi32ELi8ELi8ELi32ELc67ELc78EKS2_S3_S2_EEvlllT_PT11_llS6_llS4_PT12_llPT13_lli.private_seg_size, 0
	.set _ZN12_GLOBAL__N_127rocblas_gemm_batched_kernelI19rocblas_complex_numIfELi16ELi16ELi32ELi32ELi8ELi32ELi8ELi8ELi32ELc67ELc78EKS2_S3_S2_EEvlllT_PT11_llS6_llS4_PT12_llPT13_lli.uses_vcc, 1
	.set _ZN12_GLOBAL__N_127rocblas_gemm_batched_kernelI19rocblas_complex_numIfELi16ELi16ELi32ELi32ELi8ELi32ELi8ELi8ELi32ELc67ELc78EKS2_S3_S2_EEvlllT_PT11_llS6_llS4_PT12_llPT13_lli.uses_flat_scratch, 0
	.set _ZN12_GLOBAL__N_127rocblas_gemm_batched_kernelI19rocblas_complex_numIfELi16ELi16ELi32ELi32ELi8ELi32ELi8ELi8ELi32ELc67ELc78EKS2_S3_S2_EEvlllT_PT11_llS6_llS4_PT12_llPT13_lli.has_dyn_sized_stack, 0
	.set _ZN12_GLOBAL__N_127rocblas_gemm_batched_kernelI19rocblas_complex_numIfELi16ELi16ELi32ELi32ELi8ELi32ELi8ELi8ELi32ELc67ELc78EKS2_S3_S2_EEvlllT_PT11_llS6_llS4_PT12_llPT13_lli.has_recursion, 0
	.set _ZN12_GLOBAL__N_127rocblas_gemm_batched_kernelI19rocblas_complex_numIfELi16ELi16ELi32ELi32ELi8ELi32ELi8ELi8ELi32ELc67ELc78EKS2_S3_S2_EEvlllT_PT11_llS6_llS4_PT12_llPT13_lli.has_indirect_call, 0
	.section	.AMDGPU.csdata,"",@progbits
; Kernel info:
; codeLenInByte = 2528
; TotalNumSgprs: 34
; NumVgprs: 102
; NumAgprs: 0
; TotalNumVgprs: 102
; ScratchSize: 0
; MemoryBound: 0
; FloatMode: 240
; IeeeMode: 1
; LDSByteSize: 4096 bytes/workgroup (compile time only)
; SGPRBlocks: 4
; VGPRBlocks: 12
; NumSGPRsForWavesPerEU: 34
; NumVGPRsForWavesPerEU: 102
; AccumOffset: 104
; Occupancy: 4
; WaveLimiterHint : 1
; COMPUTE_PGM_RSRC2:SCRATCH_EN: 0
; COMPUTE_PGM_RSRC2:USER_SGPR: 2
; COMPUTE_PGM_RSRC2:TRAP_HANDLER: 0
; COMPUTE_PGM_RSRC2:TGID_X_EN: 1
; COMPUTE_PGM_RSRC2:TGID_Y_EN: 1
; COMPUTE_PGM_RSRC2:TGID_Z_EN: 1
; COMPUTE_PGM_RSRC2:TIDIG_COMP_CNT: 1
; COMPUTE_PGM_RSRC3_GFX90A:ACCUM_OFFSET: 25
; COMPUTE_PGM_RSRC3_GFX90A:TG_SPLIT: 0
	.section	.text._ZN12_GLOBAL__N_127rocblas_gemm_batched_kernelI19rocblas_complex_numIfELi16ELi16ELi32ELi32ELi8ELi32ELi8ELi8ELi32ELc67ELc84EKS2_S3_S2_EEvlllT_PT11_llS6_llS4_PT12_llPT13_lli,"axG",@progbits,_ZN12_GLOBAL__N_127rocblas_gemm_batched_kernelI19rocblas_complex_numIfELi16ELi16ELi32ELi32ELi8ELi32ELi8ELi8ELi32ELc67ELc84EKS2_S3_S2_EEvlllT_PT11_llS6_llS4_PT12_llPT13_lli,comdat
	.globl	_ZN12_GLOBAL__N_127rocblas_gemm_batched_kernelI19rocblas_complex_numIfELi16ELi16ELi32ELi32ELi8ELi32ELi8ELi8ELi32ELc67ELc84EKS2_S3_S2_EEvlllT_PT11_llS6_llS4_PT12_llPT13_lli ; -- Begin function _ZN12_GLOBAL__N_127rocblas_gemm_batched_kernelI19rocblas_complex_numIfELi16ELi16ELi32ELi32ELi8ELi32ELi8ELi8ELi32ELc67ELc84EKS2_S3_S2_EEvlllT_PT11_llS6_llS4_PT12_llPT13_lli
	.p2align	8
	.type	_ZN12_GLOBAL__N_127rocblas_gemm_batched_kernelI19rocblas_complex_numIfELi16ELi16ELi32ELi32ELi8ELi32ELi8ELi8ELi32ELc67ELc84EKS2_S3_S2_EEvlllT_PT11_llS6_llS4_PT12_llPT13_lli,@function
_ZN12_GLOBAL__N_127rocblas_gemm_batched_kernelI19rocblas_complex_numIfELi16ELi16ELi32ELi32ELi8ELi32ELi8ELi8ELi32ELc67ELc84EKS2_S3_S2_EEvlllT_PT11_llS6_llS4_PT12_llPT13_lli: ; @_ZN12_GLOBAL__N_127rocblas_gemm_batched_kernelI19rocblas_complex_numIfELi16ELi16ELi32ELi32ELi8ELi32ELi8ELi8ELi32ELc67ELc84EKS2_S3_S2_EEvlllT_PT11_llS6_llS4_PT12_llPT13_lli
; %bb.0:
	s_load_dwordx16 s[8:23], s[0:1], 0x10
	s_load_dwordx2 s[6:7], s[0:1], 0x50
	s_mov_b32 s24, s3
	v_mov_b32_e32 v27, 0
	s_ashr_i32 s3, s2, 31
	s_ashr_i32 s25, s24, 31
	s_waitcnt lgkmcnt(0)
	v_cmp_lt_i64_e64 s[26:27], s[8:9], 1
	v_bfe_u32 v26, v0, 10, 10
	v_and_b32_e32 v24, 0x3ff, v0
	v_mov_b32_e32 v25, v27
	s_lshl_b64 s[2:3], s[2:3], 5
	s_lshl_b64 s[24:25], s[24:25], 5
	s_and_b64 vcc, exec, s[26:27]
	v_mov_b32_e32 v21, v27
	v_mov_b32_e32 v20, v27
	;; [unrolled: 1-line block ×8, first 2 shown]
	s_cbranch_vccnz .LBB104_3
; %bb.1:
	v_lshl_add_u32 v4, v26, 4, v24
	v_lshrrev_b32_e32 v22, 3, v4
	v_mov_b32_e32 v23, 0
	v_lshl_add_u64 v[0:1], v[22:23], 0, s[24:25]
	v_and_b32_e32 v5, 7, v24
	v_mad_u64_u32 v[0:1], s[26:27], s20, v5, v[0:1]
	v_mov_b32_e32 v2, v1
	v_mad_u64_u32 v[2:3], s[26:27], s21, v5, v[2:3]
	v_lshlrev_b32_e32 v5, 3, v5
	v_mov_b32_e32 v1, v2
	v_and_b32_e32 v2, 31, v4
	v_mov_b32_e32 v3, v23
	v_lshl_or_b32 v5, v22, 6, v5
	v_lshrrev_b32_e32 v4, 5, v4
	v_lshlrev_b32_e32 v6, 3, v2
	v_add_u32_e32 v31, 0x800, v5
	v_mov_b32_e32 v5, 0x800
	v_lshl_add_u64 v[2:3], s[2:3], 0, v[2:3]
	v_lshl_or_b32 v29, v4, 8, v6
	v_lshl_add_u32 v35, v26, 6, v5
	v_mul_lo_u32 v5, s15, v2
	v_mul_lo_u32 v6, s14, v3
	v_mad_u64_u32 v[2:3], s[14:15], s14, v2, 0
	s_mul_i32 s5, s17, s4
	s_mul_hi_u32 s14, s16, s4
	s_add_i32 s15, s14, s5
	s_mul_i32 s14, s16, s4
	v_add3_u32 v3, v3, v6, v5
	s_lshl_b64 s[14:15], s[14:15], 3
	v_lshl_add_u64 v[2:3], v[2:3], 3, s[14:15]
	v_lshlrev_b32_e32 v22, 3, v4
	v_lshl_add_u64 v[2:3], v[2:3], 0, v[22:23]
	v_lshl_add_u64 v[2:3], s[12:13], 0, v[2:3]
	s_mul_i32 s5, s23, s4
	s_mul_hi_u32 s12, s22, s4
	s_add_i32 s13, s12, s5
	s_mul_i32 s12, s22, s4
	s_lshl_b64 s[12:13], s[12:13], 3
	s_add_u32 s12, s18, s12
	s_addc_u32 s13, s19, s13
	v_lshlrev_b32_e32 v33, 3, v24
	v_lshl_add_u64 v[36:37], v[2:3], 0, 4
	v_lshl_add_u64 v[38:39], v[0:1], 3, s[12:13]
	s_lshl_b64 s[12:13], s[20:21], 6
	s_mov_b64 s[14:15], 0
	v_mov_b64_e32 v[40:41], s[8:9]
	v_mov_b32_e32 v22, v23
	v_mov_b32_e32 v30, v23
	;; [unrolled: 1-line block ×7, first 2 shown]
.LBB104_2:                              ; =>This Inner Loop Header: Depth=1
	global_load_dwordx2 v[0:1], v[36:37], off offset:-4
	global_load_dwordx2 v[2:3], v[38:39], off
	s_add_u32 s14, s14, 8
	s_addc_u32 s15, s15, 0
	v_cmp_lt_i64_e32 vcc, s[14:15], v[40:41]
	v_lshl_add_u64 v[36:37], v[36:37], 0, 64
	v_lshl_add_u64 v[38:39], v[38:39], 0, s[12:13]
	s_and_b64 vcc, exec, vcc
	s_waitcnt vmcnt(1)
	v_xor_b32_e32 v1, 0x80000000, v1
	s_waitcnt vmcnt(0)
	ds_write_b64 v31, v[2:3]
	ds_write_b64 v29, v[0:1]
	s_waitcnt lgkmcnt(0)
	s_barrier
	ds_read2_b64 v[4:7], v33 offset1:16
	ds_read_b128 v[8:11], v35
	ds_read_b128 v[0:3], v35 offset:16
	ds_read2_b64 v[12:15], v33 offset0:32 offset1:48
	ds_read_b128 v[16:19], v35 offset:1024
	ds_read_b128 v[42:45], v35 offset:1040
	ds_read2_b64 v[46:49], v33 offset0:64 offset1:80
	ds_read2_b64 v[50:53], v33 offset0:96 offset1:112
	;; [unrolled: 1-line block ×4, first 2 shown]
	ds_read_b128 v[62:65], v35 offset:1056
	ds_read_b128 v[66:69], v35 offset:32
	;; [unrolled: 1-line block ×3, first 2 shown]
	s_waitcnt lgkmcnt(11)
	v_mul_f32_e32 v78, v9, v5
	v_mul_f32_e32 v80, v8, v5
	;; [unrolled: 1-line block ×4, first 2 shown]
	s_waitcnt lgkmcnt(9)
	v_mul_f32_e32 v82, v11, v13
	v_mul_f32_e32 v83, v10, v13
	;; [unrolled: 1-line block ×4, first 2 shown]
	s_waitcnt lgkmcnt(8)
	v_mul_f32_e32 v86, v17, v5
	v_mul_f32_e32 v87, v16, v5
	v_pk_mul_f32 v[74:75], v[16:17], v[6:7] op_sel:[1,1] op_sel_hi:[0,1]
	v_mul_f32_e32 v5, v19, v13
	v_mul_f32_e32 v88, v18, v13
	v_pk_mul_f32 v[76:77], v[18:19], v[14:15] op_sel:[1,1] op_sel_hi:[0,1]
	v_fma_f32 v89, v8, v4, -v78
	v_fmac_f32_e32 v80, v9, v4
	v_fma_f32 v90, v8, v6, -v79
	v_fmac_f32_e32 v81, v9, v6
	;; [unrolled: 2-line block ×5, first 2 shown]
	v_pk_fma_f32 v[78:79], v[16:17], v[6:7], v[74:75] neg_lo:[0,0,1] neg_hi:[0,0,1]
	v_pk_fma_f32 v[16:17], v[16:17], v[6:7], v[74:75] op_sel_hi:[1,0,1]
	v_fma_f32 v74, v18, v12, -v5
	v_fmac_f32_e32 v88, v19, v12
	v_pk_fma_f32 v[12:13], v[18:19], v[14:15], v[76:77] neg_lo:[0,0,1] neg_hi:[0,0,1]
	v_pk_fma_f32 v[14:15], v[18:19], v[14:15], v[76:77] op_sel_hi:[1,0,1]
	s_waitcnt lgkmcnt(5)
	v_mul_f32_e32 v7, v3, v51
	v_mul_f32_e32 v9, v3, v53
	;; [unrolled: 1-line block ×4, first 2 shown]
	v_pk_mul_f32 v[4:5], v[42:43], v[48:49] op_sel:[1,1] op_sel_hi:[0,1]
	v_mul_f32_e32 v8, v1, v47
	v_mul_f32_e32 v91, v0, v47
	;; [unrolled: 1-line block ×6, first 2 shown]
	v_fma_f32 v93, v2, v50, -v7
	v_fma_f32 v94, v2, v52, -v9
	v_mul_f32_e32 v2, v45, v51
	v_fma_f32 v96, v42, v46, -v10
	v_fmac_f32_e32 v76, v43, v46
	v_pk_fma_f32 v[18:19], v[42:43], v[48:49], v[4:5] neg_lo:[0,0,1] neg_hi:[0,0,1]
	v_pk_fma_f32 v[42:43], v[42:43], v[48:49], v[4:5] op_sel_hi:[1,0,1]
	s_waitcnt lgkmcnt(1)
	v_mul_f32_e32 v98, v68, v59
	v_mul_f32_e32 v99, v68, v61
	;; [unrolled: 1-line block ×3, first 2 shown]
	v_fma_f32 v77, v0, v46, -v8
	v_fmac_f32_e32 v91, v1, v46
	v_fma_f32 v92, v0, v48, -v6
	v_fmac_f32_e32 v16, v1, v48
	v_fmac_f32_e32 v14, v3, v50
	;; [unrolled: 1-line block ×3, first 2 shown]
	v_mul_f32_e32 v95, v44, v51
	v_pk_mul_f32 v[0:1], v[44:45], v[52:53] op_sel:[1,1] op_sel_hi:[0,1]
	v_fma_f32 v42, v44, v50, -v2
	v_mul_f32_e32 v2, v69, v59
	v_mul_f32_e32 v3, v69, v61
	v_fmac_f32_e32 v98, v69, v58
	v_fmac_f32_e32 v99, v69, v60
	v_fma_f32 v69, v62, v54, -v4
	v_pk_mul_f32 v[4:5], v[62:63], v[56:57] op_sel:[1,1] op_sel_hi:[0,1]
	v_fmac_f32_e32 v95, v45, v50
	v_pk_fma_f32 v[46:47], v[44:45], v[52:53], v[0:1] neg_lo:[0,0,1] neg_hi:[0,0,1]
	v_pk_fma_f32 v[44:45], v[44:45], v[52:53], v[0:1] op_sel_hi:[1,0,1]
	v_pk_fma_f32 v[48:49], v[62:63], v[56:57], v[4:5] neg_lo:[0,0,1] neg_hi:[0,0,1]
	v_pk_fma_f32 v[50:51], v[62:63], v[56:57], v[4:5] op_sel_hi:[1,0,1]
	v_mul_f32_e32 v4, v65, v59
	v_mul_f32_e32 v0, v67, v55
	;; [unrolled: 1-line block ×4, first 2 shown]
	v_fma_f32 v50, v64, v58, -v4
	v_pk_mul_f32 v[4:5], v[64:65], v[60:61] op_sel:[1,1] op_sel_hi:[0,1]
	v_fma_f32 v100, v66, v54, -v0
	v_fmac_f32_e32 v44, v67, v54
	v_fmac_f32_e32 v101, v63, v54
	v_pk_fma_f32 v[52:53], v[64:65], v[60:61], v[4:5] neg_lo:[0,0,1] neg_hi:[0,0,1]
	v_pk_fma_f32 v[54:55], v[64:65], v[60:61], v[4:5] op_sel_hi:[1,0,1]
	ds_read2_b64 v[4:7], v33 offset0:192 offset1:208
	v_mul_f32_e32 v97, v66, v57
	v_mul_f32_e32 v1, v67, v57
	v_fmac_f32_e32 v97, v67, v56
	v_fma_f32 v67, v68, v58, -v2
	s_waitcnt lgkmcnt(0)
	v_mul_f32_e32 v8, v71, v5
	v_fma_f32 v54, v70, v4, -v8
	v_mul_f32_e32 v8, v71, v7
	v_fma_f32 v68, v68, v60, -v3
	v_fma_f32 v60, v70, v6, -v8
	ds_read2_b64 v[8:11], v33 offset0:224 offset1:240
	v_fma_f32 v66, v66, v56, -v1
	ds_read_b128 v[0:3], v35 offset:1072
	v_mul_f32_e32 v59, v64, v59
	v_fmac_f32_e32 v59, v65, v58
	s_waitcnt lgkmcnt(1)
	v_mul_f32_e32 v13, v73, v9
	v_mul_f32_e32 v58, v70, v5
	v_mul_f32_e32 v61, v70, v7
	v_fma_f32 v62, v72, v8, -v13
	v_mul_f32_e32 v13, v73, v11
	v_fmac_f32_e32 v58, v71, v4
	v_fmac_f32_e32 v61, v71, v6
	v_fma_f32 v64, v72, v10, -v13
	s_waitcnt lgkmcnt(0)
	v_mul_f32_e32 v13, v1, v5
	v_mul_f32_e32 v71, v0, v5
	v_fma_f32 v70, v0, v4, -v13
	v_fmac_f32_e32 v71, v1, v4
	v_pk_mul_f32 v[4:5], v[0:1], v[6:7] op_sel:[1,1] op_sel_hi:[0,1]
	v_pk_fma_f32 v[56:57], v[0:1], v[6:7], v[4:5] neg_lo:[0,0,1] neg_hi:[0,0,1]
	v_pk_fma_f32 v[0:1], v[0:1], v[6:7], v[4:5] op_sel_hi:[1,0,1]
	v_mul_f32_e32 v63, v72, v9
	v_mul_f32_e32 v0, v3, v9
	;; [unrolled: 1-line block ×3, first 2 shown]
	v_pk_mul_f32 v[4:5], v[2:3], v[10:11] op_sel:[1,1] op_sel_hi:[0,1]
	v_mul_f32_e32 v65, v72, v11
	v_fma_f32 v72, v2, v8, -v0
	v_fmac_f32_e32 v9, v3, v8
	v_pk_fma_f32 v[6:7], v[2:3], v[10:11], v[4:5] neg_lo:[0,0,1] neg_hi:[0,0,1]
	v_pk_fma_f32 v[2:3], v[2:3], v[10:11], v[4:5] op_sel_hi:[1,0,1]
	v_mov_b32_e32 v79, v17
	v_fmac_f32_e32 v63, v73, v8
	v_fmac_f32_e32 v65, v73, v10
	v_add_f32_e32 v2, v32, v89
	v_add_f32_e32 v4, v34, v80
	;; [unrolled: 1-line block ×6, first 2 shown]
	v_mov_b32_e32 v13, v15
	v_mov_b32_e32 v57, v1
	v_pk_add_f32 v[0:1], v[20:21], v[78:79]
	v_mov_b32_e32 v19, v43
	v_mov_b32_e32 v7, v3
	v_add_f32_e32 v2, v2, v82
	v_add_f32_e32 v3, v4, v83
	v_add_f32_e32 v4, v5, v84
	v_add_f32_e32 v5, v8, v85
	v_add_f32_e32 v8, v10, v74
	v_add_f32_e32 v10, v11, v88
	v_pk_add_f32 v[0:1], v[0:1], v[12:13]
	v_mov_b32_e32 v47, v45
	v_add_f32_e32 v2, v2, v77
	v_add_f32_e32 v3, v3, v91
	v_add_f32_e32 v4, v4, v92
	v_add_f32_e32 v5, v5, v16
	v_add_f32_e32 v8, v8, v96
	v_add_f32_e32 v10, v10, v76
	v_pk_add_f32 v[0:1], v[0:1], v[18:19]
	;; [unrolled: 8-line block ×4, first 2 shown]
	v_add_f32_e32 v2, v2, v67
	v_add_f32_e32 v3, v3, v98
	v_add_f32_e32 v4, v4, v68
	v_add_f32_e32 v5, v5, v99
	v_add_f32_e32 v8, v8, v50
	v_add_f32_e32 v10, v10, v59
	v_pk_add_f32 v[0:1], v[0:1], v[52:53]
	v_add_f32_e32 v2, v2, v54
	v_add_f32_e32 v3, v3, v58
	v_add_f32_e32 v4, v4, v60
	v_add_f32_e32 v5, v5, v61
	v_add_f32_e32 v8, v8, v70
	v_add_f32_e32 v10, v10, v71
	v_pk_add_f32 v[0:1], v[0:1], v[56:57]
	;; [unrolled: 7-line block ×3, first 2 shown]
	s_barrier
	s_cbranch_vccnz .LBB104_2
.LBB104_3:
	s_load_dwordx4 s[20:23], s[0:1], 0x78
	s_load_dwordx8 s[12:19], s[0:1], 0x58
	v_lshl_add_u64 v[0:1], s[24:25], 0, v[26:27]
	v_lshl_add_u64 v[2:3], s[2:3], 0, v[24:25]
	s_waitcnt lgkmcnt(0)
	s_mul_i32 s1, s23, s4
	s_mul_hi_u32 s5, s22, s4
	s_mul_i32 s0, s22, s4
	s_add_i32 s1, s5, s1
	s_lshl_b64 s[0:1], s[0:1], 3
	s_add_u32 s8, s18, s0
	s_addc_u32 s9, s19, s1
	s_or_b32 s0, s6, s7
	s_bitset0_b32 s0, 31
	s_cmp_lg_u32 s0, 0
	s_mov_b32 s0, s11
	s_mov_b32 s1, s10
	s_cbranch_scc1 .LBB104_5
; %bb.4:
	v_mul_lo_u32 v6, v1, s20
	v_mul_lo_u32 v7, v0, s21
	v_mad_u64_u32 v[4:5], s[2:3], v0, s20, 0
	v_add3_u32 v5, v5, v7, v6
	v_pk_mul_f32 v[10:11], v[34:35], s[0:1] op_sel_hi:[0,1]
	v_lshl_add_u64 v[4:5], v[4:5], 3, s[8:9]
	v_lshlrev_b64 v[6:7], 3, v[2:3]
	v_pk_fma_f32 v[12:13], v[32:33], s[0:1], v[10:11] op_sel:[0,1,0] op_sel_hi:[1,0,1] neg_lo:[0,0,1] neg_hi:[0,0,1]
	v_pk_fma_f32 v[10:11], v[32:33], s[0:1], v[10:11] op_sel:[0,1,0] op_sel_hi:[0,0,1]
	v_lshl_add_u64 v[8:9], v[4:5], 0, v[6:7]
	v_mov_b32_e32 v13, v11
	v_pk_mul_f32 v[10:11], v[30:31], s[0:1] op_sel_hi:[0,1]
	global_store_dwordx2 v[8:9], v[12:13], off
	v_pk_fma_f32 v[12:13], v[28:29], s[0:1], v[10:11] op_sel:[0,1,0] op_sel_hi:[1,0,1] neg_lo:[0,0,1] neg_hi:[0,0,1]
	v_pk_fma_f32 v[10:11], v[28:29], s[0:1], v[10:11] op_sel:[0,1,0] op_sel_hi:[0,0,1]
	s_lshl_b64 s[2:3], s[20:21], 7
	v_mov_b32_e32 v13, v11
	v_lshl_add_u64 v[4:5], v[4:5], 0, s[2:3]
	global_store_dwordx2 v[8:9], v[12:13], off offset:128
	v_lshl_add_u64 v[8:9], v[4:5], 0, v[6:7]
	v_mov_b32_e32 v4, v23
	v_pk_mul_f32 v[4:5], v[4:5], s[0:1] op_sel_hi:[0,1]
	v_pk_fma_f32 v[6:7], v[22:23], s[0:1], v[4:5] op_sel:[0,1,0] op_sel_hi:[1,0,1] neg_lo:[0,0,1] neg_hi:[0,0,1]
	v_pk_fma_f32 v[4:5], v[22:23], s[0:1], v[4:5] op_sel:[0,1,0] op_sel_hi:[0,0,1]
	v_mov_b32_e32 v7, v5
	v_mul_f32_e32 v4, s1, v20
	global_store_dwordx2 v[8:9], v[6:7], off
	v_fma_f32 v7, -v21, s0, v4
	v_pk_mul_f32 v[4:5], v[20:21], s[0:1]
	s_mov_b64 s[2:3], 0x80
	v_add_f32_e32 v6, v4, v5
	v_lshl_add_u64 v[4:5], v[8:9], 0, s[2:3]
	global_store_dword v[8:9], v7, off offset:128
	s_cbranch_execz .LBB104_6
	s_branch .LBB104_7
.LBB104_5:
                                        ; implicit-def: $vgpr6
                                        ; implicit-def: $vgpr4_vgpr5
.LBB104_6:
	s_mul_i32 s2, s17, s4
	s_mul_hi_u32 s3, s16, s4
	s_add_i32 s3, s3, s2
	s_mul_i32 s2, s16, s4
	s_lshl_b64 s[2:3], s[2:3], 3
	s_add_u32 s2, s12, s2
	v_mul_lo_u32 v6, v1, s14
	v_mul_lo_u32 v7, v0, s15
	v_mad_u64_u32 v[4:5], s[4:5], v0, s14, 0
	s_addc_u32 s3, s13, s3
	v_add3_u32 v5, v5, v7, v6
	v_lshl_add_u64 v[4:5], v[4:5], 3, s[2:3]
	v_lshlrev_b64 v[2:3], 3, v[2:3]
	v_lshl_add_u64 v[6:7], v[4:5], 0, v[2:3]
	global_load_dwordx2 v[8:9], v[6:7], off
	v_mul_lo_u32 v12, v1, s20
	v_mul_lo_u32 v13, v0, s21
	v_mad_u64_u32 v[0:1], s[2:3], v0, s20, 0
	s_mov_b32 s2, s7
	v_pk_mul_f32 v[10:11], v[34:35], s[0:1] op_sel_hi:[0,1]
	v_add3_u32 v1, v1, v13, v12
	v_pk_fma_f32 v[12:13], v[32:33], s[0:1], v[10:11] op_sel:[0,1,0] op_sel_hi:[1,0,1] neg_lo:[0,0,1] neg_hi:[0,0,1]
	v_pk_fma_f32 v[10:11], v[32:33], s[0:1], v[10:11] op_sel:[0,1,0] op_sel_hi:[0,0,1]
	v_lshl_add_u64 v[0:1], v[0:1], 3, s[8:9]
	v_mov_b32_e32 v13, v11
	v_lshl_add_u64 v[10:11], v[0:1], 0, v[2:3]
	s_lshl_b64 s[4:5], s[14:15], 7
	v_lshl_add_u64 v[4:5], v[4:5], 0, s[4:5]
	v_lshl_add_u64 v[4:5], v[4:5], 0, v[2:3]
	s_lshl_b64 s[4:5], s[20:21], 7
	v_lshl_add_u64 v[0:1], v[0:1], 0, s[4:5]
	v_lshl_add_u64 v[0:1], v[0:1], 0, v[2:3]
	s_mov_b32 s11, s6
	s_waitcnt vmcnt(0)
	v_pk_mul_f32 v[14:15], v[8:9], s[2:3] op_sel_hi:[1,0]
	s_nop 0
	v_pk_fma_f32 v[16:17], v[8:9], s[6:7], v[14:15] op_sel:[0,0,1] op_sel_hi:[1,1,0] neg_lo:[0,0,1] neg_hi:[0,0,1]
	v_pk_fma_f32 v[8:9], v[8:9], s[6:7], v[14:15] op_sel:[0,0,1] op_sel_hi:[1,0,0]
	s_nop 0
	v_mov_b32_e32 v17, v9
	v_pk_add_f32 v[8:9], v[12:13], v[16:17]
	global_store_dwordx2 v[10:11], v[8:9], off
	global_load_dwordx2 v[6:7], v[6:7], off offset:128
	v_pk_mul_f32 v[8:9], v[30:31], s[0:1] op_sel_hi:[0,1]
	v_pk_fma_f32 v[12:13], v[28:29], s[0:1], v[8:9] op_sel:[0,1,0] op_sel_hi:[1,0,1] neg_lo:[0,0,1] neg_hi:[0,0,1]
	v_pk_fma_f32 v[8:9], v[28:29], s[0:1], v[8:9] op_sel:[0,1,0] op_sel_hi:[0,0,1]
	v_mov_b32_e32 v13, v9
	s_waitcnt vmcnt(0)
	v_pk_mul_f32 v[8:9], v[6:7], s[2:3] op_sel_hi:[1,0]
	s_nop 0
	v_pk_fma_f32 v[14:15], v[6:7], s[6:7], v[8:9] op_sel:[0,0,1] op_sel_hi:[1,1,0] neg_lo:[0,0,1] neg_hi:[0,0,1]
	v_pk_fma_f32 v[6:7], v[6:7], s[6:7], v[8:9] op_sel:[0,0,1] op_sel_hi:[1,0,0]
	v_mov_b32_e32 v8, v23
	v_mov_b32_e32 v15, v7
	v_pk_add_f32 v[6:7], v[12:13], v[14:15]
	global_store_dwordx2 v[10:11], v[6:7], off offset:128
	global_load_dwordx2 v[6:7], v[4:5], off
	v_pk_mul_f32 v[8:9], v[8:9], s[0:1] op_sel_hi:[0,1]
	v_pk_fma_f32 v[10:11], v[22:23], s[0:1], v[8:9] op_sel:[0,1,0] op_sel_hi:[1,0,1] neg_lo:[0,0,1] neg_hi:[0,0,1]
	v_pk_fma_f32 v[8:9], v[22:23], s[0:1], v[8:9] op_sel:[0,1,0] op_sel_hi:[0,0,1]
	v_mov_b32_e32 v11, v9
	s_waitcnt vmcnt(0)
	v_pk_mul_f32 v[2:3], v[6:7], s[2:3] op_sel_hi:[1,0]
	s_nop 0
	v_pk_fma_f32 v[8:9], v[6:7], s[6:7], v[2:3] op_sel:[0,0,1] op_sel_hi:[1,1,0] neg_lo:[0,0,1] neg_hi:[0,0,1]
	v_pk_fma_f32 v[2:3], v[6:7], s[6:7], v[2:3] op_sel:[0,0,1] op_sel_hi:[1,0,0]
	v_mov_b32_e32 v6, v20
	v_mov_b32_e32 v9, v3
	v_pk_add_f32 v[2:3], v[10:11], v[8:9]
	global_store_dwordx2 v[0:1], v[2:3], off
	global_load_dwordx2 v[2:3], v[4:5], off offset:128
	v_mul_f32_e32 v4, s1, v20
	s_mov_b32 s1, s7
	s_mov_b64 s[2:3], 0x80
	v_fma_f32 v8, -v21, s0, v4
	v_lshl_add_u64 v[4:5], v[0:1], 0, s[2:3]
	s_waitcnt vmcnt(0)
	v_mul_f32_e32 v9, s7, v3
	v_mov_b32_e32 v7, v2
	v_fma_f32 v9, v2, s6, -v9
	v_mov_b32_e32 v2, v21
	v_pk_mul_f32 v[2:3], v[2:3], s[10:11]
	v_add_f32_e32 v8, v8, v9
	v_pk_fma_f32 v[2:3], v[6:7], s[0:1], v[2:3]
	global_store_dword v[0:1], v8, off offset:128
	v_add_f32_e32 v6, v2, v3
.LBB104_7:
	global_store_dword v[4:5], v6, off offset:4
	s_endpgm
	.section	.rodata,"a",@progbits
	.p2align	6, 0x0
	.amdhsa_kernel _ZN12_GLOBAL__N_127rocblas_gemm_batched_kernelI19rocblas_complex_numIfELi16ELi16ELi32ELi32ELi8ELi32ELi8ELi8ELi32ELc67ELc84EKS2_S3_S2_EEvlllT_PT11_llS6_llS4_PT12_llPT13_lli
		.amdhsa_group_segment_fixed_size 4096
		.amdhsa_private_segment_fixed_size 0
		.amdhsa_kernarg_size 140
		.amdhsa_user_sgpr_count 2
		.amdhsa_user_sgpr_dispatch_ptr 0
		.amdhsa_user_sgpr_queue_ptr 0
		.amdhsa_user_sgpr_kernarg_segment_ptr 1
		.amdhsa_user_sgpr_dispatch_id 0
		.amdhsa_user_sgpr_kernarg_preload_length 0
		.amdhsa_user_sgpr_kernarg_preload_offset 0
		.amdhsa_user_sgpr_private_segment_size 0
		.amdhsa_uses_dynamic_stack 0
		.amdhsa_enable_private_segment 0
		.amdhsa_system_sgpr_workgroup_id_x 1
		.amdhsa_system_sgpr_workgroup_id_y 1
		.amdhsa_system_sgpr_workgroup_id_z 1
		.amdhsa_system_sgpr_workgroup_info 0
		.amdhsa_system_vgpr_workitem_id 1
		.amdhsa_next_free_vgpr 102
		.amdhsa_next_free_sgpr 28
		.amdhsa_accum_offset 104
		.amdhsa_reserve_vcc 1
		.amdhsa_float_round_mode_32 0
		.amdhsa_float_round_mode_16_64 0
		.amdhsa_float_denorm_mode_32 3
		.amdhsa_float_denorm_mode_16_64 3
		.amdhsa_dx10_clamp 1
		.amdhsa_ieee_mode 1
		.amdhsa_fp16_overflow 0
		.amdhsa_tg_split 0
		.amdhsa_exception_fp_ieee_invalid_op 0
		.amdhsa_exception_fp_denorm_src 0
		.amdhsa_exception_fp_ieee_div_zero 0
		.amdhsa_exception_fp_ieee_overflow 0
		.amdhsa_exception_fp_ieee_underflow 0
		.amdhsa_exception_fp_ieee_inexact 0
		.amdhsa_exception_int_div_zero 0
	.end_amdhsa_kernel
	.section	.text._ZN12_GLOBAL__N_127rocblas_gemm_batched_kernelI19rocblas_complex_numIfELi16ELi16ELi32ELi32ELi8ELi32ELi8ELi8ELi32ELc67ELc84EKS2_S3_S2_EEvlllT_PT11_llS6_llS4_PT12_llPT13_lli,"axG",@progbits,_ZN12_GLOBAL__N_127rocblas_gemm_batched_kernelI19rocblas_complex_numIfELi16ELi16ELi32ELi32ELi8ELi32ELi8ELi8ELi32ELc67ELc84EKS2_S3_S2_EEvlllT_PT11_llS6_llS4_PT12_llPT13_lli,comdat
.Lfunc_end104:
	.size	_ZN12_GLOBAL__N_127rocblas_gemm_batched_kernelI19rocblas_complex_numIfELi16ELi16ELi32ELi32ELi8ELi32ELi8ELi8ELi32ELc67ELc84EKS2_S3_S2_EEvlllT_PT11_llS6_llS4_PT12_llPT13_lli, .Lfunc_end104-_ZN12_GLOBAL__N_127rocblas_gemm_batched_kernelI19rocblas_complex_numIfELi16ELi16ELi32ELi32ELi8ELi32ELi8ELi8ELi32ELc67ELc84EKS2_S3_S2_EEvlllT_PT11_llS6_llS4_PT12_llPT13_lli
                                        ; -- End function
	.set _ZN12_GLOBAL__N_127rocblas_gemm_batched_kernelI19rocblas_complex_numIfELi16ELi16ELi32ELi32ELi8ELi32ELi8ELi8ELi32ELc67ELc84EKS2_S3_S2_EEvlllT_PT11_llS6_llS4_PT12_llPT13_lli.num_vgpr, 102
	.set _ZN12_GLOBAL__N_127rocblas_gemm_batched_kernelI19rocblas_complex_numIfELi16ELi16ELi32ELi32ELi8ELi32ELi8ELi8ELi32ELc67ELc84EKS2_S3_S2_EEvlllT_PT11_llS6_llS4_PT12_llPT13_lli.num_agpr, 0
	.set _ZN12_GLOBAL__N_127rocblas_gemm_batched_kernelI19rocblas_complex_numIfELi16ELi16ELi32ELi32ELi8ELi32ELi8ELi8ELi32ELc67ELc84EKS2_S3_S2_EEvlllT_PT11_llS6_llS4_PT12_llPT13_lli.numbered_sgpr, 28
	.set _ZN12_GLOBAL__N_127rocblas_gemm_batched_kernelI19rocblas_complex_numIfELi16ELi16ELi32ELi32ELi8ELi32ELi8ELi8ELi32ELc67ELc84EKS2_S3_S2_EEvlllT_PT11_llS6_llS4_PT12_llPT13_lli.num_named_barrier, 0
	.set _ZN12_GLOBAL__N_127rocblas_gemm_batched_kernelI19rocblas_complex_numIfELi16ELi16ELi32ELi32ELi8ELi32ELi8ELi8ELi32ELc67ELc84EKS2_S3_S2_EEvlllT_PT11_llS6_llS4_PT12_llPT13_lli.private_seg_size, 0
	.set _ZN12_GLOBAL__N_127rocblas_gemm_batched_kernelI19rocblas_complex_numIfELi16ELi16ELi32ELi32ELi8ELi32ELi8ELi8ELi32ELc67ELc84EKS2_S3_S2_EEvlllT_PT11_llS6_llS4_PT12_llPT13_lli.uses_vcc, 1
	.set _ZN12_GLOBAL__N_127rocblas_gemm_batched_kernelI19rocblas_complex_numIfELi16ELi16ELi32ELi32ELi8ELi32ELi8ELi8ELi32ELc67ELc84EKS2_S3_S2_EEvlllT_PT11_llS6_llS4_PT12_llPT13_lli.uses_flat_scratch, 0
	.set _ZN12_GLOBAL__N_127rocblas_gemm_batched_kernelI19rocblas_complex_numIfELi16ELi16ELi32ELi32ELi8ELi32ELi8ELi8ELi32ELc67ELc84EKS2_S3_S2_EEvlllT_PT11_llS6_llS4_PT12_llPT13_lli.has_dyn_sized_stack, 0
	.set _ZN12_GLOBAL__N_127rocblas_gemm_batched_kernelI19rocblas_complex_numIfELi16ELi16ELi32ELi32ELi8ELi32ELi8ELi8ELi32ELc67ELc84EKS2_S3_S2_EEvlllT_PT11_llS6_llS4_PT12_llPT13_lli.has_recursion, 0
	.set _ZN12_GLOBAL__N_127rocblas_gemm_batched_kernelI19rocblas_complex_numIfELi16ELi16ELi32ELi32ELi8ELi32ELi8ELi8ELi32ELc67ELc84EKS2_S3_S2_EEvlllT_PT11_llS6_llS4_PT12_llPT13_lli.has_indirect_call, 0
	.section	.AMDGPU.csdata,"",@progbits
; Kernel info:
; codeLenInByte = 2512
; TotalNumSgprs: 34
; NumVgprs: 102
; NumAgprs: 0
; TotalNumVgprs: 102
; ScratchSize: 0
; MemoryBound: 0
; FloatMode: 240
; IeeeMode: 1
; LDSByteSize: 4096 bytes/workgroup (compile time only)
; SGPRBlocks: 4
; VGPRBlocks: 12
; NumSGPRsForWavesPerEU: 34
; NumVGPRsForWavesPerEU: 102
; AccumOffset: 104
; Occupancy: 4
; WaveLimiterHint : 1
; COMPUTE_PGM_RSRC2:SCRATCH_EN: 0
; COMPUTE_PGM_RSRC2:USER_SGPR: 2
; COMPUTE_PGM_RSRC2:TRAP_HANDLER: 0
; COMPUTE_PGM_RSRC2:TGID_X_EN: 1
; COMPUTE_PGM_RSRC2:TGID_Y_EN: 1
; COMPUTE_PGM_RSRC2:TGID_Z_EN: 1
; COMPUTE_PGM_RSRC2:TIDIG_COMP_CNT: 1
; COMPUTE_PGM_RSRC3_GFX90A:ACCUM_OFFSET: 25
; COMPUTE_PGM_RSRC3_GFX90A:TG_SPLIT: 0
	.section	.text._ZN12_GLOBAL__N_127rocblas_gemm_batched_kernelI19rocblas_complex_numIfELi16ELi16ELi32ELi32ELi8ELi32ELi8ELi8ELi32ELc78ELc67EKS2_S3_S2_EEvlllT_PT11_llS6_llS4_PT12_llPT13_lli,"axG",@progbits,_ZN12_GLOBAL__N_127rocblas_gemm_batched_kernelI19rocblas_complex_numIfELi16ELi16ELi32ELi32ELi8ELi32ELi8ELi8ELi32ELc78ELc67EKS2_S3_S2_EEvlllT_PT11_llS6_llS4_PT12_llPT13_lli,comdat
	.globl	_ZN12_GLOBAL__N_127rocblas_gemm_batched_kernelI19rocblas_complex_numIfELi16ELi16ELi32ELi32ELi8ELi32ELi8ELi8ELi32ELc78ELc67EKS2_S3_S2_EEvlllT_PT11_llS6_llS4_PT12_llPT13_lli ; -- Begin function _ZN12_GLOBAL__N_127rocblas_gemm_batched_kernelI19rocblas_complex_numIfELi16ELi16ELi32ELi32ELi8ELi32ELi8ELi8ELi32ELc78ELc67EKS2_S3_S2_EEvlllT_PT11_llS6_llS4_PT12_llPT13_lli
	.p2align	8
	.type	_ZN12_GLOBAL__N_127rocblas_gemm_batched_kernelI19rocblas_complex_numIfELi16ELi16ELi32ELi32ELi8ELi32ELi8ELi8ELi32ELc78ELc67EKS2_S3_S2_EEvlllT_PT11_llS6_llS4_PT12_llPT13_lli,@function
_ZN12_GLOBAL__N_127rocblas_gemm_batched_kernelI19rocblas_complex_numIfELi16ELi16ELi32ELi32ELi8ELi32ELi8ELi8ELi32ELc78ELc67EKS2_S3_S2_EEvlllT_PT11_llS6_llS4_PT12_llPT13_lli: ; @_ZN12_GLOBAL__N_127rocblas_gemm_batched_kernelI19rocblas_complex_numIfELi16ELi16ELi32ELi32ELi8ELi32ELi8ELi8ELi32ELc78ELc67EKS2_S3_S2_EEvlllT_PT11_llS6_llS4_PT12_llPT13_lli
; %bb.0:
	s_load_dwordx16 s[8:23], s[0:1], 0x10
	s_load_dwordx2 s[6:7], s[0:1], 0x50
	s_mov_b32 s24, s3
	v_mov_b32_e32 v27, 0
	s_ashr_i32 s3, s2, 31
	s_ashr_i32 s25, s24, 31
	s_waitcnt lgkmcnt(0)
	v_cmp_lt_i64_e64 s[26:27], s[8:9], 1
	v_bfe_u32 v26, v0, 10, 10
	v_and_b32_e32 v24, 0x3ff, v0
	v_mov_b32_e32 v25, v27
	s_lshl_b64 s[2:3], s[2:3], 5
	s_lshl_b64 s[24:25], s[24:25], 5
	s_and_b64 vcc, exec, s[26:27]
	v_mov_b32_e32 v21, v27
	v_mov_b32_e32 v20, v27
	;; [unrolled: 1-line block ×8, first 2 shown]
	s_cbranch_vccnz .LBB105_3
; %bb.1:
	v_lshl_add_u32 v4, v26, 4, v24
	v_lshrrev_b32_e32 v22, 3, v4
	v_mov_b32_e32 v23, 0
	v_lshl_add_u64 v[0:1], v[22:23], 0, s[24:25]
	v_and_b32_e32 v5, 7, v24
	v_mad_u64_u32 v[0:1], s[26:27], s20, v5, v[0:1]
	v_mov_b32_e32 v2, v1
	v_mad_u64_u32 v[2:3], s[26:27], s21, v5, v[2:3]
	v_mov_b32_e32 v1, v2
	v_and_b32_e32 v2, 31, v4
	v_lshrrev_b32_e32 v7, 5, v4
	v_lshlrev_b32_e32 v4, 3, v2
	v_lshl_or_b32 v29, v7, 8, v4
	v_lshlrev_b32_e32 v4, 3, v5
	v_lshl_or_b32 v4, v22, 6, v4
	v_add_u32_e32 v31, 0x800, v4
	v_mov_b32_e32 v4, 0x800
	v_lshl_add_u32 v35, v26, 6, v4
	v_mov_b64_e32 v[4:5], s[2:3]
	s_mul_i32 s5, s17, s4
	s_mul_hi_u32 s17, s16, s4
	v_mad_u64_u32 v[4:5], s[26:27], s14, v7, v[4:5]
	s_add_i32 s17, s17, s5
	s_mul_i32 s16, s16, s4
	v_mov_b32_e32 v6, v5
	s_lshl_b64 s[16:17], s[16:17], 3
	v_mad_u64_u32 v[6:7], s[26:27], s15, v7, v[6:7]
	v_mov_b32_e32 v3, v23
	v_mov_b32_e32 v5, v6
	s_add_u32 s12, s12, s16
	v_lshl_add_u64 v[2:3], v[4:5], 0, v[2:3]
	s_addc_u32 s13, s13, s17
	v_lshl_add_u64 v[36:37], v[2:3], 3, s[12:13]
	s_lshl_b64 s[12:13], s[14:15], 6
	s_mul_i32 s5, s23, s4
	s_mul_hi_u32 s14, s22, s4
	s_add_i32 s15, s14, s5
	s_mul_i32 s14, s22, s4
	s_lshl_b64 s[14:15], s[14:15], 3
	s_add_u32 s14, s18, s14
	s_addc_u32 s15, s19, s15
	v_lshl_add_u64 v[0:1], v[0:1], 3, s[14:15]
	v_lshlrev_b32_e32 v33, 3, v24
	v_lshl_add_u64 v[38:39], v[0:1], 0, 4
	s_lshl_b64 s[14:15], s[20:21], 6
	s_mov_b64 s[16:17], 0
	v_mov_b64_e32 v[40:41], s[8:9]
	v_mov_b32_e32 v22, v23
	v_mov_b32_e32 v30, v23
	;; [unrolled: 1-line block ×7, first 2 shown]
.LBB105_2:                              ; =>This Inner Loop Header: Depth=1
	global_load_dwordx2 v[0:1], v[36:37], off
	global_load_dwordx2 v[2:3], v[38:39], off offset:-4
	s_add_u32 s16, s16, 8
	s_addc_u32 s17, s17, 0
	v_cmp_lt_i64_e32 vcc, s[16:17], v[40:41]
	v_lshl_add_u64 v[36:37], v[36:37], 0, s[12:13]
	v_lshl_add_u64 v[38:39], v[38:39], 0, s[14:15]
	s_and_b64 vcc, exec, vcc
	s_waitcnt vmcnt(1)
	ds_write_b64 v29, v[0:1]
	s_waitcnt vmcnt(0)
	v_xor_b32_e32 v3, 0x80000000, v3
	ds_write_b64 v31, v[2:3]
	s_waitcnt lgkmcnt(0)
	s_barrier
	ds_read2_b64 v[4:7], v33 offset1:16
	ds_read_b128 v[8:11], v35
	ds_read_b128 v[0:3], v35 offset:16
	ds_read2_b64 v[12:15], v33 offset0:32 offset1:48
	ds_read_b128 v[16:19], v35 offset:1024
	ds_read_b128 v[42:45], v35 offset:1040
	ds_read2_b64 v[46:49], v33 offset0:64 offset1:80
	ds_read2_b64 v[50:53], v33 offset0:96 offset1:112
	;; [unrolled: 1-line block ×4, first 2 shown]
	ds_read_b128 v[62:65], v35 offset:1056
	ds_read_b128 v[66:69], v35 offset:32
	;; [unrolled: 1-line block ×3, first 2 shown]
	s_waitcnt lgkmcnt(11)
	v_mul_f32_e32 v78, v9, v5
	v_mul_f32_e32 v80, v8, v5
	;; [unrolled: 1-line block ×4, first 2 shown]
	s_waitcnt lgkmcnt(9)
	v_mul_f32_e32 v82, v11, v13
	v_mul_f32_e32 v83, v10, v13
	;; [unrolled: 1-line block ×4, first 2 shown]
	s_waitcnt lgkmcnt(8)
	v_mul_f32_e32 v86, v17, v5
	v_mul_f32_e32 v87, v16, v5
	v_pk_mul_f32 v[74:75], v[16:17], v[6:7] op_sel:[1,1] op_sel_hi:[0,1]
	v_mul_f32_e32 v5, v19, v13
	v_mul_f32_e32 v88, v18, v13
	v_pk_mul_f32 v[76:77], v[18:19], v[14:15] op_sel:[1,1] op_sel_hi:[0,1]
	v_fma_f32 v89, v8, v4, -v78
	v_fmac_f32_e32 v80, v9, v4
	v_fma_f32 v90, v8, v6, -v79
	v_fmac_f32_e32 v81, v9, v6
	;; [unrolled: 2-line block ×5, first 2 shown]
	v_pk_fma_f32 v[78:79], v[16:17], v[6:7], v[74:75] neg_lo:[0,0,1] neg_hi:[0,0,1]
	v_pk_fma_f32 v[16:17], v[16:17], v[6:7], v[74:75] op_sel_hi:[1,0,1]
	v_fma_f32 v74, v18, v12, -v5
	v_fmac_f32_e32 v88, v19, v12
	v_pk_fma_f32 v[12:13], v[18:19], v[14:15], v[76:77] neg_lo:[0,0,1] neg_hi:[0,0,1]
	v_pk_fma_f32 v[14:15], v[18:19], v[14:15], v[76:77] op_sel_hi:[1,0,1]
	s_waitcnt lgkmcnt(5)
	v_mul_f32_e32 v7, v3, v51
	v_mul_f32_e32 v9, v3, v53
	;; [unrolled: 1-line block ×4, first 2 shown]
	v_pk_mul_f32 v[4:5], v[42:43], v[48:49] op_sel:[1,1] op_sel_hi:[0,1]
	v_mul_f32_e32 v8, v1, v47
	v_mul_f32_e32 v91, v0, v47
	;; [unrolled: 1-line block ×6, first 2 shown]
	v_fma_f32 v93, v2, v50, -v7
	v_fma_f32 v94, v2, v52, -v9
	v_mul_f32_e32 v2, v45, v51
	v_fma_f32 v96, v42, v46, -v10
	v_fmac_f32_e32 v76, v43, v46
	v_pk_fma_f32 v[18:19], v[42:43], v[48:49], v[4:5] neg_lo:[0,0,1] neg_hi:[0,0,1]
	v_pk_fma_f32 v[42:43], v[42:43], v[48:49], v[4:5] op_sel_hi:[1,0,1]
	s_waitcnt lgkmcnt(1)
	v_mul_f32_e32 v98, v68, v59
	v_mul_f32_e32 v99, v68, v61
	;; [unrolled: 1-line block ×3, first 2 shown]
	v_fma_f32 v77, v0, v46, -v8
	v_fmac_f32_e32 v91, v1, v46
	v_fma_f32 v92, v0, v48, -v6
	v_fmac_f32_e32 v16, v1, v48
	v_fmac_f32_e32 v14, v3, v50
	;; [unrolled: 1-line block ×3, first 2 shown]
	v_mul_f32_e32 v95, v44, v51
	v_pk_mul_f32 v[0:1], v[44:45], v[52:53] op_sel:[1,1] op_sel_hi:[0,1]
	v_fma_f32 v42, v44, v50, -v2
	v_mul_f32_e32 v2, v69, v59
	v_mul_f32_e32 v3, v69, v61
	v_fmac_f32_e32 v98, v69, v58
	v_fmac_f32_e32 v99, v69, v60
	v_fma_f32 v69, v62, v54, -v4
	v_pk_mul_f32 v[4:5], v[62:63], v[56:57] op_sel:[1,1] op_sel_hi:[0,1]
	v_fmac_f32_e32 v95, v45, v50
	v_pk_fma_f32 v[46:47], v[44:45], v[52:53], v[0:1] neg_lo:[0,0,1] neg_hi:[0,0,1]
	v_pk_fma_f32 v[44:45], v[44:45], v[52:53], v[0:1] op_sel_hi:[1,0,1]
	v_pk_fma_f32 v[48:49], v[62:63], v[56:57], v[4:5] neg_lo:[0,0,1] neg_hi:[0,0,1]
	v_pk_fma_f32 v[50:51], v[62:63], v[56:57], v[4:5] op_sel_hi:[1,0,1]
	v_mul_f32_e32 v4, v65, v59
	v_mul_f32_e32 v0, v67, v55
	;; [unrolled: 1-line block ×4, first 2 shown]
	v_fma_f32 v50, v64, v58, -v4
	v_pk_mul_f32 v[4:5], v[64:65], v[60:61] op_sel:[1,1] op_sel_hi:[0,1]
	v_fma_f32 v100, v66, v54, -v0
	v_fmac_f32_e32 v44, v67, v54
	v_fmac_f32_e32 v101, v63, v54
	v_pk_fma_f32 v[52:53], v[64:65], v[60:61], v[4:5] neg_lo:[0,0,1] neg_hi:[0,0,1]
	v_pk_fma_f32 v[54:55], v[64:65], v[60:61], v[4:5] op_sel_hi:[1,0,1]
	ds_read2_b64 v[4:7], v33 offset0:192 offset1:208
	v_mul_f32_e32 v97, v66, v57
	v_mul_f32_e32 v1, v67, v57
	v_fmac_f32_e32 v97, v67, v56
	v_fma_f32 v67, v68, v58, -v2
	s_waitcnt lgkmcnt(0)
	v_mul_f32_e32 v8, v71, v5
	v_fma_f32 v54, v70, v4, -v8
	v_mul_f32_e32 v8, v71, v7
	v_fma_f32 v68, v68, v60, -v3
	v_fma_f32 v60, v70, v6, -v8
	ds_read2_b64 v[8:11], v33 offset0:224 offset1:240
	v_fma_f32 v66, v66, v56, -v1
	ds_read_b128 v[0:3], v35 offset:1072
	v_mul_f32_e32 v59, v64, v59
	v_fmac_f32_e32 v59, v65, v58
	s_waitcnt lgkmcnt(1)
	v_mul_f32_e32 v13, v73, v9
	v_mul_f32_e32 v58, v70, v5
	;; [unrolled: 1-line block ×3, first 2 shown]
	v_fma_f32 v62, v72, v8, -v13
	v_mul_f32_e32 v13, v73, v11
	v_fmac_f32_e32 v58, v71, v4
	v_fmac_f32_e32 v61, v71, v6
	v_fma_f32 v64, v72, v10, -v13
	s_waitcnt lgkmcnt(0)
	v_mul_f32_e32 v13, v1, v5
	v_mul_f32_e32 v71, v0, v5
	v_fma_f32 v70, v0, v4, -v13
	v_fmac_f32_e32 v71, v1, v4
	v_pk_mul_f32 v[4:5], v[0:1], v[6:7] op_sel:[1,1] op_sel_hi:[0,1]
	v_pk_fma_f32 v[56:57], v[0:1], v[6:7], v[4:5] neg_lo:[0,0,1] neg_hi:[0,0,1]
	v_pk_fma_f32 v[0:1], v[0:1], v[6:7], v[4:5] op_sel_hi:[1,0,1]
	v_mul_f32_e32 v63, v72, v9
	v_mul_f32_e32 v0, v3, v9
	v_mul_f32_e32 v9, v2, v9
	v_pk_mul_f32 v[4:5], v[2:3], v[10:11] op_sel:[1,1] op_sel_hi:[0,1]
	v_mul_f32_e32 v65, v72, v11
	v_fma_f32 v72, v2, v8, -v0
	v_fmac_f32_e32 v9, v3, v8
	v_pk_fma_f32 v[6:7], v[2:3], v[10:11], v[4:5] neg_lo:[0,0,1] neg_hi:[0,0,1]
	v_pk_fma_f32 v[2:3], v[2:3], v[10:11], v[4:5] op_sel_hi:[1,0,1]
	v_mov_b32_e32 v79, v17
	v_fmac_f32_e32 v63, v73, v8
	v_fmac_f32_e32 v65, v73, v10
	v_add_f32_e32 v2, v32, v89
	v_add_f32_e32 v4, v34, v80
	;; [unrolled: 1-line block ×6, first 2 shown]
	v_mov_b32_e32 v13, v15
	v_mov_b32_e32 v57, v1
	v_pk_add_f32 v[0:1], v[20:21], v[78:79]
	v_mov_b32_e32 v19, v43
	v_mov_b32_e32 v7, v3
	v_add_f32_e32 v2, v2, v82
	v_add_f32_e32 v3, v4, v83
	v_add_f32_e32 v4, v5, v84
	v_add_f32_e32 v5, v8, v85
	v_add_f32_e32 v8, v10, v74
	v_add_f32_e32 v10, v11, v88
	v_pk_add_f32 v[0:1], v[0:1], v[12:13]
	v_mov_b32_e32 v47, v45
	v_add_f32_e32 v2, v2, v77
	v_add_f32_e32 v3, v3, v91
	v_add_f32_e32 v4, v4, v92
	v_add_f32_e32 v5, v5, v16
	v_add_f32_e32 v8, v8, v96
	v_add_f32_e32 v10, v10, v76
	v_pk_add_f32 v[0:1], v[0:1], v[18:19]
	;; [unrolled: 8-line block ×4, first 2 shown]
	v_add_f32_e32 v2, v2, v67
	v_add_f32_e32 v3, v3, v98
	v_add_f32_e32 v4, v4, v68
	v_add_f32_e32 v5, v5, v99
	v_add_f32_e32 v8, v8, v50
	v_add_f32_e32 v10, v10, v59
	v_pk_add_f32 v[0:1], v[0:1], v[52:53]
	v_add_f32_e32 v2, v2, v54
	v_add_f32_e32 v3, v3, v58
	v_add_f32_e32 v4, v4, v60
	v_add_f32_e32 v5, v5, v61
	v_add_f32_e32 v8, v8, v70
	v_add_f32_e32 v10, v10, v71
	v_pk_add_f32 v[0:1], v[0:1], v[56:57]
	;; [unrolled: 7-line block ×3, first 2 shown]
	s_barrier
	s_cbranch_vccnz .LBB105_2
.LBB105_3:
	s_load_dwordx4 s[20:23], s[0:1], 0x78
	s_load_dwordx8 s[12:19], s[0:1], 0x58
	v_lshl_add_u64 v[0:1], s[24:25], 0, v[26:27]
	v_lshl_add_u64 v[2:3], s[2:3], 0, v[24:25]
	s_waitcnt lgkmcnt(0)
	s_mul_i32 s1, s23, s4
	s_mul_hi_u32 s5, s22, s4
	s_mul_i32 s0, s22, s4
	s_add_i32 s1, s5, s1
	s_lshl_b64 s[0:1], s[0:1], 3
	s_add_u32 s8, s18, s0
	s_addc_u32 s9, s19, s1
	s_or_b32 s0, s6, s7
	s_bitset0_b32 s0, 31
	s_cmp_lg_u32 s0, 0
	s_mov_b32 s0, s11
	s_mov_b32 s1, s10
	s_cbranch_scc1 .LBB105_5
; %bb.4:
	v_mul_lo_u32 v6, v1, s20
	v_mul_lo_u32 v7, v0, s21
	v_mad_u64_u32 v[4:5], s[2:3], v0, s20, 0
	v_add3_u32 v5, v5, v7, v6
	v_pk_mul_f32 v[10:11], v[34:35], s[0:1] op_sel_hi:[0,1]
	v_lshl_add_u64 v[4:5], v[4:5], 3, s[8:9]
	v_lshlrev_b64 v[6:7], 3, v[2:3]
	v_pk_fma_f32 v[12:13], v[32:33], s[0:1], v[10:11] op_sel:[0,1,0] op_sel_hi:[1,0,1] neg_lo:[0,0,1] neg_hi:[0,0,1]
	v_pk_fma_f32 v[10:11], v[32:33], s[0:1], v[10:11] op_sel:[0,1,0] op_sel_hi:[0,0,1]
	v_lshl_add_u64 v[8:9], v[4:5], 0, v[6:7]
	v_mov_b32_e32 v13, v11
	v_pk_mul_f32 v[10:11], v[30:31], s[0:1] op_sel_hi:[0,1]
	global_store_dwordx2 v[8:9], v[12:13], off
	v_pk_fma_f32 v[12:13], v[28:29], s[0:1], v[10:11] op_sel:[0,1,0] op_sel_hi:[1,0,1] neg_lo:[0,0,1] neg_hi:[0,0,1]
	v_pk_fma_f32 v[10:11], v[28:29], s[0:1], v[10:11] op_sel:[0,1,0] op_sel_hi:[0,0,1]
	s_lshl_b64 s[2:3], s[20:21], 7
	v_mov_b32_e32 v13, v11
	v_lshl_add_u64 v[4:5], v[4:5], 0, s[2:3]
	global_store_dwordx2 v[8:9], v[12:13], off offset:128
	v_lshl_add_u64 v[8:9], v[4:5], 0, v[6:7]
	v_mov_b32_e32 v4, v23
	v_pk_mul_f32 v[4:5], v[4:5], s[0:1] op_sel_hi:[0,1]
	v_pk_fma_f32 v[6:7], v[22:23], s[0:1], v[4:5] op_sel:[0,1,0] op_sel_hi:[1,0,1] neg_lo:[0,0,1] neg_hi:[0,0,1]
	v_pk_fma_f32 v[4:5], v[22:23], s[0:1], v[4:5] op_sel:[0,1,0] op_sel_hi:[0,0,1]
	v_mov_b32_e32 v7, v5
	v_mul_f32_e32 v4, s1, v20
	global_store_dwordx2 v[8:9], v[6:7], off
	v_fma_f32 v7, -v21, s0, v4
	v_pk_mul_f32 v[4:5], v[20:21], s[0:1]
	s_mov_b64 s[2:3], 0x80
	v_add_f32_e32 v6, v4, v5
	v_lshl_add_u64 v[4:5], v[8:9], 0, s[2:3]
	global_store_dword v[8:9], v7, off offset:128
	s_cbranch_execz .LBB105_6
	s_branch .LBB105_7
.LBB105_5:
                                        ; implicit-def: $vgpr6
                                        ; implicit-def: $vgpr4_vgpr5
.LBB105_6:
	s_mul_i32 s2, s17, s4
	s_mul_hi_u32 s3, s16, s4
	s_add_i32 s3, s3, s2
	s_mul_i32 s2, s16, s4
	s_lshl_b64 s[2:3], s[2:3], 3
	s_add_u32 s2, s12, s2
	v_mul_lo_u32 v6, v1, s14
	v_mul_lo_u32 v7, v0, s15
	v_mad_u64_u32 v[4:5], s[4:5], v0, s14, 0
	s_addc_u32 s3, s13, s3
	v_add3_u32 v5, v5, v7, v6
	v_lshl_add_u64 v[4:5], v[4:5], 3, s[2:3]
	v_lshlrev_b64 v[2:3], 3, v[2:3]
	v_lshl_add_u64 v[6:7], v[4:5], 0, v[2:3]
	global_load_dwordx2 v[8:9], v[6:7], off
	v_mul_lo_u32 v12, v1, s20
	v_mul_lo_u32 v13, v0, s21
	v_mad_u64_u32 v[0:1], s[2:3], v0, s20, 0
	s_mov_b32 s2, s7
	v_pk_mul_f32 v[10:11], v[34:35], s[0:1] op_sel_hi:[0,1]
	v_add3_u32 v1, v1, v13, v12
	v_pk_fma_f32 v[12:13], v[32:33], s[0:1], v[10:11] op_sel:[0,1,0] op_sel_hi:[1,0,1] neg_lo:[0,0,1] neg_hi:[0,0,1]
	v_pk_fma_f32 v[10:11], v[32:33], s[0:1], v[10:11] op_sel:[0,1,0] op_sel_hi:[0,0,1]
	v_lshl_add_u64 v[0:1], v[0:1], 3, s[8:9]
	v_mov_b32_e32 v13, v11
	v_lshl_add_u64 v[10:11], v[0:1], 0, v[2:3]
	s_lshl_b64 s[4:5], s[14:15], 7
	v_lshl_add_u64 v[4:5], v[4:5], 0, s[4:5]
	v_lshl_add_u64 v[4:5], v[4:5], 0, v[2:3]
	s_lshl_b64 s[4:5], s[20:21], 7
	v_lshl_add_u64 v[0:1], v[0:1], 0, s[4:5]
	v_lshl_add_u64 v[0:1], v[0:1], 0, v[2:3]
	s_mov_b32 s11, s6
	s_waitcnt vmcnt(0)
	v_pk_mul_f32 v[14:15], v[8:9], s[2:3] op_sel_hi:[1,0]
	s_nop 0
	v_pk_fma_f32 v[16:17], v[8:9], s[6:7], v[14:15] op_sel:[0,0,1] op_sel_hi:[1,1,0] neg_lo:[0,0,1] neg_hi:[0,0,1]
	v_pk_fma_f32 v[8:9], v[8:9], s[6:7], v[14:15] op_sel:[0,0,1] op_sel_hi:[1,0,0]
	s_nop 0
	v_mov_b32_e32 v17, v9
	v_pk_add_f32 v[8:9], v[12:13], v[16:17]
	global_store_dwordx2 v[10:11], v[8:9], off
	global_load_dwordx2 v[6:7], v[6:7], off offset:128
	v_pk_mul_f32 v[8:9], v[30:31], s[0:1] op_sel_hi:[0,1]
	v_pk_fma_f32 v[12:13], v[28:29], s[0:1], v[8:9] op_sel:[0,1,0] op_sel_hi:[1,0,1] neg_lo:[0,0,1] neg_hi:[0,0,1]
	v_pk_fma_f32 v[8:9], v[28:29], s[0:1], v[8:9] op_sel:[0,1,0] op_sel_hi:[0,0,1]
	v_mov_b32_e32 v13, v9
	s_waitcnt vmcnt(0)
	v_pk_mul_f32 v[8:9], v[6:7], s[2:3] op_sel_hi:[1,0]
	s_nop 0
	v_pk_fma_f32 v[14:15], v[6:7], s[6:7], v[8:9] op_sel:[0,0,1] op_sel_hi:[1,1,0] neg_lo:[0,0,1] neg_hi:[0,0,1]
	v_pk_fma_f32 v[6:7], v[6:7], s[6:7], v[8:9] op_sel:[0,0,1] op_sel_hi:[1,0,0]
	v_mov_b32_e32 v8, v23
	v_mov_b32_e32 v15, v7
	v_pk_add_f32 v[6:7], v[12:13], v[14:15]
	global_store_dwordx2 v[10:11], v[6:7], off offset:128
	global_load_dwordx2 v[6:7], v[4:5], off
	v_pk_mul_f32 v[8:9], v[8:9], s[0:1] op_sel_hi:[0,1]
	v_pk_fma_f32 v[10:11], v[22:23], s[0:1], v[8:9] op_sel:[0,1,0] op_sel_hi:[1,0,1] neg_lo:[0,0,1] neg_hi:[0,0,1]
	v_pk_fma_f32 v[8:9], v[22:23], s[0:1], v[8:9] op_sel:[0,1,0] op_sel_hi:[0,0,1]
	v_mov_b32_e32 v11, v9
	s_waitcnt vmcnt(0)
	v_pk_mul_f32 v[2:3], v[6:7], s[2:3] op_sel_hi:[1,0]
	s_nop 0
	v_pk_fma_f32 v[8:9], v[6:7], s[6:7], v[2:3] op_sel:[0,0,1] op_sel_hi:[1,1,0] neg_lo:[0,0,1] neg_hi:[0,0,1]
	v_pk_fma_f32 v[2:3], v[6:7], s[6:7], v[2:3] op_sel:[0,0,1] op_sel_hi:[1,0,0]
	v_mov_b32_e32 v6, v20
	v_mov_b32_e32 v9, v3
	v_pk_add_f32 v[2:3], v[10:11], v[8:9]
	global_store_dwordx2 v[0:1], v[2:3], off
	global_load_dwordx2 v[2:3], v[4:5], off offset:128
	v_mul_f32_e32 v4, s1, v20
	s_mov_b32 s1, s7
	s_mov_b64 s[2:3], 0x80
	v_fma_f32 v8, -v21, s0, v4
	v_lshl_add_u64 v[4:5], v[0:1], 0, s[2:3]
	s_waitcnt vmcnt(0)
	v_mul_f32_e32 v9, s7, v3
	v_mov_b32_e32 v7, v2
	v_fma_f32 v9, v2, s6, -v9
	v_mov_b32_e32 v2, v21
	v_pk_mul_f32 v[2:3], v[2:3], s[10:11]
	v_add_f32_e32 v8, v8, v9
	v_pk_fma_f32 v[2:3], v[6:7], s[0:1], v[2:3]
	global_store_dword v[0:1], v8, off offset:128
	v_add_f32_e32 v6, v2, v3
.LBB105_7:
	global_store_dword v[4:5], v6, off offset:4
	s_endpgm
	.section	.rodata,"a",@progbits
	.p2align	6, 0x0
	.amdhsa_kernel _ZN12_GLOBAL__N_127rocblas_gemm_batched_kernelI19rocblas_complex_numIfELi16ELi16ELi32ELi32ELi8ELi32ELi8ELi8ELi32ELc78ELc67EKS2_S3_S2_EEvlllT_PT11_llS6_llS4_PT12_llPT13_lli
		.amdhsa_group_segment_fixed_size 4096
		.amdhsa_private_segment_fixed_size 0
		.amdhsa_kernarg_size 140
		.amdhsa_user_sgpr_count 2
		.amdhsa_user_sgpr_dispatch_ptr 0
		.amdhsa_user_sgpr_queue_ptr 0
		.amdhsa_user_sgpr_kernarg_segment_ptr 1
		.amdhsa_user_sgpr_dispatch_id 0
		.amdhsa_user_sgpr_kernarg_preload_length 0
		.amdhsa_user_sgpr_kernarg_preload_offset 0
		.amdhsa_user_sgpr_private_segment_size 0
		.amdhsa_uses_dynamic_stack 0
		.amdhsa_enable_private_segment 0
		.amdhsa_system_sgpr_workgroup_id_x 1
		.amdhsa_system_sgpr_workgroup_id_y 1
		.amdhsa_system_sgpr_workgroup_id_z 1
		.amdhsa_system_sgpr_workgroup_info 0
		.amdhsa_system_vgpr_workitem_id 1
		.amdhsa_next_free_vgpr 102
		.amdhsa_next_free_sgpr 28
		.amdhsa_accum_offset 104
		.amdhsa_reserve_vcc 1
		.amdhsa_float_round_mode_32 0
		.amdhsa_float_round_mode_16_64 0
		.amdhsa_float_denorm_mode_32 3
		.amdhsa_float_denorm_mode_16_64 3
		.amdhsa_dx10_clamp 1
		.amdhsa_ieee_mode 1
		.amdhsa_fp16_overflow 0
		.amdhsa_tg_split 0
		.amdhsa_exception_fp_ieee_invalid_op 0
		.amdhsa_exception_fp_denorm_src 0
		.amdhsa_exception_fp_ieee_div_zero 0
		.amdhsa_exception_fp_ieee_overflow 0
		.amdhsa_exception_fp_ieee_underflow 0
		.amdhsa_exception_fp_ieee_inexact 0
		.amdhsa_exception_int_div_zero 0
	.end_amdhsa_kernel
	.section	.text._ZN12_GLOBAL__N_127rocblas_gemm_batched_kernelI19rocblas_complex_numIfELi16ELi16ELi32ELi32ELi8ELi32ELi8ELi8ELi32ELc78ELc67EKS2_S3_S2_EEvlllT_PT11_llS6_llS4_PT12_llPT13_lli,"axG",@progbits,_ZN12_GLOBAL__N_127rocblas_gemm_batched_kernelI19rocblas_complex_numIfELi16ELi16ELi32ELi32ELi8ELi32ELi8ELi8ELi32ELc78ELc67EKS2_S3_S2_EEvlllT_PT11_llS6_llS4_PT12_llPT13_lli,comdat
.Lfunc_end105:
	.size	_ZN12_GLOBAL__N_127rocblas_gemm_batched_kernelI19rocblas_complex_numIfELi16ELi16ELi32ELi32ELi8ELi32ELi8ELi8ELi32ELc78ELc67EKS2_S3_S2_EEvlllT_PT11_llS6_llS4_PT12_llPT13_lli, .Lfunc_end105-_ZN12_GLOBAL__N_127rocblas_gemm_batched_kernelI19rocblas_complex_numIfELi16ELi16ELi32ELi32ELi8ELi32ELi8ELi8ELi32ELc78ELc67EKS2_S3_S2_EEvlllT_PT11_llS6_llS4_PT12_llPT13_lli
                                        ; -- End function
	.set _ZN12_GLOBAL__N_127rocblas_gemm_batched_kernelI19rocblas_complex_numIfELi16ELi16ELi32ELi32ELi8ELi32ELi8ELi8ELi32ELc78ELc67EKS2_S3_S2_EEvlllT_PT11_llS6_llS4_PT12_llPT13_lli.num_vgpr, 102
	.set _ZN12_GLOBAL__N_127rocblas_gemm_batched_kernelI19rocblas_complex_numIfELi16ELi16ELi32ELi32ELi8ELi32ELi8ELi8ELi32ELc78ELc67EKS2_S3_S2_EEvlllT_PT11_llS6_llS4_PT12_llPT13_lli.num_agpr, 0
	.set _ZN12_GLOBAL__N_127rocblas_gemm_batched_kernelI19rocblas_complex_numIfELi16ELi16ELi32ELi32ELi8ELi32ELi8ELi8ELi32ELc78ELc67EKS2_S3_S2_EEvlllT_PT11_llS6_llS4_PT12_llPT13_lli.numbered_sgpr, 28
	.set _ZN12_GLOBAL__N_127rocblas_gemm_batched_kernelI19rocblas_complex_numIfELi16ELi16ELi32ELi32ELi8ELi32ELi8ELi8ELi32ELc78ELc67EKS2_S3_S2_EEvlllT_PT11_llS6_llS4_PT12_llPT13_lli.num_named_barrier, 0
	.set _ZN12_GLOBAL__N_127rocblas_gemm_batched_kernelI19rocblas_complex_numIfELi16ELi16ELi32ELi32ELi8ELi32ELi8ELi8ELi32ELc78ELc67EKS2_S3_S2_EEvlllT_PT11_llS6_llS4_PT12_llPT13_lli.private_seg_size, 0
	.set _ZN12_GLOBAL__N_127rocblas_gemm_batched_kernelI19rocblas_complex_numIfELi16ELi16ELi32ELi32ELi8ELi32ELi8ELi8ELi32ELc78ELc67EKS2_S3_S2_EEvlllT_PT11_llS6_llS4_PT12_llPT13_lli.uses_vcc, 1
	.set _ZN12_GLOBAL__N_127rocblas_gemm_batched_kernelI19rocblas_complex_numIfELi16ELi16ELi32ELi32ELi8ELi32ELi8ELi8ELi32ELc78ELc67EKS2_S3_S2_EEvlllT_PT11_llS6_llS4_PT12_llPT13_lli.uses_flat_scratch, 0
	.set _ZN12_GLOBAL__N_127rocblas_gemm_batched_kernelI19rocblas_complex_numIfELi16ELi16ELi32ELi32ELi8ELi32ELi8ELi8ELi32ELc78ELc67EKS2_S3_S2_EEvlllT_PT11_llS6_llS4_PT12_llPT13_lli.has_dyn_sized_stack, 0
	.set _ZN12_GLOBAL__N_127rocblas_gemm_batched_kernelI19rocblas_complex_numIfELi16ELi16ELi32ELi32ELi8ELi32ELi8ELi8ELi32ELc78ELc67EKS2_S3_S2_EEvlllT_PT11_llS6_llS4_PT12_llPT13_lli.has_recursion, 0
	.set _ZN12_GLOBAL__N_127rocblas_gemm_batched_kernelI19rocblas_complex_numIfELi16ELi16ELi32ELi32ELi8ELi32ELi8ELi8ELi32ELc78ELc67EKS2_S3_S2_EEvlllT_PT11_llS6_llS4_PT12_llPT13_lli.has_indirect_call, 0
	.section	.AMDGPU.csdata,"",@progbits
; Kernel info:
; codeLenInByte = 2500
; TotalNumSgprs: 34
; NumVgprs: 102
; NumAgprs: 0
; TotalNumVgprs: 102
; ScratchSize: 0
; MemoryBound: 0
; FloatMode: 240
; IeeeMode: 1
; LDSByteSize: 4096 bytes/workgroup (compile time only)
; SGPRBlocks: 4
; VGPRBlocks: 12
; NumSGPRsForWavesPerEU: 34
; NumVGPRsForWavesPerEU: 102
; AccumOffset: 104
; Occupancy: 4
; WaveLimiterHint : 1
; COMPUTE_PGM_RSRC2:SCRATCH_EN: 0
; COMPUTE_PGM_RSRC2:USER_SGPR: 2
; COMPUTE_PGM_RSRC2:TRAP_HANDLER: 0
; COMPUTE_PGM_RSRC2:TGID_X_EN: 1
; COMPUTE_PGM_RSRC2:TGID_Y_EN: 1
; COMPUTE_PGM_RSRC2:TGID_Z_EN: 1
; COMPUTE_PGM_RSRC2:TIDIG_COMP_CNT: 1
; COMPUTE_PGM_RSRC3_GFX90A:ACCUM_OFFSET: 25
; COMPUTE_PGM_RSRC3_GFX90A:TG_SPLIT: 0
	.section	.text._ZN12_GLOBAL__N_127rocblas_gemm_batched_kernelI19rocblas_complex_numIfELi16ELi16ELi32ELi32ELi8ELi32ELi8ELi8ELi32ELc84ELc67EKS2_S3_S2_EEvlllT_PT11_llS6_llS4_PT12_llPT13_lli,"axG",@progbits,_ZN12_GLOBAL__N_127rocblas_gemm_batched_kernelI19rocblas_complex_numIfELi16ELi16ELi32ELi32ELi8ELi32ELi8ELi8ELi32ELc84ELc67EKS2_S3_S2_EEvlllT_PT11_llS6_llS4_PT12_llPT13_lli,comdat
	.globl	_ZN12_GLOBAL__N_127rocblas_gemm_batched_kernelI19rocblas_complex_numIfELi16ELi16ELi32ELi32ELi8ELi32ELi8ELi8ELi32ELc84ELc67EKS2_S3_S2_EEvlllT_PT11_llS6_llS4_PT12_llPT13_lli ; -- Begin function _ZN12_GLOBAL__N_127rocblas_gemm_batched_kernelI19rocblas_complex_numIfELi16ELi16ELi32ELi32ELi8ELi32ELi8ELi8ELi32ELc84ELc67EKS2_S3_S2_EEvlllT_PT11_llS6_llS4_PT12_llPT13_lli
	.p2align	8
	.type	_ZN12_GLOBAL__N_127rocblas_gemm_batched_kernelI19rocblas_complex_numIfELi16ELi16ELi32ELi32ELi8ELi32ELi8ELi8ELi32ELc84ELc67EKS2_S3_S2_EEvlllT_PT11_llS6_llS4_PT12_llPT13_lli,@function
_ZN12_GLOBAL__N_127rocblas_gemm_batched_kernelI19rocblas_complex_numIfELi16ELi16ELi32ELi32ELi8ELi32ELi8ELi8ELi32ELc84ELc67EKS2_S3_S2_EEvlllT_PT11_llS6_llS4_PT12_llPT13_lli: ; @_ZN12_GLOBAL__N_127rocblas_gemm_batched_kernelI19rocblas_complex_numIfELi16ELi16ELi32ELi32ELi8ELi32ELi8ELi8ELi32ELc84ELc67EKS2_S3_S2_EEvlllT_PT11_llS6_llS4_PT12_llPT13_lli
; %bb.0:
	s_load_dwordx16 s[8:23], s[0:1], 0x10
	s_load_dwordx2 s[6:7], s[0:1], 0x50
	s_mov_b32 s24, s3
	v_mov_b32_e32 v27, 0
	s_ashr_i32 s3, s2, 31
	s_ashr_i32 s25, s24, 31
	s_waitcnt lgkmcnt(0)
	v_cmp_lt_i64_e64 s[26:27], s[8:9], 1
	v_bfe_u32 v26, v0, 10, 10
	v_and_b32_e32 v24, 0x3ff, v0
	v_mov_b32_e32 v25, v27
	s_lshl_b64 s[2:3], s[2:3], 5
	s_lshl_b64 s[24:25], s[24:25], 5
	s_and_b64 vcc, exec, s[26:27]
	v_mov_b32_e32 v21, v27
	v_mov_b32_e32 v20, v27
	;; [unrolled: 1-line block ×8, first 2 shown]
	s_cbranch_vccnz .LBB106_3
; %bb.1:
	v_lshl_add_u32 v4, v26, 4, v24
	v_lshrrev_b32_e32 v22, 3, v4
	v_mov_b32_e32 v23, 0
	v_lshl_add_u64 v[0:1], v[22:23], 0, s[24:25]
	v_and_b32_e32 v5, 7, v24
	v_mad_u64_u32 v[0:1], s[26:27], s20, v5, v[0:1]
	v_mov_b32_e32 v2, v1
	v_mad_u64_u32 v[2:3], s[26:27], s21, v5, v[2:3]
	v_lshlrev_b32_e32 v5, 3, v5
	v_mov_b32_e32 v1, v2
	v_and_b32_e32 v2, 31, v4
	v_mov_b32_e32 v3, v23
	v_lshl_or_b32 v5, v22, 6, v5
	v_lshrrev_b32_e32 v4, 5, v4
	v_lshlrev_b32_e32 v6, 3, v2
	v_add_u32_e32 v31, 0x800, v5
	v_mov_b32_e32 v5, 0x800
	v_lshl_add_u64 v[2:3], s[2:3], 0, v[2:3]
	v_lshl_or_b32 v29, v4, 8, v6
	v_lshl_add_u32 v35, v26, 6, v5
	v_mul_lo_u32 v5, s15, v2
	v_mul_lo_u32 v6, s14, v3
	v_mad_u64_u32 v[2:3], s[14:15], s14, v2, 0
	s_mul_i32 s5, s17, s4
	s_mul_hi_u32 s14, s16, s4
	s_add_i32 s15, s14, s5
	s_mul_i32 s14, s16, s4
	v_add3_u32 v3, v3, v6, v5
	s_lshl_b64 s[14:15], s[14:15], 3
	v_lshl_add_u64 v[2:3], v[2:3], 3, s[14:15]
	v_lshlrev_b32_e32 v22, 3, v4
	v_lshl_add_u64 v[2:3], v[2:3], 0, v[22:23]
	v_lshl_add_u64 v[36:37], s[12:13], 0, v[2:3]
	s_mul_i32 s5, s23, s4
	s_mul_hi_u32 s12, s22, s4
	s_add_i32 s13, s12, s5
	s_mul_i32 s12, s22, s4
	s_lshl_b64 s[12:13], s[12:13], 3
	s_add_u32 s12, s18, s12
	s_addc_u32 s13, s19, s13
	v_lshl_add_u64 v[0:1], v[0:1], 3, s[12:13]
	v_lshlrev_b32_e32 v33, 3, v24
	v_lshl_add_u64 v[38:39], v[0:1], 0, 4
	s_lshl_b64 s[12:13], s[20:21], 6
	s_mov_b64 s[14:15], 0
	v_mov_b64_e32 v[40:41], s[8:9]
	v_mov_b32_e32 v22, v23
	v_mov_b32_e32 v30, v23
	;; [unrolled: 1-line block ×7, first 2 shown]
.LBB106_2:                              ; =>This Inner Loop Header: Depth=1
	global_load_dwordx2 v[0:1], v[36:37], off
	global_load_dwordx2 v[2:3], v[38:39], off offset:-4
	s_add_u32 s14, s14, 8
	s_addc_u32 s15, s15, 0
	v_cmp_lt_i64_e32 vcc, s[14:15], v[40:41]
	v_lshl_add_u64 v[36:37], v[36:37], 0, 64
	v_lshl_add_u64 v[38:39], v[38:39], 0, s[12:13]
	s_and_b64 vcc, exec, vcc
	s_waitcnt vmcnt(1)
	ds_write_b64 v29, v[0:1]
	s_waitcnt vmcnt(0)
	v_xor_b32_e32 v3, 0x80000000, v3
	ds_write_b64 v31, v[2:3]
	s_waitcnt lgkmcnt(0)
	s_barrier
	ds_read2_b64 v[4:7], v33 offset1:16
	ds_read_b128 v[8:11], v35
	ds_read_b128 v[0:3], v35 offset:16
	ds_read2_b64 v[12:15], v33 offset0:32 offset1:48
	ds_read_b128 v[16:19], v35 offset:1024
	ds_read_b128 v[42:45], v35 offset:1040
	ds_read2_b64 v[46:49], v33 offset0:64 offset1:80
	ds_read2_b64 v[50:53], v33 offset0:96 offset1:112
	;; [unrolled: 1-line block ×4, first 2 shown]
	ds_read_b128 v[62:65], v35 offset:1056
	ds_read_b128 v[66:69], v35 offset:32
	;; [unrolled: 1-line block ×3, first 2 shown]
	s_waitcnt lgkmcnt(11)
	v_mul_f32_e32 v78, v9, v5
	v_mul_f32_e32 v80, v8, v5
	;; [unrolled: 1-line block ×4, first 2 shown]
	s_waitcnt lgkmcnt(9)
	v_mul_f32_e32 v82, v11, v13
	v_mul_f32_e32 v83, v10, v13
	;; [unrolled: 1-line block ×4, first 2 shown]
	s_waitcnt lgkmcnt(8)
	v_mul_f32_e32 v86, v17, v5
	v_mul_f32_e32 v87, v16, v5
	v_pk_mul_f32 v[74:75], v[16:17], v[6:7] op_sel:[1,1] op_sel_hi:[0,1]
	v_mul_f32_e32 v5, v19, v13
	v_mul_f32_e32 v88, v18, v13
	v_pk_mul_f32 v[76:77], v[18:19], v[14:15] op_sel:[1,1] op_sel_hi:[0,1]
	v_fma_f32 v89, v8, v4, -v78
	v_fmac_f32_e32 v80, v9, v4
	v_fma_f32 v90, v8, v6, -v79
	v_fmac_f32_e32 v81, v9, v6
	;; [unrolled: 2-line block ×5, first 2 shown]
	v_pk_fma_f32 v[78:79], v[16:17], v[6:7], v[74:75] neg_lo:[0,0,1] neg_hi:[0,0,1]
	v_pk_fma_f32 v[16:17], v[16:17], v[6:7], v[74:75] op_sel_hi:[1,0,1]
	v_fma_f32 v74, v18, v12, -v5
	v_fmac_f32_e32 v88, v19, v12
	v_pk_fma_f32 v[12:13], v[18:19], v[14:15], v[76:77] neg_lo:[0,0,1] neg_hi:[0,0,1]
	v_pk_fma_f32 v[14:15], v[18:19], v[14:15], v[76:77] op_sel_hi:[1,0,1]
	s_waitcnt lgkmcnt(5)
	v_mul_f32_e32 v7, v3, v51
	v_mul_f32_e32 v9, v3, v53
	;; [unrolled: 1-line block ×4, first 2 shown]
	v_pk_mul_f32 v[4:5], v[42:43], v[48:49] op_sel:[1,1] op_sel_hi:[0,1]
	v_mul_f32_e32 v8, v1, v47
	v_mul_f32_e32 v91, v0, v47
	;; [unrolled: 1-line block ×6, first 2 shown]
	v_fma_f32 v93, v2, v50, -v7
	v_fma_f32 v94, v2, v52, -v9
	v_mul_f32_e32 v2, v45, v51
	v_fma_f32 v96, v42, v46, -v10
	v_fmac_f32_e32 v76, v43, v46
	v_pk_fma_f32 v[18:19], v[42:43], v[48:49], v[4:5] neg_lo:[0,0,1] neg_hi:[0,0,1]
	v_pk_fma_f32 v[42:43], v[42:43], v[48:49], v[4:5] op_sel_hi:[1,0,1]
	s_waitcnt lgkmcnt(1)
	v_mul_f32_e32 v98, v68, v59
	v_mul_f32_e32 v99, v68, v61
	;; [unrolled: 1-line block ×3, first 2 shown]
	v_fma_f32 v77, v0, v46, -v8
	v_fmac_f32_e32 v91, v1, v46
	v_fma_f32 v92, v0, v48, -v6
	v_fmac_f32_e32 v16, v1, v48
	v_fmac_f32_e32 v14, v3, v50
	;; [unrolled: 1-line block ×3, first 2 shown]
	v_mul_f32_e32 v95, v44, v51
	v_pk_mul_f32 v[0:1], v[44:45], v[52:53] op_sel:[1,1] op_sel_hi:[0,1]
	v_fma_f32 v42, v44, v50, -v2
	v_mul_f32_e32 v2, v69, v59
	v_mul_f32_e32 v3, v69, v61
	v_fmac_f32_e32 v98, v69, v58
	v_fmac_f32_e32 v99, v69, v60
	v_fma_f32 v69, v62, v54, -v4
	v_pk_mul_f32 v[4:5], v[62:63], v[56:57] op_sel:[1,1] op_sel_hi:[0,1]
	v_fmac_f32_e32 v95, v45, v50
	v_pk_fma_f32 v[46:47], v[44:45], v[52:53], v[0:1] neg_lo:[0,0,1] neg_hi:[0,0,1]
	v_pk_fma_f32 v[44:45], v[44:45], v[52:53], v[0:1] op_sel_hi:[1,0,1]
	v_pk_fma_f32 v[48:49], v[62:63], v[56:57], v[4:5] neg_lo:[0,0,1] neg_hi:[0,0,1]
	v_pk_fma_f32 v[50:51], v[62:63], v[56:57], v[4:5] op_sel_hi:[1,0,1]
	v_mul_f32_e32 v4, v65, v59
	v_mul_f32_e32 v0, v67, v55
	;; [unrolled: 1-line block ×4, first 2 shown]
	v_fma_f32 v50, v64, v58, -v4
	v_pk_mul_f32 v[4:5], v[64:65], v[60:61] op_sel:[1,1] op_sel_hi:[0,1]
	v_fma_f32 v100, v66, v54, -v0
	v_fmac_f32_e32 v44, v67, v54
	v_fmac_f32_e32 v101, v63, v54
	v_pk_fma_f32 v[52:53], v[64:65], v[60:61], v[4:5] neg_lo:[0,0,1] neg_hi:[0,0,1]
	v_pk_fma_f32 v[54:55], v[64:65], v[60:61], v[4:5] op_sel_hi:[1,0,1]
	ds_read2_b64 v[4:7], v33 offset0:192 offset1:208
	v_mul_f32_e32 v97, v66, v57
	v_mul_f32_e32 v1, v67, v57
	v_fmac_f32_e32 v97, v67, v56
	v_fma_f32 v67, v68, v58, -v2
	s_waitcnt lgkmcnt(0)
	v_mul_f32_e32 v8, v71, v5
	v_fma_f32 v54, v70, v4, -v8
	v_mul_f32_e32 v8, v71, v7
	v_fma_f32 v68, v68, v60, -v3
	v_fma_f32 v60, v70, v6, -v8
	ds_read2_b64 v[8:11], v33 offset0:224 offset1:240
	v_fma_f32 v66, v66, v56, -v1
	ds_read_b128 v[0:3], v35 offset:1072
	v_mul_f32_e32 v59, v64, v59
	v_fmac_f32_e32 v59, v65, v58
	s_waitcnt lgkmcnt(1)
	v_mul_f32_e32 v13, v73, v9
	v_mul_f32_e32 v58, v70, v5
	;; [unrolled: 1-line block ×3, first 2 shown]
	v_fma_f32 v62, v72, v8, -v13
	v_mul_f32_e32 v13, v73, v11
	v_fmac_f32_e32 v58, v71, v4
	v_fmac_f32_e32 v61, v71, v6
	v_fma_f32 v64, v72, v10, -v13
	s_waitcnt lgkmcnt(0)
	v_mul_f32_e32 v13, v1, v5
	v_mul_f32_e32 v71, v0, v5
	v_fma_f32 v70, v0, v4, -v13
	v_fmac_f32_e32 v71, v1, v4
	v_pk_mul_f32 v[4:5], v[0:1], v[6:7] op_sel:[1,1] op_sel_hi:[0,1]
	v_pk_fma_f32 v[56:57], v[0:1], v[6:7], v[4:5] neg_lo:[0,0,1] neg_hi:[0,0,1]
	v_pk_fma_f32 v[0:1], v[0:1], v[6:7], v[4:5] op_sel_hi:[1,0,1]
	v_mul_f32_e32 v63, v72, v9
	v_mul_f32_e32 v0, v3, v9
	;; [unrolled: 1-line block ×3, first 2 shown]
	v_pk_mul_f32 v[4:5], v[2:3], v[10:11] op_sel:[1,1] op_sel_hi:[0,1]
	v_mul_f32_e32 v65, v72, v11
	v_fma_f32 v72, v2, v8, -v0
	v_fmac_f32_e32 v9, v3, v8
	v_pk_fma_f32 v[6:7], v[2:3], v[10:11], v[4:5] neg_lo:[0,0,1] neg_hi:[0,0,1]
	v_pk_fma_f32 v[2:3], v[2:3], v[10:11], v[4:5] op_sel_hi:[1,0,1]
	v_mov_b32_e32 v79, v17
	v_fmac_f32_e32 v63, v73, v8
	v_fmac_f32_e32 v65, v73, v10
	v_add_f32_e32 v2, v32, v89
	v_add_f32_e32 v4, v34, v80
	;; [unrolled: 1-line block ×6, first 2 shown]
	v_mov_b32_e32 v13, v15
	v_mov_b32_e32 v57, v1
	v_pk_add_f32 v[0:1], v[20:21], v[78:79]
	v_mov_b32_e32 v19, v43
	v_mov_b32_e32 v7, v3
	v_add_f32_e32 v2, v2, v82
	v_add_f32_e32 v3, v4, v83
	v_add_f32_e32 v4, v5, v84
	v_add_f32_e32 v5, v8, v85
	v_add_f32_e32 v8, v10, v74
	v_add_f32_e32 v10, v11, v88
	v_pk_add_f32 v[0:1], v[0:1], v[12:13]
	v_mov_b32_e32 v47, v45
	v_add_f32_e32 v2, v2, v77
	v_add_f32_e32 v3, v3, v91
	v_add_f32_e32 v4, v4, v92
	v_add_f32_e32 v5, v5, v16
	v_add_f32_e32 v8, v8, v96
	v_add_f32_e32 v10, v10, v76
	v_pk_add_f32 v[0:1], v[0:1], v[18:19]
	;; [unrolled: 8-line block ×4, first 2 shown]
	v_add_f32_e32 v2, v2, v67
	v_add_f32_e32 v3, v3, v98
	v_add_f32_e32 v4, v4, v68
	v_add_f32_e32 v5, v5, v99
	v_add_f32_e32 v8, v8, v50
	v_add_f32_e32 v10, v10, v59
	v_pk_add_f32 v[0:1], v[0:1], v[52:53]
	v_add_f32_e32 v2, v2, v54
	v_add_f32_e32 v3, v3, v58
	v_add_f32_e32 v4, v4, v60
	v_add_f32_e32 v5, v5, v61
	v_add_f32_e32 v8, v8, v70
	v_add_f32_e32 v10, v10, v71
	v_pk_add_f32 v[0:1], v[0:1], v[56:57]
	;; [unrolled: 7-line block ×3, first 2 shown]
	s_barrier
	s_cbranch_vccnz .LBB106_2
.LBB106_3:
	s_load_dwordx4 s[20:23], s[0:1], 0x78
	s_load_dwordx8 s[12:19], s[0:1], 0x58
	v_lshl_add_u64 v[0:1], s[24:25], 0, v[26:27]
	v_lshl_add_u64 v[2:3], s[2:3], 0, v[24:25]
	s_waitcnt lgkmcnt(0)
	s_mul_i32 s1, s23, s4
	s_mul_hi_u32 s5, s22, s4
	s_mul_i32 s0, s22, s4
	s_add_i32 s1, s5, s1
	s_lshl_b64 s[0:1], s[0:1], 3
	s_add_u32 s8, s18, s0
	s_addc_u32 s9, s19, s1
	s_or_b32 s0, s6, s7
	s_bitset0_b32 s0, 31
	s_cmp_lg_u32 s0, 0
	s_mov_b32 s0, s11
	s_mov_b32 s1, s10
	s_cbranch_scc1 .LBB106_5
; %bb.4:
	v_mul_lo_u32 v6, v1, s20
	v_mul_lo_u32 v7, v0, s21
	v_mad_u64_u32 v[4:5], s[2:3], v0, s20, 0
	v_add3_u32 v5, v5, v7, v6
	v_pk_mul_f32 v[10:11], v[34:35], s[0:1] op_sel_hi:[0,1]
	v_lshl_add_u64 v[4:5], v[4:5], 3, s[8:9]
	v_lshlrev_b64 v[6:7], 3, v[2:3]
	v_pk_fma_f32 v[12:13], v[32:33], s[0:1], v[10:11] op_sel:[0,1,0] op_sel_hi:[1,0,1] neg_lo:[0,0,1] neg_hi:[0,0,1]
	v_pk_fma_f32 v[10:11], v[32:33], s[0:1], v[10:11] op_sel:[0,1,0] op_sel_hi:[0,0,1]
	v_lshl_add_u64 v[8:9], v[4:5], 0, v[6:7]
	v_mov_b32_e32 v13, v11
	v_pk_mul_f32 v[10:11], v[30:31], s[0:1] op_sel_hi:[0,1]
	global_store_dwordx2 v[8:9], v[12:13], off
	v_pk_fma_f32 v[12:13], v[28:29], s[0:1], v[10:11] op_sel:[0,1,0] op_sel_hi:[1,0,1] neg_lo:[0,0,1] neg_hi:[0,0,1]
	v_pk_fma_f32 v[10:11], v[28:29], s[0:1], v[10:11] op_sel:[0,1,0] op_sel_hi:[0,0,1]
	s_lshl_b64 s[2:3], s[20:21], 7
	v_mov_b32_e32 v13, v11
	v_lshl_add_u64 v[4:5], v[4:5], 0, s[2:3]
	global_store_dwordx2 v[8:9], v[12:13], off offset:128
	v_lshl_add_u64 v[8:9], v[4:5], 0, v[6:7]
	v_mov_b32_e32 v4, v23
	v_pk_mul_f32 v[4:5], v[4:5], s[0:1] op_sel_hi:[0,1]
	v_pk_fma_f32 v[6:7], v[22:23], s[0:1], v[4:5] op_sel:[0,1,0] op_sel_hi:[1,0,1] neg_lo:[0,0,1] neg_hi:[0,0,1]
	v_pk_fma_f32 v[4:5], v[22:23], s[0:1], v[4:5] op_sel:[0,1,0] op_sel_hi:[0,0,1]
	v_mov_b32_e32 v7, v5
	v_mul_f32_e32 v4, s1, v20
	global_store_dwordx2 v[8:9], v[6:7], off
	v_fma_f32 v7, -v21, s0, v4
	v_pk_mul_f32 v[4:5], v[20:21], s[0:1]
	s_mov_b64 s[2:3], 0x80
	v_add_f32_e32 v6, v4, v5
	v_lshl_add_u64 v[4:5], v[8:9], 0, s[2:3]
	global_store_dword v[8:9], v7, off offset:128
	s_cbranch_execz .LBB106_6
	s_branch .LBB106_7
.LBB106_5:
                                        ; implicit-def: $vgpr6
                                        ; implicit-def: $vgpr4_vgpr5
.LBB106_6:
	s_mul_i32 s2, s17, s4
	s_mul_hi_u32 s3, s16, s4
	s_add_i32 s3, s3, s2
	s_mul_i32 s2, s16, s4
	s_lshl_b64 s[2:3], s[2:3], 3
	s_add_u32 s2, s12, s2
	v_mul_lo_u32 v6, v1, s14
	v_mul_lo_u32 v7, v0, s15
	v_mad_u64_u32 v[4:5], s[4:5], v0, s14, 0
	s_addc_u32 s3, s13, s3
	v_add3_u32 v5, v5, v7, v6
	v_lshl_add_u64 v[4:5], v[4:5], 3, s[2:3]
	v_lshlrev_b64 v[2:3], 3, v[2:3]
	v_lshl_add_u64 v[6:7], v[4:5], 0, v[2:3]
	global_load_dwordx2 v[8:9], v[6:7], off
	v_mul_lo_u32 v12, v1, s20
	v_mul_lo_u32 v13, v0, s21
	v_mad_u64_u32 v[0:1], s[2:3], v0, s20, 0
	s_mov_b32 s2, s7
	v_pk_mul_f32 v[10:11], v[34:35], s[0:1] op_sel_hi:[0,1]
	v_add3_u32 v1, v1, v13, v12
	v_pk_fma_f32 v[12:13], v[32:33], s[0:1], v[10:11] op_sel:[0,1,0] op_sel_hi:[1,0,1] neg_lo:[0,0,1] neg_hi:[0,0,1]
	v_pk_fma_f32 v[10:11], v[32:33], s[0:1], v[10:11] op_sel:[0,1,0] op_sel_hi:[0,0,1]
	v_lshl_add_u64 v[0:1], v[0:1], 3, s[8:9]
	v_mov_b32_e32 v13, v11
	v_lshl_add_u64 v[10:11], v[0:1], 0, v[2:3]
	s_lshl_b64 s[4:5], s[14:15], 7
	v_lshl_add_u64 v[4:5], v[4:5], 0, s[4:5]
	v_lshl_add_u64 v[4:5], v[4:5], 0, v[2:3]
	s_lshl_b64 s[4:5], s[20:21], 7
	v_lshl_add_u64 v[0:1], v[0:1], 0, s[4:5]
	v_lshl_add_u64 v[0:1], v[0:1], 0, v[2:3]
	s_mov_b32 s11, s6
	s_waitcnt vmcnt(0)
	v_pk_mul_f32 v[14:15], v[8:9], s[2:3] op_sel_hi:[1,0]
	s_nop 0
	v_pk_fma_f32 v[16:17], v[8:9], s[6:7], v[14:15] op_sel:[0,0,1] op_sel_hi:[1,1,0] neg_lo:[0,0,1] neg_hi:[0,0,1]
	v_pk_fma_f32 v[8:9], v[8:9], s[6:7], v[14:15] op_sel:[0,0,1] op_sel_hi:[1,0,0]
	s_nop 0
	v_mov_b32_e32 v17, v9
	v_pk_add_f32 v[8:9], v[12:13], v[16:17]
	global_store_dwordx2 v[10:11], v[8:9], off
	global_load_dwordx2 v[6:7], v[6:7], off offset:128
	v_pk_mul_f32 v[8:9], v[30:31], s[0:1] op_sel_hi:[0,1]
	v_pk_fma_f32 v[12:13], v[28:29], s[0:1], v[8:9] op_sel:[0,1,0] op_sel_hi:[1,0,1] neg_lo:[0,0,1] neg_hi:[0,0,1]
	v_pk_fma_f32 v[8:9], v[28:29], s[0:1], v[8:9] op_sel:[0,1,0] op_sel_hi:[0,0,1]
	v_mov_b32_e32 v13, v9
	s_waitcnt vmcnt(0)
	v_pk_mul_f32 v[8:9], v[6:7], s[2:3] op_sel_hi:[1,0]
	s_nop 0
	v_pk_fma_f32 v[14:15], v[6:7], s[6:7], v[8:9] op_sel:[0,0,1] op_sel_hi:[1,1,0] neg_lo:[0,0,1] neg_hi:[0,0,1]
	v_pk_fma_f32 v[6:7], v[6:7], s[6:7], v[8:9] op_sel:[0,0,1] op_sel_hi:[1,0,0]
	v_mov_b32_e32 v8, v23
	v_mov_b32_e32 v15, v7
	v_pk_add_f32 v[6:7], v[12:13], v[14:15]
	global_store_dwordx2 v[10:11], v[6:7], off offset:128
	global_load_dwordx2 v[6:7], v[4:5], off
	v_pk_mul_f32 v[8:9], v[8:9], s[0:1] op_sel_hi:[0,1]
	v_pk_fma_f32 v[10:11], v[22:23], s[0:1], v[8:9] op_sel:[0,1,0] op_sel_hi:[1,0,1] neg_lo:[0,0,1] neg_hi:[0,0,1]
	v_pk_fma_f32 v[8:9], v[22:23], s[0:1], v[8:9] op_sel:[0,1,0] op_sel_hi:[0,0,1]
	v_mov_b32_e32 v11, v9
	s_waitcnt vmcnt(0)
	v_pk_mul_f32 v[2:3], v[6:7], s[2:3] op_sel_hi:[1,0]
	s_nop 0
	v_pk_fma_f32 v[8:9], v[6:7], s[6:7], v[2:3] op_sel:[0,0,1] op_sel_hi:[1,1,0] neg_lo:[0,0,1] neg_hi:[0,0,1]
	v_pk_fma_f32 v[2:3], v[6:7], s[6:7], v[2:3] op_sel:[0,0,1] op_sel_hi:[1,0,0]
	v_mov_b32_e32 v6, v20
	v_mov_b32_e32 v9, v3
	v_pk_add_f32 v[2:3], v[10:11], v[8:9]
	global_store_dwordx2 v[0:1], v[2:3], off
	global_load_dwordx2 v[2:3], v[4:5], off offset:128
	v_mul_f32_e32 v4, s1, v20
	s_mov_b32 s1, s7
	s_mov_b64 s[2:3], 0x80
	v_fma_f32 v8, -v21, s0, v4
	v_lshl_add_u64 v[4:5], v[0:1], 0, s[2:3]
	s_waitcnt vmcnt(0)
	v_mul_f32_e32 v9, s7, v3
	v_mov_b32_e32 v7, v2
	v_fma_f32 v9, v2, s6, -v9
	v_mov_b32_e32 v2, v21
	v_pk_mul_f32 v[2:3], v[2:3], s[10:11]
	v_add_f32_e32 v8, v8, v9
	v_pk_fma_f32 v[2:3], v[6:7], s[0:1], v[2:3]
	global_store_dword v[0:1], v8, off offset:128
	v_add_f32_e32 v6, v2, v3
.LBB106_7:
	global_store_dword v[4:5], v6, off offset:4
	s_endpgm
	.section	.rodata,"a",@progbits
	.p2align	6, 0x0
	.amdhsa_kernel _ZN12_GLOBAL__N_127rocblas_gemm_batched_kernelI19rocblas_complex_numIfELi16ELi16ELi32ELi32ELi8ELi32ELi8ELi8ELi32ELc84ELc67EKS2_S3_S2_EEvlllT_PT11_llS6_llS4_PT12_llPT13_lli
		.amdhsa_group_segment_fixed_size 4096
		.amdhsa_private_segment_fixed_size 0
		.amdhsa_kernarg_size 140
		.amdhsa_user_sgpr_count 2
		.amdhsa_user_sgpr_dispatch_ptr 0
		.amdhsa_user_sgpr_queue_ptr 0
		.amdhsa_user_sgpr_kernarg_segment_ptr 1
		.amdhsa_user_sgpr_dispatch_id 0
		.amdhsa_user_sgpr_kernarg_preload_length 0
		.amdhsa_user_sgpr_kernarg_preload_offset 0
		.amdhsa_user_sgpr_private_segment_size 0
		.amdhsa_uses_dynamic_stack 0
		.amdhsa_enable_private_segment 0
		.amdhsa_system_sgpr_workgroup_id_x 1
		.amdhsa_system_sgpr_workgroup_id_y 1
		.amdhsa_system_sgpr_workgroup_id_z 1
		.amdhsa_system_sgpr_workgroup_info 0
		.amdhsa_system_vgpr_workitem_id 1
		.amdhsa_next_free_vgpr 102
		.amdhsa_next_free_sgpr 28
		.amdhsa_accum_offset 104
		.amdhsa_reserve_vcc 1
		.amdhsa_float_round_mode_32 0
		.amdhsa_float_round_mode_16_64 0
		.amdhsa_float_denorm_mode_32 3
		.amdhsa_float_denorm_mode_16_64 3
		.amdhsa_dx10_clamp 1
		.amdhsa_ieee_mode 1
		.amdhsa_fp16_overflow 0
		.amdhsa_tg_split 0
		.amdhsa_exception_fp_ieee_invalid_op 0
		.amdhsa_exception_fp_denorm_src 0
		.amdhsa_exception_fp_ieee_div_zero 0
		.amdhsa_exception_fp_ieee_overflow 0
		.amdhsa_exception_fp_ieee_underflow 0
		.amdhsa_exception_fp_ieee_inexact 0
		.amdhsa_exception_int_div_zero 0
	.end_amdhsa_kernel
	.section	.text._ZN12_GLOBAL__N_127rocblas_gemm_batched_kernelI19rocblas_complex_numIfELi16ELi16ELi32ELi32ELi8ELi32ELi8ELi8ELi32ELc84ELc67EKS2_S3_S2_EEvlllT_PT11_llS6_llS4_PT12_llPT13_lli,"axG",@progbits,_ZN12_GLOBAL__N_127rocblas_gemm_batched_kernelI19rocblas_complex_numIfELi16ELi16ELi32ELi32ELi8ELi32ELi8ELi8ELi32ELc84ELc67EKS2_S3_S2_EEvlllT_PT11_llS6_llS4_PT12_llPT13_lli,comdat
.Lfunc_end106:
	.size	_ZN12_GLOBAL__N_127rocblas_gemm_batched_kernelI19rocblas_complex_numIfELi16ELi16ELi32ELi32ELi8ELi32ELi8ELi8ELi32ELc84ELc67EKS2_S3_S2_EEvlllT_PT11_llS6_llS4_PT12_llPT13_lli, .Lfunc_end106-_ZN12_GLOBAL__N_127rocblas_gemm_batched_kernelI19rocblas_complex_numIfELi16ELi16ELi32ELi32ELi8ELi32ELi8ELi8ELi32ELc84ELc67EKS2_S3_S2_EEvlllT_PT11_llS6_llS4_PT12_llPT13_lli
                                        ; -- End function
	.set _ZN12_GLOBAL__N_127rocblas_gemm_batched_kernelI19rocblas_complex_numIfELi16ELi16ELi32ELi32ELi8ELi32ELi8ELi8ELi32ELc84ELc67EKS2_S3_S2_EEvlllT_PT11_llS6_llS4_PT12_llPT13_lli.num_vgpr, 102
	.set _ZN12_GLOBAL__N_127rocblas_gemm_batched_kernelI19rocblas_complex_numIfELi16ELi16ELi32ELi32ELi8ELi32ELi8ELi8ELi32ELc84ELc67EKS2_S3_S2_EEvlllT_PT11_llS6_llS4_PT12_llPT13_lli.num_agpr, 0
	.set _ZN12_GLOBAL__N_127rocblas_gemm_batched_kernelI19rocblas_complex_numIfELi16ELi16ELi32ELi32ELi8ELi32ELi8ELi8ELi32ELc84ELc67EKS2_S3_S2_EEvlllT_PT11_llS6_llS4_PT12_llPT13_lli.numbered_sgpr, 28
	.set _ZN12_GLOBAL__N_127rocblas_gemm_batched_kernelI19rocblas_complex_numIfELi16ELi16ELi32ELi32ELi8ELi32ELi8ELi8ELi32ELc84ELc67EKS2_S3_S2_EEvlllT_PT11_llS6_llS4_PT12_llPT13_lli.num_named_barrier, 0
	.set _ZN12_GLOBAL__N_127rocblas_gemm_batched_kernelI19rocblas_complex_numIfELi16ELi16ELi32ELi32ELi8ELi32ELi8ELi8ELi32ELc84ELc67EKS2_S3_S2_EEvlllT_PT11_llS6_llS4_PT12_llPT13_lli.private_seg_size, 0
	.set _ZN12_GLOBAL__N_127rocblas_gemm_batched_kernelI19rocblas_complex_numIfELi16ELi16ELi32ELi32ELi8ELi32ELi8ELi8ELi32ELc84ELc67EKS2_S3_S2_EEvlllT_PT11_llS6_llS4_PT12_llPT13_lli.uses_vcc, 1
	.set _ZN12_GLOBAL__N_127rocblas_gemm_batched_kernelI19rocblas_complex_numIfELi16ELi16ELi32ELi32ELi8ELi32ELi8ELi8ELi32ELc84ELc67EKS2_S3_S2_EEvlllT_PT11_llS6_llS4_PT12_llPT13_lli.uses_flat_scratch, 0
	.set _ZN12_GLOBAL__N_127rocblas_gemm_batched_kernelI19rocblas_complex_numIfELi16ELi16ELi32ELi32ELi8ELi32ELi8ELi8ELi32ELc84ELc67EKS2_S3_S2_EEvlllT_PT11_llS6_llS4_PT12_llPT13_lli.has_dyn_sized_stack, 0
	.set _ZN12_GLOBAL__N_127rocblas_gemm_batched_kernelI19rocblas_complex_numIfELi16ELi16ELi32ELi32ELi8ELi32ELi8ELi8ELi32ELc84ELc67EKS2_S3_S2_EEvlllT_PT11_llS6_llS4_PT12_llPT13_lli.has_recursion, 0
	.set _ZN12_GLOBAL__N_127rocblas_gemm_batched_kernelI19rocblas_complex_numIfELi16ELi16ELi32ELi32ELi8ELi32ELi8ELi8ELi32ELc84ELc67EKS2_S3_S2_EEvlllT_PT11_llS6_llS4_PT12_llPT13_lli.has_indirect_call, 0
	.section	.AMDGPU.csdata,"",@progbits
; Kernel info:
; codeLenInByte = 2512
; TotalNumSgprs: 34
; NumVgprs: 102
; NumAgprs: 0
; TotalNumVgprs: 102
; ScratchSize: 0
; MemoryBound: 0
; FloatMode: 240
; IeeeMode: 1
; LDSByteSize: 4096 bytes/workgroup (compile time only)
; SGPRBlocks: 4
; VGPRBlocks: 12
; NumSGPRsForWavesPerEU: 34
; NumVGPRsForWavesPerEU: 102
; AccumOffset: 104
; Occupancy: 4
; WaveLimiterHint : 1
; COMPUTE_PGM_RSRC2:SCRATCH_EN: 0
; COMPUTE_PGM_RSRC2:USER_SGPR: 2
; COMPUTE_PGM_RSRC2:TRAP_HANDLER: 0
; COMPUTE_PGM_RSRC2:TGID_X_EN: 1
; COMPUTE_PGM_RSRC2:TGID_Y_EN: 1
; COMPUTE_PGM_RSRC2:TGID_Z_EN: 1
; COMPUTE_PGM_RSRC2:TIDIG_COMP_CNT: 1
; COMPUTE_PGM_RSRC3_GFX90A:ACCUM_OFFSET: 25
; COMPUTE_PGM_RSRC3_GFX90A:TG_SPLIT: 0
	.section	.text._ZN12_GLOBAL__N_135rocblas_gemm_batched_general_kernelI19rocblas_complex_numIfELi16ELi16ELi32ELi32ELi8ELi32ELi8ELi8ELi32ELc78ELc78EKS2_S3_S2_EEvlllT_PT11_llS6_llS4_PT12_llPT13_lli,"axG",@progbits,_ZN12_GLOBAL__N_135rocblas_gemm_batched_general_kernelI19rocblas_complex_numIfELi16ELi16ELi32ELi32ELi8ELi32ELi8ELi8ELi32ELc78ELc78EKS2_S3_S2_EEvlllT_PT11_llS6_llS4_PT12_llPT13_lli,comdat
	.globl	_ZN12_GLOBAL__N_135rocblas_gemm_batched_general_kernelI19rocblas_complex_numIfELi16ELi16ELi32ELi32ELi8ELi32ELi8ELi8ELi32ELc78ELc78EKS2_S3_S2_EEvlllT_PT11_llS6_llS4_PT12_llPT13_lli ; -- Begin function _ZN12_GLOBAL__N_135rocblas_gemm_batched_general_kernelI19rocblas_complex_numIfELi16ELi16ELi32ELi32ELi8ELi32ELi8ELi8ELi32ELc78ELc78EKS2_S3_S2_EEvlllT_PT11_llS6_llS4_PT12_llPT13_lli
	.p2align	8
	.type	_ZN12_GLOBAL__N_135rocblas_gemm_batched_general_kernelI19rocblas_complex_numIfELi16ELi16ELi32ELi32ELi8ELi32ELi8ELi8ELi32ELc78ELc78EKS2_S3_S2_EEvlllT_PT11_llS6_llS4_PT12_llPT13_lli,@function
_ZN12_GLOBAL__N_135rocblas_gemm_batched_general_kernelI19rocblas_complex_numIfELi16ELi16ELi32ELi32ELi8ELi32ELi8ELi8ELi32ELc78ELc78EKS2_S3_S2_EEvlllT_PT11_llS6_llS4_PT12_llPT13_lli: ; @_ZN12_GLOBAL__N_135rocblas_gemm_batched_general_kernelI19rocblas_complex_numIfELi16ELi16ELi32ELi32ELi8ELi32ELi8ELi8ELi32ELc78ELc78EKS2_S3_S2_EEvlllT_PT11_llS6_llS4_PT12_llPT13_lli
; %bb.0:
	s_load_dwordx16 s[12:27], s[0:1], 0x0
	s_load_dwordx2 s[28:29], s[0:1], 0x50
	s_mov_b32 s6, s3
	s_ashr_i32 s7, s6, 31
	v_mov_b32_e32 v23, 0
	s_ashr_i32 s3, s2, 31
	s_lshl_b64 s[34:35], s[6:7], 5
	s_waitcnt lgkmcnt(0)
	v_cmp_lt_i64_e64 s[6:7], s[16:17], 1
	v_and_b32_e32 v12, 0x3ff, v0
	v_bfe_u32 v22, v0, 10, 10
	v_mov_b32_e32 v13, v23
	s_lshl_b64 s[30:31], s[2:3], 5
	s_and_b64 vcc, exec, s[6:7]
	v_mov_b32_e32 v21, v23
	v_mov_b32_e32 v20, v23
	v_mov_b32_e32 v19, v23
	v_mov_b32_e32 v18, v23
	v_mov_b32_e32 v17, v23
	v_mov_b32_e32 v16, v23
	v_mov_b32_e32 v15, v23
	v_mov_b32_e32 v14, v23
	s_cbranch_vccnz .LBB107_7
; %bb.1:
	s_load_dwordx4 s[36:39], s[0:1], 0x40
	v_lshl_add_u32 v4, v22, 4, v12
	v_mov_b32_e32 v25, 0
	v_and_b32_e32 v26, 7, v12
	v_lshrrev_b32_e32 v0, 3, v4
	v_mov_b32_e32 v1, v25
	v_lshlrev_b32_e32 v6, 3, v26
	v_lshl_add_u64 v[2:3], v[0:1], 0, s[34:35]
	v_and_b32_e32 v1, 31, v4
	v_lshl_or_b32 v0, v0, 6, v6
	v_lshrrev_b32_e32 v24, 5, v4
	v_or_b32_e32 v4, s30, v1
	v_mov_b32_e32 v5, s31
	v_add_u32_e32 v45, 0x800, v0
	v_mov_b32_e32 v0, 0x800
	v_cmp_gt_i64_e64 s[6:7], s[12:13], v[4:5]
	v_lshlrev_b32_e32 v4, 3, v1
	v_lshl_add_u32 v47, v22, 6, v0
	s_waitcnt lgkmcnt(0)
	v_mad_u64_u32 v[0:1], s[10:11], s36, v2, 0
	s_mul_i32 s5, s39, s4
	s_mul_hi_u32 s10, s38, s4
	v_cmp_gt_i64_e64 s[8:9], s[14:15], v[2:3]
	v_mul_lo_u32 v5, s37, v2
	v_mul_lo_u32 v3, s36, v3
	s_add_i32 s11, s10, s5
	s_mul_i32 s10, s38, s4
	v_add3_u32 v1, v1, v3, v5
	s_lshl_b64 s[10:11], s[10:11], 3
	v_lshl_add_u64 v[0:1], v[0:1], 3, s[10:11]
	v_mov_b32_e32 v7, v25
	v_lshl_add_u64 v[0:1], v[0:1], 0, v[6:7]
	v_lshl_add_u64 v[28:29], s[26:27], 0, v[0:1]
	v_mad_u64_u32 v[0:1], s[10:11], s22, v24, 0
	v_mov_b32_e32 v2, v1
	v_mad_u64_u32 v[2:3], s[10:11], s23, v24, v[2:3]
	s_mul_i32 s5, s25, s4
	s_mul_hi_u32 s10, s24, s4
	s_add_i32 s11, s10, s5
	s_mul_i32 s10, s24, s4
	s_lshl_b64 s[10:11], s[10:11], 3
	s_lshl_b64 s[2:3], s[2:3], 8
	s_add_u32 s2, s2, s10
	v_mov_b32_e32 v1, v2
	s_addc_u32 s3, s3, s11
	v_lshl_add_u64 v[0:1], v[0:1], 3, s[2:3]
	v_mov_b32_e32 v5, v25
	v_lshl_add_u64 v[0:1], v[0:1], 0, v[4:5]
	v_mov_b32_e32 v27, v25
	v_lshl_or_b32 v44, v24, 8, v4
	v_lshlrev_b32_e32 v46, 3, v12
	v_lshl_add_u64 v[30:31], s[20:21], 0, v[0:1]
	s_lshl_b64 s[2:3], s[22:23], 6
	s_mov_b64 s[10:11], 0
	v_mov_b64_e32 v[32:33], s[16:17]
	v_mov_b32_e32 v14, v25
	v_mov_b32_e32 v15, v25
	;; [unrolled: 1-line block ×8, first 2 shown]
	s_branch .LBB107_3
.LBB107_2:                              ;   in Loop: Header=BB107_3 Depth=1
	s_or_b64 exec, exec, s[20:21]
	s_waitcnt vmcnt(0)
	ds_write_b64 v45, v[0:1]
	s_waitcnt lgkmcnt(0)
	s_barrier
	ds_read2_b64 v[4:7], v46 offset1:16
	ds_read_b128 v[48:51], v47
	ds_read2_b64 v[8:11], v46 offset0:32 offset1:48
	ds_read_b128 v[0:3], v47 offset:16
	ds_read_b128 v[52:55], v47 offset:1024
	s_add_u32 s10, s10, 8
	s_waitcnt lgkmcnt(3)
	v_pk_mul_f32 v[36:37], v[48:49], v[4:5] op_sel:[0,1]
	v_pk_mul_f32 v[56:57], v[48:49], v[6:7] op_sel:[0,1]
	v_pk_fma_f32 v[34:35], v[48:49], v[4:5], v[36:37] op_sel:[0,0,1] op_sel_hi:[1,1,0] neg_lo:[0,0,1] neg_hi:[0,0,1]
	v_pk_fma_f32 v[36:37], v[48:49], v[4:5], v[36:37] op_sel:[0,0,1] op_sel_hi:[1,0,0]
	s_waitcnt lgkmcnt(2)
	v_pk_mul_f32 v[40:41], v[50:51], v[8:9] op_sel:[0,1]
	v_pk_fma_f32 v[42:43], v[48:49], v[6:7], v[56:57] op_sel:[0,0,1] op_sel_hi:[1,1,0] neg_lo:[0,0,1] neg_hi:[0,0,1]
	v_pk_fma_f32 v[72:73], v[48:49], v[6:7], v[56:57] op_sel:[0,0,1] op_sel_hi:[1,0,0]
	v_pk_mul_f32 v[48:49], v[50:51], v[10:11] op_sel:[0,1]
	v_pk_fma_f32 v[38:39], v[50:51], v[8:9], v[40:41] op_sel:[0,0,1] op_sel_hi:[1,1,0] neg_lo:[0,0,1] neg_hi:[0,0,1]
	v_pk_fma_f32 v[40:41], v[50:51], v[8:9], v[40:41] op_sel:[0,0,1] op_sel_hi:[1,0,0]
	v_pk_fma_f32 v[74:75], v[50:51], v[10:11], v[48:49] op_sel:[0,0,1] op_sel_hi:[1,1,0] neg_lo:[0,0,1] neg_hi:[0,0,1]
	v_pk_fma_f32 v[76:77], v[50:51], v[10:11], v[48:49] op_sel:[0,0,1] op_sel_hi:[1,0,0]
	ds_read_b128 v[48:51], v47 offset:1040
	s_waitcnt lgkmcnt(1)
	v_pk_mul_f32 v[56:57], v[52:53], v[4:5] op_sel:[0,1]
	v_mov_b32_e32 v35, v37
	v_pk_fma_f32 v[78:79], v[52:53], v[4:5], v[56:57] op_sel:[0,0,1] op_sel_hi:[1,1,0] neg_lo:[0,0,1] neg_hi:[0,0,1]
	v_pk_fma_f32 v[80:81], v[52:53], v[4:5], v[56:57] op_sel:[0,0,1] op_sel_hi:[1,0,0]
	v_pk_mul_f32 v[4:5], v[52:53], v[6:7] op_sel:[0,1]
	ds_read2_b64 v[56:59], v46 offset0:96 offset1:112
	v_pk_fma_f32 v[82:83], v[52:53], v[6:7], v[4:5] op_sel:[0,0,1] op_sel_hi:[1,1,0] neg_lo:[0,0,1] neg_hi:[0,0,1]
	v_pk_fma_f32 v[84:85], v[52:53], v[6:7], v[4:5] op_sel:[0,0,1] op_sel_hi:[1,0,0]
	v_pk_mul_f32 v[4:5], v[54:55], v[8:9] op_sel:[0,1]
	v_pk_add_f32 v[20:21], v[20:21], v[34:35]
	v_pk_fma_f32 v[86:87], v[54:55], v[8:9], v[4:5] op_sel:[0,0,1] op_sel_hi:[1,1,0] neg_lo:[0,0,1] neg_hi:[0,0,1]
	v_pk_fma_f32 v[88:89], v[54:55], v[8:9], v[4:5] op_sel:[0,0,1] op_sel_hi:[1,0,0]
	ds_read2_b64 v[4:7], v46 offset0:64 offset1:80
	v_pk_mul_f32 v[8:9], v[54:55], v[10:11] op_sel:[0,1]
	v_mov_b32_e32 v79, v81
	v_pk_fma_f32 v[90:91], v[54:55], v[10:11], v[8:9] op_sel:[0,0,1] op_sel_hi:[1,1,0] neg_lo:[0,0,1] neg_hi:[0,0,1]
	v_pk_fma_f32 v[92:93], v[54:55], v[10:11], v[8:9] op_sel:[0,0,1] op_sel_hi:[1,0,0]
	s_waitcnt lgkmcnt(0)
	v_pk_mul_f32 v[8:9], v[0:1], v[4:5] op_sel:[0,1]
	v_pk_mul_f32 v[60:61], v[0:1], v[6:7] op_sel:[0,1]
	v_pk_fma_f32 v[94:95], v[0:1], v[4:5], v[8:9] op_sel:[0,0,1] op_sel_hi:[1,1,0] neg_lo:[0,0,1] neg_hi:[0,0,1]
	v_pk_fma_f32 v[96:97], v[0:1], v[4:5], v[8:9] op_sel:[0,0,1] op_sel_hi:[1,0,0]
	v_pk_mul_f32 v[8:9], v[2:3], v[56:57] op_sel:[0,1]
	v_pk_mul_f32 v[34:35], v[48:49], v[4:5] op_sel:[0,1]
	v_pk_fma_f32 v[98:99], v[2:3], v[56:57], v[8:9] op_sel:[0,0,1] op_sel_hi:[1,1,0] neg_lo:[0,0,1] neg_hi:[0,0,1]
	v_pk_fma_f32 v[100:101], v[2:3], v[56:57], v[8:9] op_sel:[0,0,1] op_sel_hi:[1,0,0]
	ds_read2_b64 v[8:11], v46 offset0:128 offset1:144
	ds_read_b128 v[52:55], v47 offset:32
	v_pk_fma_f32 v[102:103], v[0:1], v[6:7], v[60:61] op_sel:[0,0,1] op_sel_hi:[1,1,0] neg_lo:[0,0,1] neg_hi:[0,0,1]
	v_pk_fma_f32 v[104:105], v[0:1], v[6:7], v[60:61] op_sel:[0,0,1] op_sel_hi:[1,0,0]
	v_pk_mul_f32 v[0:1], v[2:3], v[58:59] op_sel:[0,1]
	v_pk_add_f32 v[16:17], v[16:17], v[78:79]
	v_mov_b32_e32 v87, v89
	v_pk_fma_f32 v[36:37], v[48:49], v[4:5], v[34:35] op_sel:[0,0,1] op_sel_hi:[1,1,0] neg_lo:[0,0,1] neg_hi:[0,0,1]
	v_pk_fma_f32 v[4:5], v[48:49], v[4:5], v[34:35] op_sel:[0,0,1] op_sel_hi:[1,0,0]
	v_pk_fma_f32 v[106:107], v[2:3], v[58:59], v[0:1] op_sel:[0,0,1] op_sel_hi:[1,1,0] neg_lo:[0,0,1] neg_hi:[0,0,1]
	v_pk_fma_f32 v[108:109], v[2:3], v[58:59], v[0:1] op_sel:[0,0,1] op_sel_hi:[1,0,0]
	ds_read2_b64 v[0:3], v46 offset0:160 offset1:176
	ds_read_b128 v[60:63], v47 offset:48
	v_pk_add_f32 v[16:17], v[16:17], v[86:87]
	v_mov_b32_e32 v37, v5
	v_pk_add_f32 v[4:5], v[16:17], v[36:37]
	ds_read_b128 v[34:37], v47 offset:1056
	s_waitcnt lgkmcnt(3)
	v_pk_mul_f32 v[64:65], v[52:53], v[8:9] op_sel:[0,1]
	v_mov_b32_e32 v39, v41
	v_pk_mul_f32 v[16:17], v[50:51], v[56:57] op_sel:[0,1]
	v_pk_fma_f32 v[110:111], v[52:53], v[8:9], v[64:65] op_sel:[0,0,1] op_sel_hi:[1,1,0] neg_lo:[0,0,1] neg_hi:[0,0,1]
	v_pk_fma_f32 v[112:113], v[52:53], v[8:9], v[64:65] op_sel:[0,0,1] op_sel_hi:[1,0,0]
	s_waitcnt lgkmcnt(2)
	v_pk_mul_f32 v[64:65], v[54:55], v[0:1] op_sel:[0,1]
	v_pk_add_f32 v[20:21], v[20:21], v[38:39]
	v_pk_fma_f32 v[38:39], v[50:51], v[56:57], v[16:17] op_sel:[0,0,1] op_sel_hi:[1,1,0] neg_lo:[0,0,1] neg_hi:[0,0,1]
	v_pk_fma_f32 v[16:17], v[50:51], v[56:57], v[16:17] op_sel:[0,0,1] op_sel_hi:[1,0,0]
	v_pk_fma_f32 v[114:115], v[54:55], v[0:1], v[64:65] op_sel:[0,0,1] op_sel_hi:[1,1,0] neg_lo:[0,0,1] neg_hi:[0,0,1]
	v_pk_fma_f32 v[116:117], v[54:55], v[0:1], v[64:65] op_sel:[0,0,1] op_sel_hi:[1,0,0]
	v_pk_mul_f32 v[64:65], v[52:53], v[10:11] op_sel:[0,1]
	v_mov_b32_e32 v39, v17
	v_pk_fma_f32 v[118:119], v[52:53], v[10:11], v[64:65] op_sel:[0,0,1] op_sel_hi:[1,1,0] neg_lo:[0,0,1] neg_hi:[0,0,1]
	v_pk_fma_f32 v[52:53], v[52:53], v[10:11], v[64:65] op_sel:[0,0,1] op_sel_hi:[1,0,0]
	ds_read2_b64 v[64:67], v46 offset0:192 offset1:208
	v_mov_b32_e32 v43, v73
	v_pk_add_f32 v[4:5], v[4:5], v[38:39]
	ds_read_b128 v[38:41], v47 offset:1072
	s_waitcnt lgkmcnt(2)
	v_pk_mul_f32 v[16:17], v[34:35], v[8:9] op_sel:[0,1]
	v_pk_add_f32 v[18:19], v[18:19], v[42:43]
	v_pk_fma_f32 v[42:43], v[34:35], v[8:9], v[16:17] op_sel:[0,0,1] op_sel_hi:[1,1,0] neg_lo:[0,0,1] neg_hi:[0,0,1]
	v_pk_fma_f32 v[8:9], v[34:35], v[8:9], v[16:17] op_sel:[0,0,1] op_sel_hi:[1,0,0]
	ds_read2_b64 v[68:71], v46 offset0:224 offset1:240
	v_mov_b32_e32 v43, v9
	v_pk_mul_f32 v[8:9], v[36:37], v[0:1] op_sel:[0,1]
	v_pk_add_f32 v[4:5], v[4:5], v[42:43]
	v_pk_fma_f32 v[16:17], v[36:37], v[0:1], v[8:9] op_sel:[0,0,1] op_sel_hi:[1,1,0] neg_lo:[0,0,1] neg_hi:[0,0,1]
	v_pk_fma_f32 v[0:1], v[36:37], v[0:1], v[8:9] op_sel:[0,0,1] op_sel_hi:[1,0,0]
	v_mov_b32_e32 v83, v85
	v_mov_b32_e32 v17, v1
	v_pk_add_f32 v[0:1], v[4:5], v[16:17]
	s_waitcnt lgkmcnt(1)
	v_pk_mul_f32 v[4:5], v[38:39], v[64:65] op_sel:[0,1]
	v_mov_b32_e32 v91, v93
	v_pk_fma_f32 v[8:9], v[38:39], v[64:65], v[4:5] op_sel:[0,0,1] op_sel_hi:[1,1,0] neg_lo:[0,0,1] neg_hi:[0,0,1]
	v_pk_fma_f32 v[4:5], v[38:39], v[64:65], v[4:5] op_sel:[0,0,1] op_sel_hi:[1,0,0]
	v_pk_mul_f32 v[120:121], v[54:55], v[2:3] op_sel:[0,1]
	v_mov_b32_e32 v9, v5
	s_waitcnt lgkmcnt(0)
	v_pk_mul_f32 v[4:5], v[40:41], v[68:69] op_sel:[0,1]
	v_pk_add_f32 v[0:1], v[0:1], v[8:9]
	v_pk_fma_f32 v[8:9], v[40:41], v[68:69], v[4:5] op_sel:[0,0,1] op_sel_hi:[1,1,0] neg_lo:[0,0,1] neg_hi:[0,0,1]
	v_pk_fma_f32 v[4:5], v[40:41], v[68:69], v[4:5] op_sel:[0,0,1] op_sel_hi:[1,0,0]
	v_mov_b32_e32 v75, v77
	v_mov_b32_e32 v9, v5
	v_pk_mul_f32 v[4:5], v[48:49], v[6:7] op_sel:[0,1]
	v_pk_add_f32 v[16:17], v[0:1], v[8:9]
	v_pk_fma_f32 v[8:9], v[48:49], v[6:7], v[4:5] op_sel:[0,0,1] op_sel_hi:[1,1,0] neg_lo:[0,0,1] neg_hi:[0,0,1]
	v_pk_fma_f32 v[4:5], v[48:49], v[6:7], v[4:5] op_sel:[0,0,1] op_sel_hi:[1,0,0]
	v_pk_add_f32 v[0:1], v[14:15], v[82:83]
	v_mov_b32_e32 v9, v5
	v_pk_mul_f32 v[4:5], v[50:51], v[58:59] op_sel:[0,1]
	v_pk_add_f32 v[0:1], v[0:1], v[90:91]
	v_pk_fma_f32 v[6:7], v[50:51], v[58:59], v[4:5] op_sel:[0,0,1] op_sel_hi:[1,1,0] neg_lo:[0,0,1] neg_hi:[0,0,1]
	v_pk_fma_f32 v[4:5], v[50:51], v[58:59], v[4:5] op_sel:[0,0,1] op_sel_hi:[1,0,0]
	v_pk_add_f32 v[0:1], v[0:1], v[8:9]
	v_mov_b32_e32 v7, v5
	v_pk_mul_f32 v[4:5], v[34:35], v[10:11] op_sel:[0,1]
	v_pk_add_f32 v[0:1], v[0:1], v[6:7]
	v_pk_fma_f32 v[6:7], v[34:35], v[10:11], v[4:5] op_sel:[0,0,1] op_sel_hi:[1,1,0] neg_lo:[0,0,1] neg_hi:[0,0,1]
	v_pk_fma_f32 v[4:5], v[34:35], v[10:11], v[4:5] op_sel:[0,0,1] op_sel_hi:[1,0,0]
	v_pk_fma_f32 v[122:123], v[54:55], v[2:3], v[120:121] op_sel:[0,0,1] op_sel_hi:[1,1,0] neg_lo:[0,0,1] neg_hi:[0,0,1]
	v_mov_b32_e32 v7, v5
	v_pk_mul_f32 v[4:5], v[36:37], v[2:3] op_sel:[0,1]
	v_pk_fma_f32 v[54:55], v[54:55], v[2:3], v[120:121] op_sel:[0,0,1] op_sel_hi:[1,0,0]
	v_mov_b32_e32 v95, v97
	v_pk_add_f32 v[18:19], v[18:19], v[74:75]
	v_mov_b32_e32 v103, v105
	v_pk_add_f32 v[0:1], v[0:1], v[6:7]
	v_pk_fma_f32 v[6:7], v[36:37], v[2:3], v[4:5] op_sel:[0,0,1] op_sel_hi:[1,1,0] neg_lo:[0,0,1] neg_hi:[0,0,1]
	v_pk_fma_f32 v[2:3], v[36:37], v[2:3], v[4:5] op_sel:[0,0,1] op_sel_hi:[1,0,0]
	v_pk_add_f32 v[20:21], v[20:21], v[94:95]
	v_mov_b32_e32 v99, v101
	v_pk_add_f32 v[18:19], v[18:19], v[102:103]
	v_mov_b32_e32 v107, v109
	v_mov_b32_e32 v7, v3
	v_pk_mul_f32 v[2:3], v[38:39], v[66:67] op_sel:[0,1]
	v_pk_mul_f32 v[120:121], v[60:61], v[64:65] op_sel:[0,1]
	;; [unrolled: 1-line block ×3, first 2 shown]
	v_pk_add_f32 v[20:21], v[20:21], v[98:99]
	v_mov_b32_e32 v111, v113
	v_pk_add_f32 v[18:19], v[18:19], v[106:107]
	v_mov_b32_e32 v119, v53
	v_pk_fma_f32 v[4:5], v[38:39], v[66:67], v[2:3] op_sel:[0,0,1] op_sel_hi:[1,1,0] neg_lo:[0,0,1] neg_hi:[0,0,1]
	v_pk_fma_f32 v[2:3], v[38:39], v[66:67], v[2:3] op_sel:[0,0,1] op_sel_hi:[1,0,0]
	v_pk_fma_f32 v[124:125], v[60:61], v[64:65], v[120:121] op_sel:[0,0,1] op_sel_hi:[1,1,0] neg_lo:[0,0,1] neg_hi:[0,0,1]
	v_pk_fma_f32 v[120:121], v[60:61], v[64:65], v[120:121] op_sel:[0,0,1] op_sel_hi:[1,0,0]
	v_pk_mul_f32 v[126:127], v[62:63], v[68:69] op_sel:[0,1]
	v_pk_fma_f32 v[132:133], v[60:61], v[66:67], v[130:131] op_sel:[0,0,1] op_sel_hi:[1,1,0] neg_lo:[0,0,1] neg_hi:[0,0,1]
	v_pk_fma_f32 v[60:61], v[60:61], v[66:67], v[130:131] op_sel:[0,0,1] op_sel_hi:[1,0,0]
	v_pk_mul_f32 v[130:131], v[62:63], v[70:71] op_sel:[0,1]
	v_pk_add_f32 v[20:21], v[20:21], v[110:111]
	v_mov_b32_e32 v115, v117
	v_pk_add_f32 v[18:19], v[18:19], v[118:119]
	v_mov_b32_e32 v123, v55
	;; [unrolled: 2-line block ×3, first 2 shown]
	v_pk_mul_f32 v[2:3], v[40:41], v[70:71] op_sel:[0,1]
	v_pk_fma_f32 v[128:129], v[62:63], v[68:69], v[126:127] op_sel:[0,0,1] op_sel_hi:[1,1,0] neg_lo:[0,0,1] neg_hi:[0,0,1]
	v_pk_fma_f32 v[126:127], v[62:63], v[68:69], v[126:127] op_sel:[0,0,1] op_sel_hi:[1,0,0]
	v_pk_fma_f32 v[134:135], v[62:63], v[70:71], v[130:131] op_sel:[0,0,1] op_sel_hi:[1,1,0] neg_lo:[0,0,1] neg_hi:[0,0,1]
	v_pk_fma_f32 v[62:63], v[62:63], v[70:71], v[130:131] op_sel:[0,0,1] op_sel_hi:[1,0,0]
	v_pk_add_f32 v[20:21], v[20:21], v[114:115]
	v_mov_b32_e32 v125, v121
	v_pk_add_f32 v[18:19], v[18:19], v[122:123]
	v_mov_b32_e32 v133, v61
	v_pk_add_f32 v[0:1], v[0:1], v[4:5]
	v_pk_fma_f32 v[4:5], v[40:41], v[70:71], v[2:3] op_sel:[0,0,1] op_sel_hi:[1,1,0] neg_lo:[0,0,1] neg_hi:[0,0,1]
	v_pk_fma_f32 v[2:3], v[40:41], v[70:71], v[2:3] op_sel:[0,0,1] op_sel_hi:[1,0,0]
	s_addc_u32 s11, s11, 0
	v_pk_add_f32 v[20:21], v[20:21], v[124:125]
	v_mov_b32_e32 v129, v127
	v_pk_add_f32 v[18:19], v[18:19], v[132:133]
	v_mov_b32_e32 v135, v63
	v_mov_b32_e32 v5, v3
	v_cmp_lt_i64_e32 vcc, s[10:11], v[32:33]
	v_pk_add_f32 v[20:21], v[20:21], v[128:129]
	v_pk_add_f32 v[18:19], v[18:19], v[134:135]
	;; [unrolled: 1-line block ×3, first 2 shown]
	v_lshl_add_u64 v[28:29], v[28:29], 0, 64
	v_lshl_add_u64 v[30:31], v[30:31], 0, s[2:3]
	s_barrier
	s_cbranch_vccz .LBB107_7
.LBB107_3:                              ; =>This Inner Loop Header: Depth=1
	v_lshl_add_u64 v[0:1], v[24:25], 0, s[10:11]
	v_cmp_gt_i64_e32 vcc, s[16:17], v[0:1]
	s_and_b64 s[22:23], s[6:7], vcc
	v_mov_b32_e32 v0, 0
	v_mov_b32_e32 v1, 0
	s_and_saveexec_b64 s[20:21], s[22:23]
	s_cbranch_execz .LBB107_5
; %bb.4:                                ;   in Loop: Header=BB107_3 Depth=1
	global_load_dwordx2 v[0:1], v[30:31], off
.LBB107_5:                              ;   in Loop: Header=BB107_3 Depth=1
	s_or_b64 exec, exec, s[20:21]
	s_waitcnt vmcnt(0)
	ds_write_b64 v44, v[0:1]
	v_lshl_add_u64 v[0:1], v[26:27], 0, s[10:11]
	v_cmp_gt_i64_e32 vcc, s[16:17], v[0:1]
	s_and_b64 s[22:23], vcc, s[8:9]
	v_mov_b32_e32 v0, 0
	v_mov_b32_e32 v1, 0
	s_and_saveexec_b64 s[20:21], s[22:23]
	s_cbranch_execz .LBB107_2
; %bb.6:                                ;   in Loop: Header=BB107_3 Depth=1
	global_load_dwordx2 v[0:1], v[28:29], off
	s_branch .LBB107_2
.LBB107_7:
	s_load_dwordx4 s[8:11], s[0:1], 0x78
	s_load_dwordx8 s[20:27], s[0:1], 0x58
	v_lshl_add_u64 v[0:1], s[34:35], 0, v[22:23]
	s_waitcnt lgkmcnt(0)
	s_mul_i32 s1, s11, s4
	s_mul_hi_u32 s2, s10, s4
	s_mul_i32 s0, s10, s4
	s_add_i32 s1, s2, s1
	s_lshl_b64 s[0:1], s[0:1], 3
	s_add_u32 s10, s26, s0
	s_addc_u32 s11, s27, s1
	s_or_b32 s0, s28, s29
	s_bitset0_b32 s0, 31
	s_cmp_lg_u32 s0, 0
	v_cmp_gt_i64_e64 s[0:1], s[14:15], v[0:1]
	s_mov_b64 s[2:3], -1
	s_cbranch_scc1 .LBB107_19
; %bb.8:
	s_and_saveexec_b64 s[16:17], s[0:1]
	s_cbranch_execz .LBB107_18
; %bb.9:
	v_mul_lo_u32 v6, v1, s8
	v_mul_lo_u32 v7, v0, s9
	v_mad_u64_u32 v[4:5], s[2:3], v0, s8, 0
	v_add3_u32 v5, v5, v7, v6
	v_lshl_add_u64 v[2:3], s[30:31], 0, v[12:13]
	v_lshl_add_u64 v[4:5], v[4:5], 3, s[10:11]
	v_cmp_gt_i64_e32 vcc, s[12:13], v[2:3]
	s_mov_b32 s26, s18
	s_mov_b32 s27, s18
	;; [unrolled: 1-line block ×4, first 2 shown]
	v_lshl_add_u64 v[6:7], v[2:3], 3, v[4:5]
	s_and_saveexec_b64 s[2:3], vcc
	s_cbranch_execz .LBB107_11
; %bb.10:
	v_pk_mul_f32 v[8:9], v[20:21], s[34:35]
	s_nop 0
	v_pk_fma_f32 v[10:11], v[20:21], s[26:27], v[8:9] op_sel:[0,0,1] op_sel_hi:[1,1,0] neg_lo:[0,0,1] neg_hi:[0,0,1]
	v_pk_fma_f32 v[8:9], v[20:21], s[26:27], v[8:9] op_sel:[0,0,1] op_sel_hi:[1,1,0]
	s_nop 0
	v_mov_b32_e32 v11, v9
	global_store_dwordx2 v[6:7], v[10:11], off
.LBB107_11:
	s_or_b64 exec, exec, s[2:3]
	v_lshl_add_u64 v[8:9], v[2:3], 0, 16
	v_cmp_gt_i64_e64 s[2:3], s[12:13], v[8:9]
	s_and_saveexec_b64 s[6:7], s[2:3]
	s_cbranch_execz .LBB107_13
; %bb.12:
	v_pk_mul_f32 v[8:9], v[18:19], s[34:35]
	s_nop 0
	v_pk_fma_f32 v[10:11], v[18:19], s[26:27], v[8:9] op_sel:[0,0,1] op_sel_hi:[1,1,0] neg_lo:[0,0,1] neg_hi:[0,0,1]
	v_pk_fma_f32 v[8:9], v[18:19], s[26:27], v[8:9] op_sel:[0,0,1] op_sel_hi:[1,1,0]
	s_nop 0
	v_mov_b32_e32 v11, v9
	global_store_dwordx2 v[6:7], v[10:11], off offset:128
.LBB107_13:
	s_or_b64 exec, exec, s[6:7]
	v_lshl_add_u64 v[6:7], v[0:1], 0, 16
	v_cmp_gt_i64_e64 s[6:7], s[14:15], v[6:7]
	s_and_b64 exec, exec, s[6:7]
	s_cbranch_execz .LBB107_18
; %bb.14:
	s_lshl_b64 s[6:7], s[8:9], 7
	v_lshl_add_u64 v[4:5], v[4:5], 0, s[6:7]
	v_lshl_add_u64 v[2:3], v[2:3], 3, v[4:5]
	s_and_saveexec_b64 s[6:7], vcc
	s_cbranch_execz .LBB107_16
; %bb.15:
	v_pk_mul_f32 v[4:5], v[16:17], s[34:35]
	s_nop 0
	v_pk_fma_f32 v[6:7], v[16:17], s[26:27], v[4:5] op_sel:[0,0,1] op_sel_hi:[1,1,0] neg_lo:[0,0,1] neg_hi:[0,0,1]
	v_pk_fma_f32 v[4:5], v[16:17], s[26:27], v[4:5] op_sel:[0,0,1] op_sel_hi:[1,1,0]
	s_nop 0
	v_mov_b32_e32 v7, v5
	global_store_dwordx2 v[2:3], v[6:7], off
.LBB107_16:
	s_or_b64 exec, exec, s[6:7]
	s_and_b64 exec, exec, s[2:3]
	s_cbranch_execz .LBB107_18
; %bb.17:
	v_pk_mul_f32 v[4:5], v[14:15], s[34:35]
	s_nop 0
	v_pk_fma_f32 v[6:7], v[14:15], s[26:27], v[4:5] op_sel:[0,0,1] op_sel_hi:[1,1,0] neg_lo:[0,0,1] neg_hi:[0,0,1]
	v_pk_fma_f32 v[4:5], v[14:15], s[26:27], v[4:5] op_sel:[0,0,1] op_sel_hi:[1,1,0]
	s_nop 0
	v_mov_b32_e32 v7, v5
	global_store_dwordx2 v[2:3], v[6:7], off offset:128
.LBB107_18:
	s_or_b64 exec, exec, s[16:17]
	s_mov_b64 s[2:3], 0
.LBB107_19:
	s_andn2_b64 vcc, exec, s[2:3]
	s_cbranch_vccnz .LBB107_30
; %bb.20:
	s_and_saveexec_b64 s[2:3], s[0:1]
	s_cbranch_execz .LBB107_30
; %bb.21:
	s_mul_i32 s0, s25, s4
	s_mul_hi_u32 s1, s24, s4
	s_add_i32 s1, s1, s0
	s_mul_i32 s0, s24, s4
	s_lshl_b64 s[0:1], s[0:1], 3
	v_mul_lo_u32 v4, v1, s22
	v_mul_lo_u32 v5, v0, s23
	v_mad_u64_u32 v[2:3], s[2:3], v0, s22, 0
	s_add_u32 s0, s20, s0
	v_add3_u32 v3, v3, v5, v4
	v_mul_lo_u32 v6, v1, s8
	v_mul_lo_u32 v7, v0, s9
	v_mad_u64_u32 v[4:5], s[2:3], v0, s8, 0
	s_addc_u32 s1, s21, s1
	v_lshl_add_u64 v[8:9], s[30:31], 0, v[12:13]
	v_add3_u32 v5, v5, v7, v6
	v_cmp_gt_i64_e32 vcc, s[12:13], v[8:9]
	s_mov_b32 s4, s18
	s_mov_b32 s5, s18
	;; [unrolled: 1-line block ×6, first 2 shown]
	v_lshl_add_u64 v[6:7], v[2:3], 3, s[0:1]
	v_lshl_add_u64 v[4:5], v[4:5], 3, s[10:11]
	v_lshlrev_b64 v[2:3], 3, v[8:9]
	s_and_saveexec_b64 s[0:1], vcc
	s_cbranch_execz .LBB107_23
; %bb.22:
	v_lshl_add_u64 v[10:11], v[6:7], 0, v[2:3]
	global_load_dwordx2 v[10:11], v[10:11], off
	v_pk_mul_f32 v[22:23], v[20:21], s[18:19]
	v_lshl_add_u64 v[12:13], v[4:5], 0, v[2:3]
	v_pk_fma_f32 v[24:25], v[20:21], s[4:5], v[22:23] op_sel:[0,0,1] op_sel_hi:[1,1,0] neg_lo:[0,0,1] neg_hi:[0,0,1]
	v_pk_fma_f32 v[20:21], v[20:21], s[4:5], v[22:23] op_sel:[0,0,1] op_sel_hi:[1,1,0]
	s_nop 0
	v_mov_b32_e32 v25, v21
	s_waitcnt vmcnt(0)
	v_pk_mul_f32 v[20:21], v[10:11], s[28:29]
	s_nop 0
	v_pk_fma_f32 v[22:23], v[10:11], s[6:7], v[20:21] op_sel:[0,0,1] op_sel_hi:[1,1,0] neg_lo:[0,0,1] neg_hi:[0,0,1]
	v_pk_fma_f32 v[10:11], v[10:11], s[6:7], v[20:21] op_sel:[0,0,1] op_sel_hi:[1,1,0]
	s_nop 0
	v_mov_b32_e32 v23, v11
	v_pk_add_f32 v[10:11], v[24:25], v[22:23]
	global_store_dwordx2 v[12:13], v[10:11], off
.LBB107_23:
	s_or_b64 exec, exec, s[0:1]
	v_lshl_add_u64 v[8:9], v[8:9], 0, 16
	v_cmp_gt_i64_e64 s[0:1], s[12:13], v[8:9]
	s_and_saveexec_b64 s[2:3], s[0:1]
	s_cbranch_execz .LBB107_25
; %bb.24:
	v_lshl_add_u64 v[8:9], v[6:7], 0, v[2:3]
	global_load_dwordx2 v[8:9], v[8:9], off offset:128
	v_pk_mul_f32 v[12:13], v[18:19], s[18:19]
	v_lshl_add_u64 v[10:11], v[4:5], 0, v[2:3]
	v_pk_fma_f32 v[20:21], v[18:19], s[4:5], v[12:13] op_sel:[0,0,1] op_sel_hi:[1,1,0] neg_lo:[0,0,1] neg_hi:[0,0,1]
	v_pk_fma_f32 v[12:13], v[18:19], s[4:5], v[12:13] op_sel:[0,0,1] op_sel_hi:[1,1,0]
	s_nop 0
	v_mov_b32_e32 v21, v13
	s_waitcnt vmcnt(0)
	v_pk_mul_f32 v[12:13], v[8:9], s[28:29]
	s_nop 0
	v_pk_fma_f32 v[18:19], v[8:9], s[6:7], v[12:13] op_sel:[0,0,1] op_sel_hi:[1,1,0] neg_lo:[0,0,1] neg_hi:[0,0,1]
	v_pk_fma_f32 v[8:9], v[8:9], s[6:7], v[12:13] op_sel:[0,0,1] op_sel_hi:[1,1,0]
	s_nop 0
	v_mov_b32_e32 v19, v9
	v_pk_add_f32 v[8:9], v[20:21], v[18:19]
	global_store_dwordx2 v[10:11], v[8:9], off offset:128
.LBB107_25:
	s_or_b64 exec, exec, s[2:3]
	v_lshl_add_u64 v[0:1], v[0:1], 0, 16
	v_cmp_gt_i64_e64 s[2:3], s[14:15], v[0:1]
	s_and_b64 exec, exec, s[2:3]
	s_cbranch_execz .LBB107_30
; %bb.26:
	s_lshl_b64 s[2:3], s[22:23], 7
	v_lshl_add_u64 v[0:1], v[6:7], 0, s[2:3]
	s_lshl_b64 s[2:3], s[8:9], 7
	v_lshl_add_u64 v[6:7], v[4:5], 0, s[2:3]
	v_lshl_add_u64 v[4:5], v[0:1], 0, v[2:3]
	;; [unrolled: 1-line block ×3, first 2 shown]
	s_and_saveexec_b64 s[2:3], vcc
	s_cbranch_execz .LBB107_28
; %bb.27:
	global_load_dwordx2 v[2:3], v[4:5], off
	v_pk_mul_f32 v[6:7], v[16:17], s[18:19]
	s_nop 0
	v_pk_fma_f32 v[8:9], v[16:17], s[4:5], v[6:7] op_sel:[0,0,1] op_sel_hi:[1,1,0] neg_lo:[0,0,1] neg_hi:[0,0,1]
	v_pk_fma_f32 v[6:7], v[16:17], s[4:5], v[6:7] op_sel:[0,0,1] op_sel_hi:[1,1,0]
	s_nop 0
	v_mov_b32_e32 v9, v7
	s_waitcnt vmcnt(0)
	v_pk_mul_f32 v[6:7], v[2:3], s[28:29]
	s_nop 0
	v_pk_fma_f32 v[10:11], v[2:3], s[6:7], v[6:7] op_sel:[0,0,1] op_sel_hi:[1,1,0] neg_lo:[0,0,1] neg_hi:[0,0,1]
	v_pk_fma_f32 v[2:3], v[2:3], s[6:7], v[6:7] op_sel:[0,0,1] op_sel_hi:[1,1,0]
	s_nop 0
	v_mov_b32_e32 v11, v3
	v_pk_add_f32 v[2:3], v[8:9], v[10:11]
	global_store_dwordx2 v[0:1], v[2:3], off
.LBB107_28:
	s_or_b64 exec, exec, s[2:3]
	s_and_b64 exec, exec, s[0:1]
	s_cbranch_execz .LBB107_30
; %bb.29:
	global_load_dwordx2 v[2:3], v[4:5], off offset:128
	v_pk_mul_f32 v[4:5], v[14:15], s[18:19]
	s_nop 0
	v_pk_fma_f32 v[6:7], v[14:15], s[4:5], v[4:5] op_sel:[0,0,1] op_sel_hi:[1,1,0] neg_lo:[0,0,1] neg_hi:[0,0,1]
	v_pk_fma_f32 v[4:5], v[14:15], s[4:5], v[4:5] op_sel:[0,0,1] op_sel_hi:[1,1,0]
	s_nop 0
	v_mov_b32_e32 v7, v5
	s_waitcnt vmcnt(0)
	v_pk_mul_f32 v[4:5], v[2:3], s[28:29]
	s_nop 0
	v_pk_fma_f32 v[8:9], v[2:3], s[6:7], v[4:5] op_sel:[0,0,1] op_sel_hi:[1,1,0] neg_lo:[0,0,1] neg_hi:[0,0,1]
	v_pk_fma_f32 v[2:3], v[2:3], s[6:7], v[4:5] op_sel:[0,0,1] op_sel_hi:[1,1,0]
	s_nop 0
	v_mov_b32_e32 v9, v3
	v_pk_add_f32 v[2:3], v[6:7], v[8:9]
	global_store_dwordx2 v[0:1], v[2:3], off offset:128
.LBB107_30:
	s_endpgm
	.section	.rodata,"a",@progbits
	.p2align	6, 0x0
	.amdhsa_kernel _ZN12_GLOBAL__N_135rocblas_gemm_batched_general_kernelI19rocblas_complex_numIfELi16ELi16ELi32ELi32ELi8ELi32ELi8ELi8ELi32ELc78ELc78EKS2_S3_S2_EEvlllT_PT11_llS6_llS4_PT12_llPT13_lli
		.amdhsa_group_segment_fixed_size 4096
		.amdhsa_private_segment_fixed_size 0
		.amdhsa_kernarg_size 140
		.amdhsa_user_sgpr_count 2
		.amdhsa_user_sgpr_dispatch_ptr 0
		.amdhsa_user_sgpr_queue_ptr 0
		.amdhsa_user_sgpr_kernarg_segment_ptr 1
		.amdhsa_user_sgpr_dispatch_id 0
		.amdhsa_user_sgpr_kernarg_preload_length 0
		.amdhsa_user_sgpr_kernarg_preload_offset 0
		.amdhsa_user_sgpr_private_segment_size 0
		.amdhsa_uses_dynamic_stack 0
		.amdhsa_enable_private_segment 0
		.amdhsa_system_sgpr_workgroup_id_x 1
		.amdhsa_system_sgpr_workgroup_id_y 1
		.amdhsa_system_sgpr_workgroup_id_z 1
		.amdhsa_system_sgpr_workgroup_info 0
		.amdhsa_system_vgpr_workitem_id 1
		.amdhsa_next_free_vgpr 136
		.amdhsa_next_free_sgpr 40
		.amdhsa_accum_offset 136
		.amdhsa_reserve_vcc 1
		.amdhsa_float_round_mode_32 0
		.amdhsa_float_round_mode_16_64 0
		.amdhsa_float_denorm_mode_32 3
		.amdhsa_float_denorm_mode_16_64 3
		.amdhsa_dx10_clamp 1
		.amdhsa_ieee_mode 1
		.amdhsa_fp16_overflow 0
		.amdhsa_tg_split 0
		.amdhsa_exception_fp_ieee_invalid_op 0
		.amdhsa_exception_fp_denorm_src 0
		.amdhsa_exception_fp_ieee_div_zero 0
		.amdhsa_exception_fp_ieee_overflow 0
		.amdhsa_exception_fp_ieee_underflow 0
		.amdhsa_exception_fp_ieee_inexact 0
		.amdhsa_exception_int_div_zero 0
	.end_amdhsa_kernel
	.section	.text._ZN12_GLOBAL__N_135rocblas_gemm_batched_general_kernelI19rocblas_complex_numIfELi16ELi16ELi32ELi32ELi8ELi32ELi8ELi8ELi32ELc78ELc78EKS2_S3_S2_EEvlllT_PT11_llS6_llS4_PT12_llPT13_lli,"axG",@progbits,_ZN12_GLOBAL__N_135rocblas_gemm_batched_general_kernelI19rocblas_complex_numIfELi16ELi16ELi32ELi32ELi8ELi32ELi8ELi8ELi32ELc78ELc78EKS2_S3_S2_EEvlllT_PT11_llS6_llS4_PT12_llPT13_lli,comdat
.Lfunc_end107:
	.size	_ZN12_GLOBAL__N_135rocblas_gemm_batched_general_kernelI19rocblas_complex_numIfELi16ELi16ELi32ELi32ELi8ELi32ELi8ELi8ELi32ELc78ELc78EKS2_S3_S2_EEvlllT_PT11_llS6_llS4_PT12_llPT13_lli, .Lfunc_end107-_ZN12_GLOBAL__N_135rocblas_gemm_batched_general_kernelI19rocblas_complex_numIfELi16ELi16ELi32ELi32ELi8ELi32ELi8ELi8ELi32ELc78ELc78EKS2_S3_S2_EEvlllT_PT11_llS6_llS4_PT12_llPT13_lli
                                        ; -- End function
	.set _ZN12_GLOBAL__N_135rocblas_gemm_batched_general_kernelI19rocblas_complex_numIfELi16ELi16ELi32ELi32ELi8ELi32ELi8ELi8ELi32ELc78ELc78EKS2_S3_S2_EEvlllT_PT11_llS6_llS4_PT12_llPT13_lli.num_vgpr, 136
	.set _ZN12_GLOBAL__N_135rocblas_gemm_batched_general_kernelI19rocblas_complex_numIfELi16ELi16ELi32ELi32ELi8ELi32ELi8ELi8ELi32ELc78ELc78EKS2_S3_S2_EEvlllT_PT11_llS6_llS4_PT12_llPT13_lli.num_agpr, 0
	.set _ZN12_GLOBAL__N_135rocblas_gemm_batched_general_kernelI19rocblas_complex_numIfELi16ELi16ELi32ELi32ELi8ELi32ELi8ELi8ELi32ELc78ELc78EKS2_S3_S2_EEvlllT_PT11_llS6_llS4_PT12_llPT13_lli.numbered_sgpr, 40
	.set _ZN12_GLOBAL__N_135rocblas_gemm_batched_general_kernelI19rocblas_complex_numIfELi16ELi16ELi32ELi32ELi8ELi32ELi8ELi8ELi32ELc78ELc78EKS2_S3_S2_EEvlllT_PT11_llS6_llS4_PT12_llPT13_lli.num_named_barrier, 0
	.set _ZN12_GLOBAL__N_135rocblas_gemm_batched_general_kernelI19rocblas_complex_numIfELi16ELi16ELi32ELi32ELi8ELi32ELi8ELi8ELi32ELc78ELc78EKS2_S3_S2_EEvlllT_PT11_llS6_llS4_PT12_llPT13_lli.private_seg_size, 0
	.set _ZN12_GLOBAL__N_135rocblas_gemm_batched_general_kernelI19rocblas_complex_numIfELi16ELi16ELi32ELi32ELi8ELi32ELi8ELi8ELi32ELc78ELc78EKS2_S3_S2_EEvlllT_PT11_llS6_llS4_PT12_llPT13_lli.uses_vcc, 1
	.set _ZN12_GLOBAL__N_135rocblas_gemm_batched_general_kernelI19rocblas_complex_numIfELi16ELi16ELi32ELi32ELi8ELi32ELi8ELi8ELi32ELc78ELc78EKS2_S3_S2_EEvlllT_PT11_llS6_llS4_PT12_llPT13_lli.uses_flat_scratch, 0
	.set _ZN12_GLOBAL__N_135rocblas_gemm_batched_general_kernelI19rocblas_complex_numIfELi16ELi16ELi32ELi32ELi8ELi32ELi8ELi8ELi32ELc78ELc78EKS2_S3_S2_EEvlllT_PT11_llS6_llS4_PT12_llPT13_lli.has_dyn_sized_stack, 0
	.set _ZN12_GLOBAL__N_135rocblas_gemm_batched_general_kernelI19rocblas_complex_numIfELi16ELi16ELi32ELi32ELi8ELi32ELi8ELi8ELi32ELc78ELc78EKS2_S3_S2_EEvlllT_PT11_llS6_llS4_PT12_llPT13_lli.has_recursion, 0
	.set _ZN12_GLOBAL__N_135rocblas_gemm_batched_general_kernelI19rocblas_complex_numIfELi16ELi16ELi32ELi32ELi8ELi32ELi8ELi8ELi32ELc78ELc78EKS2_S3_S2_EEvlllT_PT11_llS6_llS4_PT12_llPT13_lli.has_indirect_call, 0
	.section	.AMDGPU.csdata,"",@progbits
; Kernel info:
; codeLenInByte = 3108
; TotalNumSgprs: 46
; NumVgprs: 136
; NumAgprs: 0
; TotalNumVgprs: 136
; ScratchSize: 0
; MemoryBound: 0
; FloatMode: 240
; IeeeMode: 1
; LDSByteSize: 4096 bytes/workgroup (compile time only)
; SGPRBlocks: 5
; VGPRBlocks: 16
; NumSGPRsForWavesPerEU: 46
; NumVGPRsForWavesPerEU: 136
; AccumOffset: 136
; Occupancy: 3
; WaveLimiterHint : 1
; COMPUTE_PGM_RSRC2:SCRATCH_EN: 0
; COMPUTE_PGM_RSRC2:USER_SGPR: 2
; COMPUTE_PGM_RSRC2:TRAP_HANDLER: 0
; COMPUTE_PGM_RSRC2:TGID_X_EN: 1
; COMPUTE_PGM_RSRC2:TGID_Y_EN: 1
; COMPUTE_PGM_RSRC2:TGID_Z_EN: 1
; COMPUTE_PGM_RSRC2:TIDIG_COMP_CNT: 1
; COMPUTE_PGM_RSRC3_GFX90A:ACCUM_OFFSET: 33
; COMPUTE_PGM_RSRC3_GFX90A:TG_SPLIT: 0
	.section	.text._ZN12_GLOBAL__N_135rocblas_gemm_batched_general_kernelI19rocblas_complex_numIfELi16ELi16ELi32ELi32ELi8ELi32ELi8ELi8ELi32ELc84ELc78EKS2_S3_S2_EEvlllT_PT11_llS6_llS4_PT12_llPT13_lli,"axG",@progbits,_ZN12_GLOBAL__N_135rocblas_gemm_batched_general_kernelI19rocblas_complex_numIfELi16ELi16ELi32ELi32ELi8ELi32ELi8ELi8ELi32ELc84ELc78EKS2_S3_S2_EEvlllT_PT11_llS6_llS4_PT12_llPT13_lli,comdat
	.globl	_ZN12_GLOBAL__N_135rocblas_gemm_batched_general_kernelI19rocblas_complex_numIfELi16ELi16ELi32ELi32ELi8ELi32ELi8ELi8ELi32ELc84ELc78EKS2_S3_S2_EEvlllT_PT11_llS6_llS4_PT12_llPT13_lli ; -- Begin function _ZN12_GLOBAL__N_135rocblas_gemm_batched_general_kernelI19rocblas_complex_numIfELi16ELi16ELi32ELi32ELi8ELi32ELi8ELi8ELi32ELc84ELc78EKS2_S3_S2_EEvlllT_PT11_llS6_llS4_PT12_llPT13_lli
	.p2align	8
	.type	_ZN12_GLOBAL__N_135rocblas_gemm_batched_general_kernelI19rocblas_complex_numIfELi16ELi16ELi32ELi32ELi8ELi32ELi8ELi8ELi32ELc84ELc78EKS2_S3_S2_EEvlllT_PT11_llS6_llS4_PT12_llPT13_lli,@function
_ZN12_GLOBAL__N_135rocblas_gemm_batched_general_kernelI19rocblas_complex_numIfELi16ELi16ELi32ELi32ELi8ELi32ELi8ELi8ELi32ELc84ELc78EKS2_S3_S2_EEvlllT_PT11_llS6_llS4_PT12_llPT13_lli: ; @_ZN12_GLOBAL__N_135rocblas_gemm_batched_general_kernelI19rocblas_complex_numIfELi16ELi16ELi32ELi32ELi8ELi32ELi8ELi8ELi32ELc84ELc78EKS2_S3_S2_EEvlllT_PT11_llS6_llS4_PT12_llPT13_lli
; %bb.0:
	s_load_dwordx16 s[8:23], s[0:1], 0x0
	s_load_dwordx2 s[28:29], s[0:1], 0x50
	s_mov_b32 s6, s3
	s_ashr_i32 s3, s2, 31
	v_mov_b32_e32 v23, 0
	s_lshl_b64 s[30:31], s[2:3], 5
	s_ashr_i32 s7, s6, 31
	s_waitcnt lgkmcnt(0)
	v_cmp_lt_i64_e64 s[2:3], s[12:13], 1
	v_and_b32_e32 v12, 0x3ff, v0
	v_bfe_u32 v22, v0, 10, 10
	v_mov_b32_e32 v13, v23
	s_lshl_b64 s[34:35], s[6:7], 5
	s_and_b64 vcc, exec, s[2:3]
	v_mov_b32_e32 v21, v23
	v_mov_b32_e32 v20, v23
	v_mov_b32_e32 v19, v23
	v_mov_b32_e32 v18, v23
	v_mov_b32_e32 v17, v23
	v_mov_b32_e32 v16, v23
	v_mov_b32_e32 v15, v23
	v_mov_b32_e32 v14, v23
	s_cbranch_vccnz .LBB108_7
; %bb.1:
	v_lshl_add_u32 v4, v22, 4, v12
	s_load_dwordx4 s[24:27], s[0:1], 0x40
	v_lshrrev_b32_e32 v24, 5, v4
	v_lshrrev_b32_e32 v0, 3, v4
	v_and_b32_e32 v4, 31, v4
	v_mov_b32_e32 v25, 0
	v_and_b32_e32 v26, 7, v12
	v_or_b32_e32 v6, s30, v4
	v_mov_b32_e32 v7, s31
	v_mov_b32_e32 v1, v25
	v_cmp_gt_i64_e64 s[2:3], s[8:9], v[6:7]
	v_lshlrev_b32_e32 v6, 3, v26
	v_lshl_add_u64 v[2:3], v[0:1], 0, s[34:35]
	v_lshl_or_b32 v0, v0, 6, v6
	v_lshlrev_b32_e32 v1, 3, v4
	v_add_u32_e32 v45, 0x800, v0
	v_mov_b32_e32 v0, 0x800
	v_lshl_or_b32 v44, v24, 8, v1
	v_cmp_gt_i64_e64 s[6:7], s[10:11], v[2:3]
	v_lshl_add_u32 v47, v22, 6, v0
	s_waitcnt lgkmcnt(0)
	v_mul_lo_u32 v7, s25, v2
	v_mul_lo_u32 v3, s24, v3
	v_mad_u64_u32 v[0:1], s[24:25], s24, v2, 0
	s_mul_i32 s5, s27, s4
	s_mul_hi_u32 s24, s26, s4
	s_add_i32 s25, s24, s5
	s_mul_i32 s24, s26, s4
	v_add3_u32 v1, v1, v3, v7
	s_lshl_b64 s[24:25], s[24:25], 3
	v_lshl_add_u64 v[0:1], v[0:1], 3, s[24:25]
	v_mov_b32_e32 v7, v25
	v_mov_b32_e32 v5, v25
	v_lshl_add_u64 v[0:1], v[0:1], 0, v[6:7]
	v_lshl_add_u64 v[28:29], s[22:23], 0, v[0:1]
	;; [unrolled: 1-line block ×3, first 2 shown]
	v_mul_lo_u32 v2, s19, v0
	v_mul_lo_u32 v3, s18, v1
	v_mad_u64_u32 v[0:1], s[18:19], s18, v0, 0
	s_mul_i32 s5, s21, s4
	s_mul_hi_u32 s18, s20, s4
	s_add_i32 s19, s18, s5
	s_mul_i32 s18, s20, s4
	v_add3_u32 v1, v1, v3, v2
	s_lshl_b64 s[18:19], s[18:19], 3
	v_lshl_add_u64 v[0:1], v[0:1], 3, s[18:19]
	v_lshlrev_b32_e32 v2, 3, v24
	v_mov_b32_e32 v3, v25
	v_lshl_add_u64 v[0:1], v[0:1], 0, v[2:3]
	v_mov_b32_e32 v27, v25
	v_lshlrev_b32_e32 v46, 3, v12
	v_lshl_add_u64 v[30:31], s[16:17], 0, v[0:1]
	s_mov_b64 s[16:17], 0
	v_mov_b64_e32 v[32:33], s[12:13]
	v_mov_b32_e32 v14, v25
	v_mov_b32_e32 v15, v25
	;; [unrolled: 1-line block ×8, first 2 shown]
	s_branch .LBB108_3
.LBB108_2:                              ;   in Loop: Header=BB108_3 Depth=1
	s_or_b64 exec, exec, s[18:19]
	s_waitcnt vmcnt(0)
	ds_write_b64 v45, v[0:1]
	s_waitcnt lgkmcnt(0)
	s_barrier
	ds_read2_b64 v[4:7], v46 offset1:16
	ds_read_b128 v[48:51], v47
	ds_read2_b64 v[8:11], v46 offset0:32 offset1:48
	ds_read_b128 v[0:3], v47 offset:16
	ds_read_b128 v[52:55], v47 offset:1024
	s_add_u32 s16, s16, 8
	s_waitcnt lgkmcnt(3)
	v_pk_mul_f32 v[36:37], v[48:49], v[4:5] op_sel:[0,1]
	v_pk_mul_f32 v[56:57], v[48:49], v[6:7] op_sel:[0,1]
	v_pk_fma_f32 v[34:35], v[48:49], v[4:5], v[36:37] op_sel:[0,0,1] op_sel_hi:[1,1,0] neg_lo:[0,0,1] neg_hi:[0,0,1]
	v_pk_fma_f32 v[36:37], v[48:49], v[4:5], v[36:37] op_sel:[0,0,1] op_sel_hi:[1,0,0]
	s_waitcnt lgkmcnt(2)
	v_pk_mul_f32 v[40:41], v[50:51], v[8:9] op_sel:[0,1]
	v_pk_fma_f32 v[42:43], v[48:49], v[6:7], v[56:57] op_sel:[0,0,1] op_sel_hi:[1,1,0] neg_lo:[0,0,1] neg_hi:[0,0,1]
	v_pk_fma_f32 v[72:73], v[48:49], v[6:7], v[56:57] op_sel:[0,0,1] op_sel_hi:[1,0,0]
	v_pk_mul_f32 v[48:49], v[50:51], v[10:11] op_sel:[0,1]
	v_pk_fma_f32 v[38:39], v[50:51], v[8:9], v[40:41] op_sel:[0,0,1] op_sel_hi:[1,1,0] neg_lo:[0,0,1] neg_hi:[0,0,1]
	v_pk_fma_f32 v[40:41], v[50:51], v[8:9], v[40:41] op_sel:[0,0,1] op_sel_hi:[1,0,0]
	v_pk_fma_f32 v[74:75], v[50:51], v[10:11], v[48:49] op_sel:[0,0,1] op_sel_hi:[1,1,0] neg_lo:[0,0,1] neg_hi:[0,0,1]
	v_pk_fma_f32 v[76:77], v[50:51], v[10:11], v[48:49] op_sel:[0,0,1] op_sel_hi:[1,0,0]
	ds_read_b128 v[48:51], v47 offset:1040
	s_waitcnt lgkmcnt(1)
	v_pk_mul_f32 v[56:57], v[52:53], v[4:5] op_sel:[0,1]
	v_mov_b32_e32 v35, v37
	v_pk_fma_f32 v[78:79], v[52:53], v[4:5], v[56:57] op_sel:[0,0,1] op_sel_hi:[1,1,0] neg_lo:[0,0,1] neg_hi:[0,0,1]
	v_pk_fma_f32 v[80:81], v[52:53], v[4:5], v[56:57] op_sel:[0,0,1] op_sel_hi:[1,0,0]
	v_pk_mul_f32 v[4:5], v[52:53], v[6:7] op_sel:[0,1]
	ds_read2_b64 v[56:59], v46 offset0:96 offset1:112
	v_pk_fma_f32 v[82:83], v[52:53], v[6:7], v[4:5] op_sel:[0,0,1] op_sel_hi:[1,1,0] neg_lo:[0,0,1] neg_hi:[0,0,1]
	v_pk_fma_f32 v[84:85], v[52:53], v[6:7], v[4:5] op_sel:[0,0,1] op_sel_hi:[1,0,0]
	v_pk_mul_f32 v[4:5], v[54:55], v[8:9] op_sel:[0,1]
	v_pk_add_f32 v[20:21], v[20:21], v[34:35]
	v_pk_fma_f32 v[86:87], v[54:55], v[8:9], v[4:5] op_sel:[0,0,1] op_sel_hi:[1,1,0] neg_lo:[0,0,1] neg_hi:[0,0,1]
	v_pk_fma_f32 v[88:89], v[54:55], v[8:9], v[4:5] op_sel:[0,0,1] op_sel_hi:[1,0,0]
	ds_read2_b64 v[4:7], v46 offset0:64 offset1:80
	v_pk_mul_f32 v[8:9], v[54:55], v[10:11] op_sel:[0,1]
	v_mov_b32_e32 v79, v81
	v_pk_fma_f32 v[90:91], v[54:55], v[10:11], v[8:9] op_sel:[0,0,1] op_sel_hi:[1,1,0] neg_lo:[0,0,1] neg_hi:[0,0,1]
	v_pk_fma_f32 v[92:93], v[54:55], v[10:11], v[8:9] op_sel:[0,0,1] op_sel_hi:[1,0,0]
	s_waitcnt lgkmcnt(0)
	v_pk_mul_f32 v[8:9], v[0:1], v[4:5] op_sel:[0,1]
	v_pk_mul_f32 v[60:61], v[0:1], v[6:7] op_sel:[0,1]
	v_pk_fma_f32 v[94:95], v[0:1], v[4:5], v[8:9] op_sel:[0,0,1] op_sel_hi:[1,1,0] neg_lo:[0,0,1] neg_hi:[0,0,1]
	v_pk_fma_f32 v[96:97], v[0:1], v[4:5], v[8:9] op_sel:[0,0,1] op_sel_hi:[1,0,0]
	v_pk_mul_f32 v[8:9], v[2:3], v[56:57] op_sel:[0,1]
	v_pk_mul_f32 v[34:35], v[48:49], v[4:5] op_sel:[0,1]
	v_pk_fma_f32 v[98:99], v[2:3], v[56:57], v[8:9] op_sel:[0,0,1] op_sel_hi:[1,1,0] neg_lo:[0,0,1] neg_hi:[0,0,1]
	v_pk_fma_f32 v[100:101], v[2:3], v[56:57], v[8:9] op_sel:[0,0,1] op_sel_hi:[1,0,0]
	ds_read2_b64 v[8:11], v46 offset0:128 offset1:144
	ds_read_b128 v[52:55], v47 offset:32
	v_pk_fma_f32 v[102:103], v[0:1], v[6:7], v[60:61] op_sel:[0,0,1] op_sel_hi:[1,1,0] neg_lo:[0,0,1] neg_hi:[0,0,1]
	v_pk_fma_f32 v[104:105], v[0:1], v[6:7], v[60:61] op_sel:[0,0,1] op_sel_hi:[1,0,0]
	v_pk_mul_f32 v[0:1], v[2:3], v[58:59] op_sel:[0,1]
	v_pk_add_f32 v[16:17], v[16:17], v[78:79]
	v_mov_b32_e32 v87, v89
	v_pk_fma_f32 v[36:37], v[48:49], v[4:5], v[34:35] op_sel:[0,0,1] op_sel_hi:[1,1,0] neg_lo:[0,0,1] neg_hi:[0,0,1]
	v_pk_fma_f32 v[4:5], v[48:49], v[4:5], v[34:35] op_sel:[0,0,1] op_sel_hi:[1,0,0]
	v_pk_fma_f32 v[106:107], v[2:3], v[58:59], v[0:1] op_sel:[0,0,1] op_sel_hi:[1,1,0] neg_lo:[0,0,1] neg_hi:[0,0,1]
	v_pk_fma_f32 v[108:109], v[2:3], v[58:59], v[0:1] op_sel:[0,0,1] op_sel_hi:[1,0,0]
	ds_read2_b64 v[0:3], v46 offset0:160 offset1:176
	ds_read_b128 v[60:63], v47 offset:48
	v_pk_add_f32 v[16:17], v[16:17], v[86:87]
	v_mov_b32_e32 v37, v5
	v_pk_add_f32 v[4:5], v[16:17], v[36:37]
	ds_read_b128 v[34:37], v47 offset:1056
	s_waitcnt lgkmcnt(3)
	v_pk_mul_f32 v[64:65], v[52:53], v[8:9] op_sel:[0,1]
	v_mov_b32_e32 v39, v41
	v_pk_mul_f32 v[16:17], v[50:51], v[56:57] op_sel:[0,1]
	v_pk_fma_f32 v[110:111], v[52:53], v[8:9], v[64:65] op_sel:[0,0,1] op_sel_hi:[1,1,0] neg_lo:[0,0,1] neg_hi:[0,0,1]
	v_pk_fma_f32 v[112:113], v[52:53], v[8:9], v[64:65] op_sel:[0,0,1] op_sel_hi:[1,0,0]
	s_waitcnt lgkmcnt(2)
	v_pk_mul_f32 v[64:65], v[54:55], v[0:1] op_sel:[0,1]
	v_pk_add_f32 v[20:21], v[20:21], v[38:39]
	v_pk_fma_f32 v[38:39], v[50:51], v[56:57], v[16:17] op_sel:[0,0,1] op_sel_hi:[1,1,0] neg_lo:[0,0,1] neg_hi:[0,0,1]
	v_pk_fma_f32 v[16:17], v[50:51], v[56:57], v[16:17] op_sel:[0,0,1] op_sel_hi:[1,0,0]
	v_pk_fma_f32 v[114:115], v[54:55], v[0:1], v[64:65] op_sel:[0,0,1] op_sel_hi:[1,1,0] neg_lo:[0,0,1] neg_hi:[0,0,1]
	v_pk_fma_f32 v[116:117], v[54:55], v[0:1], v[64:65] op_sel:[0,0,1] op_sel_hi:[1,0,0]
	v_pk_mul_f32 v[64:65], v[52:53], v[10:11] op_sel:[0,1]
	v_mov_b32_e32 v39, v17
	v_pk_fma_f32 v[118:119], v[52:53], v[10:11], v[64:65] op_sel:[0,0,1] op_sel_hi:[1,1,0] neg_lo:[0,0,1] neg_hi:[0,0,1]
	v_pk_fma_f32 v[52:53], v[52:53], v[10:11], v[64:65] op_sel:[0,0,1] op_sel_hi:[1,0,0]
	ds_read2_b64 v[64:67], v46 offset0:192 offset1:208
	v_mov_b32_e32 v43, v73
	v_pk_add_f32 v[4:5], v[4:5], v[38:39]
	ds_read_b128 v[38:41], v47 offset:1072
	s_waitcnt lgkmcnt(2)
	v_pk_mul_f32 v[16:17], v[34:35], v[8:9] op_sel:[0,1]
	v_pk_add_f32 v[18:19], v[18:19], v[42:43]
	v_pk_fma_f32 v[42:43], v[34:35], v[8:9], v[16:17] op_sel:[0,0,1] op_sel_hi:[1,1,0] neg_lo:[0,0,1] neg_hi:[0,0,1]
	v_pk_fma_f32 v[8:9], v[34:35], v[8:9], v[16:17] op_sel:[0,0,1] op_sel_hi:[1,0,0]
	ds_read2_b64 v[68:71], v46 offset0:224 offset1:240
	v_mov_b32_e32 v43, v9
	v_pk_mul_f32 v[8:9], v[36:37], v[0:1] op_sel:[0,1]
	v_pk_add_f32 v[4:5], v[4:5], v[42:43]
	v_pk_fma_f32 v[16:17], v[36:37], v[0:1], v[8:9] op_sel:[0,0,1] op_sel_hi:[1,1,0] neg_lo:[0,0,1] neg_hi:[0,0,1]
	v_pk_fma_f32 v[0:1], v[36:37], v[0:1], v[8:9] op_sel:[0,0,1] op_sel_hi:[1,0,0]
	v_mov_b32_e32 v83, v85
	v_mov_b32_e32 v17, v1
	v_pk_add_f32 v[0:1], v[4:5], v[16:17]
	s_waitcnt lgkmcnt(1)
	v_pk_mul_f32 v[4:5], v[38:39], v[64:65] op_sel:[0,1]
	v_mov_b32_e32 v91, v93
	v_pk_fma_f32 v[8:9], v[38:39], v[64:65], v[4:5] op_sel:[0,0,1] op_sel_hi:[1,1,0] neg_lo:[0,0,1] neg_hi:[0,0,1]
	v_pk_fma_f32 v[4:5], v[38:39], v[64:65], v[4:5] op_sel:[0,0,1] op_sel_hi:[1,0,0]
	v_pk_mul_f32 v[120:121], v[54:55], v[2:3] op_sel:[0,1]
	v_mov_b32_e32 v9, v5
	s_waitcnt lgkmcnt(0)
	v_pk_mul_f32 v[4:5], v[40:41], v[68:69] op_sel:[0,1]
	v_pk_add_f32 v[0:1], v[0:1], v[8:9]
	v_pk_fma_f32 v[8:9], v[40:41], v[68:69], v[4:5] op_sel:[0,0,1] op_sel_hi:[1,1,0] neg_lo:[0,0,1] neg_hi:[0,0,1]
	v_pk_fma_f32 v[4:5], v[40:41], v[68:69], v[4:5] op_sel:[0,0,1] op_sel_hi:[1,0,0]
	v_mov_b32_e32 v75, v77
	v_mov_b32_e32 v9, v5
	v_pk_mul_f32 v[4:5], v[48:49], v[6:7] op_sel:[0,1]
	v_pk_add_f32 v[16:17], v[0:1], v[8:9]
	v_pk_fma_f32 v[8:9], v[48:49], v[6:7], v[4:5] op_sel:[0,0,1] op_sel_hi:[1,1,0] neg_lo:[0,0,1] neg_hi:[0,0,1]
	v_pk_fma_f32 v[4:5], v[48:49], v[6:7], v[4:5] op_sel:[0,0,1] op_sel_hi:[1,0,0]
	v_pk_add_f32 v[0:1], v[14:15], v[82:83]
	v_mov_b32_e32 v9, v5
	v_pk_mul_f32 v[4:5], v[50:51], v[58:59] op_sel:[0,1]
	v_pk_add_f32 v[0:1], v[0:1], v[90:91]
	v_pk_fma_f32 v[6:7], v[50:51], v[58:59], v[4:5] op_sel:[0,0,1] op_sel_hi:[1,1,0] neg_lo:[0,0,1] neg_hi:[0,0,1]
	v_pk_fma_f32 v[4:5], v[50:51], v[58:59], v[4:5] op_sel:[0,0,1] op_sel_hi:[1,0,0]
	v_pk_add_f32 v[0:1], v[0:1], v[8:9]
	v_mov_b32_e32 v7, v5
	v_pk_mul_f32 v[4:5], v[34:35], v[10:11] op_sel:[0,1]
	v_pk_add_f32 v[0:1], v[0:1], v[6:7]
	v_pk_fma_f32 v[6:7], v[34:35], v[10:11], v[4:5] op_sel:[0,0,1] op_sel_hi:[1,1,0] neg_lo:[0,0,1] neg_hi:[0,0,1]
	v_pk_fma_f32 v[4:5], v[34:35], v[10:11], v[4:5] op_sel:[0,0,1] op_sel_hi:[1,0,0]
	v_pk_fma_f32 v[122:123], v[54:55], v[2:3], v[120:121] op_sel:[0,0,1] op_sel_hi:[1,1,0] neg_lo:[0,0,1] neg_hi:[0,0,1]
	v_mov_b32_e32 v7, v5
	v_pk_mul_f32 v[4:5], v[36:37], v[2:3] op_sel:[0,1]
	v_pk_fma_f32 v[54:55], v[54:55], v[2:3], v[120:121] op_sel:[0,0,1] op_sel_hi:[1,0,0]
	v_mov_b32_e32 v95, v97
	v_pk_add_f32 v[18:19], v[18:19], v[74:75]
	v_mov_b32_e32 v103, v105
	v_pk_add_f32 v[0:1], v[0:1], v[6:7]
	v_pk_fma_f32 v[6:7], v[36:37], v[2:3], v[4:5] op_sel:[0,0,1] op_sel_hi:[1,1,0] neg_lo:[0,0,1] neg_hi:[0,0,1]
	v_pk_fma_f32 v[2:3], v[36:37], v[2:3], v[4:5] op_sel:[0,0,1] op_sel_hi:[1,0,0]
	v_pk_add_f32 v[20:21], v[20:21], v[94:95]
	v_mov_b32_e32 v99, v101
	v_pk_add_f32 v[18:19], v[18:19], v[102:103]
	v_mov_b32_e32 v107, v109
	v_mov_b32_e32 v7, v3
	v_pk_mul_f32 v[2:3], v[38:39], v[66:67] op_sel:[0,1]
	v_pk_mul_f32 v[120:121], v[60:61], v[64:65] op_sel:[0,1]
	;; [unrolled: 1-line block ×3, first 2 shown]
	v_pk_add_f32 v[20:21], v[20:21], v[98:99]
	v_mov_b32_e32 v111, v113
	v_pk_add_f32 v[18:19], v[18:19], v[106:107]
	v_mov_b32_e32 v119, v53
	v_pk_fma_f32 v[4:5], v[38:39], v[66:67], v[2:3] op_sel:[0,0,1] op_sel_hi:[1,1,0] neg_lo:[0,0,1] neg_hi:[0,0,1]
	v_pk_fma_f32 v[2:3], v[38:39], v[66:67], v[2:3] op_sel:[0,0,1] op_sel_hi:[1,0,0]
	v_pk_fma_f32 v[124:125], v[60:61], v[64:65], v[120:121] op_sel:[0,0,1] op_sel_hi:[1,1,0] neg_lo:[0,0,1] neg_hi:[0,0,1]
	v_pk_fma_f32 v[120:121], v[60:61], v[64:65], v[120:121] op_sel:[0,0,1] op_sel_hi:[1,0,0]
	v_pk_mul_f32 v[126:127], v[62:63], v[68:69] op_sel:[0,1]
	v_pk_fma_f32 v[132:133], v[60:61], v[66:67], v[130:131] op_sel:[0,0,1] op_sel_hi:[1,1,0] neg_lo:[0,0,1] neg_hi:[0,0,1]
	v_pk_fma_f32 v[60:61], v[60:61], v[66:67], v[130:131] op_sel:[0,0,1] op_sel_hi:[1,0,0]
	v_pk_mul_f32 v[130:131], v[62:63], v[70:71] op_sel:[0,1]
	v_pk_add_f32 v[20:21], v[20:21], v[110:111]
	v_mov_b32_e32 v115, v117
	v_pk_add_f32 v[18:19], v[18:19], v[118:119]
	v_mov_b32_e32 v123, v55
	;; [unrolled: 2-line block ×3, first 2 shown]
	v_pk_mul_f32 v[2:3], v[40:41], v[70:71] op_sel:[0,1]
	v_pk_fma_f32 v[128:129], v[62:63], v[68:69], v[126:127] op_sel:[0,0,1] op_sel_hi:[1,1,0] neg_lo:[0,0,1] neg_hi:[0,0,1]
	v_pk_fma_f32 v[126:127], v[62:63], v[68:69], v[126:127] op_sel:[0,0,1] op_sel_hi:[1,0,0]
	v_pk_fma_f32 v[134:135], v[62:63], v[70:71], v[130:131] op_sel:[0,0,1] op_sel_hi:[1,1,0] neg_lo:[0,0,1] neg_hi:[0,0,1]
	v_pk_fma_f32 v[62:63], v[62:63], v[70:71], v[130:131] op_sel:[0,0,1] op_sel_hi:[1,0,0]
	v_pk_add_f32 v[20:21], v[20:21], v[114:115]
	v_mov_b32_e32 v125, v121
	v_pk_add_f32 v[18:19], v[18:19], v[122:123]
	v_mov_b32_e32 v133, v61
	v_pk_add_f32 v[0:1], v[0:1], v[4:5]
	v_pk_fma_f32 v[4:5], v[40:41], v[70:71], v[2:3] op_sel:[0,0,1] op_sel_hi:[1,1,0] neg_lo:[0,0,1] neg_hi:[0,0,1]
	v_pk_fma_f32 v[2:3], v[40:41], v[70:71], v[2:3] op_sel:[0,0,1] op_sel_hi:[1,0,0]
	s_addc_u32 s17, s17, 0
	v_pk_add_f32 v[20:21], v[20:21], v[124:125]
	v_mov_b32_e32 v129, v127
	v_pk_add_f32 v[18:19], v[18:19], v[132:133]
	v_mov_b32_e32 v135, v63
	v_mov_b32_e32 v5, v3
	v_cmp_lt_i64_e32 vcc, s[16:17], v[32:33]
	v_pk_add_f32 v[20:21], v[20:21], v[128:129]
	v_pk_add_f32 v[18:19], v[18:19], v[134:135]
	;; [unrolled: 1-line block ×3, first 2 shown]
	v_lshl_add_u64 v[28:29], v[28:29], 0, 64
	v_lshl_add_u64 v[30:31], v[30:31], 0, 64
	s_barrier
	s_cbranch_vccz .LBB108_7
.LBB108_3:                              ; =>This Inner Loop Header: Depth=1
	v_lshl_add_u64 v[0:1], v[24:25], 0, s[16:17]
	v_cmp_gt_i64_e32 vcc, s[12:13], v[0:1]
	s_and_b64 s[20:21], s[2:3], vcc
	v_mov_b32_e32 v0, 0
	v_mov_b32_e32 v1, 0
	s_and_saveexec_b64 s[18:19], s[20:21]
	s_cbranch_execz .LBB108_5
; %bb.4:                                ;   in Loop: Header=BB108_3 Depth=1
	global_load_dwordx2 v[0:1], v[30:31], off
.LBB108_5:                              ;   in Loop: Header=BB108_3 Depth=1
	s_or_b64 exec, exec, s[18:19]
	s_waitcnt vmcnt(0)
	ds_write_b64 v44, v[0:1]
	v_lshl_add_u64 v[0:1], v[26:27], 0, s[16:17]
	v_cmp_gt_i64_e32 vcc, s[12:13], v[0:1]
	s_and_b64 s[20:21], vcc, s[6:7]
	v_mov_b32_e32 v0, 0
	v_mov_b32_e32 v1, 0
	s_and_saveexec_b64 s[18:19], s[20:21]
	s_cbranch_execz .LBB108_2
; %bb.6:                                ;   in Loop: Header=BB108_3 Depth=1
	global_load_dwordx2 v[0:1], v[28:29], off
	s_branch .LBB108_2
.LBB108_7:
	s_load_dwordx4 s[24:27], s[0:1], 0x78
	s_load_dwordx8 s[16:23], s[0:1], 0x58
	v_lshl_add_u64 v[0:1], s[34:35], 0, v[22:23]
	s_waitcnt lgkmcnt(0)
	s_mul_i32 s1, s27, s4
	s_mul_hi_u32 s2, s26, s4
	s_mul_i32 s0, s26, s4
	s_add_i32 s1, s2, s1
	s_lshl_b64 s[0:1], s[0:1], 3
	s_add_u32 s12, s22, s0
	s_addc_u32 s13, s23, s1
	s_or_b32 s0, s28, s29
	s_bitset0_b32 s0, 31
	s_cmp_lg_u32 s0, 0
	v_cmp_gt_i64_e64 s[0:1], s[10:11], v[0:1]
	s_mov_b64 s[2:3], -1
	s_cbranch_scc1 .LBB108_19
; %bb.8:
	s_and_saveexec_b64 s[22:23], s[0:1]
	s_cbranch_execz .LBB108_18
; %bb.9:
	v_mul_lo_u32 v6, v1, s24
	v_mul_lo_u32 v7, v0, s25
	v_mad_u64_u32 v[4:5], s[2:3], v0, s24, 0
	v_add3_u32 v5, v5, v7, v6
	v_lshl_add_u64 v[2:3], s[30:31], 0, v[12:13]
	v_lshl_add_u64 v[4:5], v[4:5], 3, s[12:13]
	v_cmp_gt_i64_e32 vcc, s[8:9], v[2:3]
	s_mov_b32 s26, s14
	s_mov_b32 s27, s14
	;; [unrolled: 1-line block ×4, first 2 shown]
	v_lshl_add_u64 v[6:7], v[2:3], 3, v[4:5]
	s_and_saveexec_b64 s[2:3], vcc
	s_cbranch_execz .LBB108_11
; %bb.10:
	v_pk_mul_f32 v[8:9], v[20:21], s[34:35]
	s_nop 0
	v_pk_fma_f32 v[10:11], v[20:21], s[26:27], v[8:9] op_sel:[0,0,1] op_sel_hi:[1,1,0] neg_lo:[0,0,1] neg_hi:[0,0,1]
	v_pk_fma_f32 v[8:9], v[20:21], s[26:27], v[8:9] op_sel:[0,0,1] op_sel_hi:[1,1,0]
	s_nop 0
	v_mov_b32_e32 v11, v9
	global_store_dwordx2 v[6:7], v[10:11], off
.LBB108_11:
	s_or_b64 exec, exec, s[2:3]
	v_lshl_add_u64 v[8:9], v[2:3], 0, 16
	v_cmp_gt_i64_e64 s[2:3], s[8:9], v[8:9]
	s_and_saveexec_b64 s[6:7], s[2:3]
	s_cbranch_execz .LBB108_13
; %bb.12:
	v_pk_mul_f32 v[8:9], v[18:19], s[34:35]
	s_nop 0
	v_pk_fma_f32 v[10:11], v[18:19], s[26:27], v[8:9] op_sel:[0,0,1] op_sel_hi:[1,1,0] neg_lo:[0,0,1] neg_hi:[0,0,1]
	v_pk_fma_f32 v[8:9], v[18:19], s[26:27], v[8:9] op_sel:[0,0,1] op_sel_hi:[1,1,0]
	s_nop 0
	v_mov_b32_e32 v11, v9
	global_store_dwordx2 v[6:7], v[10:11], off offset:128
.LBB108_13:
	s_or_b64 exec, exec, s[6:7]
	v_lshl_add_u64 v[6:7], v[0:1], 0, 16
	v_cmp_gt_i64_e64 s[6:7], s[10:11], v[6:7]
	s_and_b64 exec, exec, s[6:7]
	s_cbranch_execz .LBB108_18
; %bb.14:
	s_lshl_b64 s[6:7], s[24:25], 7
	v_lshl_add_u64 v[4:5], v[4:5], 0, s[6:7]
	v_lshl_add_u64 v[2:3], v[2:3], 3, v[4:5]
	s_and_saveexec_b64 s[6:7], vcc
	s_cbranch_execz .LBB108_16
; %bb.15:
	v_pk_mul_f32 v[4:5], v[16:17], s[34:35]
	s_nop 0
	v_pk_fma_f32 v[6:7], v[16:17], s[26:27], v[4:5] op_sel:[0,0,1] op_sel_hi:[1,1,0] neg_lo:[0,0,1] neg_hi:[0,0,1]
	v_pk_fma_f32 v[4:5], v[16:17], s[26:27], v[4:5] op_sel:[0,0,1] op_sel_hi:[1,1,0]
	s_nop 0
	v_mov_b32_e32 v7, v5
	global_store_dwordx2 v[2:3], v[6:7], off
.LBB108_16:
	s_or_b64 exec, exec, s[6:7]
	s_and_b64 exec, exec, s[2:3]
	s_cbranch_execz .LBB108_18
; %bb.17:
	v_pk_mul_f32 v[4:5], v[14:15], s[34:35]
	s_nop 0
	v_pk_fma_f32 v[6:7], v[14:15], s[26:27], v[4:5] op_sel:[0,0,1] op_sel_hi:[1,1,0] neg_lo:[0,0,1] neg_hi:[0,0,1]
	v_pk_fma_f32 v[4:5], v[14:15], s[26:27], v[4:5] op_sel:[0,0,1] op_sel_hi:[1,1,0]
	s_nop 0
	v_mov_b32_e32 v7, v5
	global_store_dwordx2 v[2:3], v[6:7], off offset:128
.LBB108_18:
	s_or_b64 exec, exec, s[22:23]
	s_mov_b64 s[2:3], 0
.LBB108_19:
	s_andn2_b64 vcc, exec, s[2:3]
	s_cbranch_vccnz .LBB108_30
; %bb.20:
	s_and_saveexec_b64 s[2:3], s[0:1]
	s_cbranch_execz .LBB108_30
; %bb.21:
	s_mul_i32 s0, s21, s4
	s_mul_hi_u32 s1, s20, s4
	s_add_i32 s1, s1, s0
	s_mul_i32 s0, s20, s4
	s_lshl_b64 s[0:1], s[0:1], 3
	v_mul_lo_u32 v4, v1, s18
	v_mul_lo_u32 v5, v0, s19
	v_mad_u64_u32 v[2:3], s[2:3], v0, s18, 0
	s_add_u32 s0, s16, s0
	v_add3_u32 v3, v3, v5, v4
	v_mul_lo_u32 v6, v1, s24
	v_mul_lo_u32 v7, v0, s25
	v_mad_u64_u32 v[4:5], s[2:3], v0, s24, 0
	s_addc_u32 s1, s17, s1
	v_lshl_add_u64 v[8:9], s[30:31], 0, v[12:13]
	v_add3_u32 v5, v5, v7, v6
	v_cmp_gt_i64_e32 vcc, s[8:9], v[8:9]
	s_mov_b32 s4, s14
	s_mov_b32 s5, s14
	;; [unrolled: 1-line block ×6, first 2 shown]
	v_lshl_add_u64 v[6:7], v[2:3], 3, s[0:1]
	v_lshl_add_u64 v[4:5], v[4:5], 3, s[12:13]
	v_lshlrev_b64 v[2:3], 3, v[8:9]
	s_and_saveexec_b64 s[0:1], vcc
	s_cbranch_execz .LBB108_23
; %bb.22:
	v_lshl_add_u64 v[10:11], v[6:7], 0, v[2:3]
	global_load_dwordx2 v[10:11], v[10:11], off
	v_pk_mul_f32 v[22:23], v[20:21], s[14:15]
	v_lshl_add_u64 v[12:13], v[4:5], 0, v[2:3]
	v_pk_fma_f32 v[24:25], v[20:21], s[4:5], v[22:23] op_sel:[0,0,1] op_sel_hi:[1,1,0] neg_lo:[0,0,1] neg_hi:[0,0,1]
	v_pk_fma_f32 v[20:21], v[20:21], s[4:5], v[22:23] op_sel:[0,0,1] op_sel_hi:[1,1,0]
	s_nop 0
	v_mov_b32_e32 v25, v21
	s_waitcnt vmcnt(0)
	v_pk_mul_f32 v[20:21], v[10:11], s[28:29]
	s_nop 0
	v_pk_fma_f32 v[22:23], v[10:11], s[6:7], v[20:21] op_sel:[0,0,1] op_sel_hi:[1,1,0] neg_lo:[0,0,1] neg_hi:[0,0,1]
	v_pk_fma_f32 v[10:11], v[10:11], s[6:7], v[20:21] op_sel:[0,0,1] op_sel_hi:[1,1,0]
	s_nop 0
	v_mov_b32_e32 v23, v11
	v_pk_add_f32 v[10:11], v[24:25], v[22:23]
	global_store_dwordx2 v[12:13], v[10:11], off
.LBB108_23:
	s_or_b64 exec, exec, s[0:1]
	v_lshl_add_u64 v[8:9], v[8:9], 0, 16
	v_cmp_gt_i64_e64 s[0:1], s[8:9], v[8:9]
	s_and_saveexec_b64 s[2:3], s[0:1]
	s_cbranch_execz .LBB108_25
; %bb.24:
	v_lshl_add_u64 v[8:9], v[6:7], 0, v[2:3]
	global_load_dwordx2 v[8:9], v[8:9], off offset:128
	v_pk_mul_f32 v[12:13], v[18:19], s[14:15]
	v_lshl_add_u64 v[10:11], v[4:5], 0, v[2:3]
	v_pk_fma_f32 v[20:21], v[18:19], s[4:5], v[12:13] op_sel:[0,0,1] op_sel_hi:[1,1,0] neg_lo:[0,0,1] neg_hi:[0,0,1]
	v_pk_fma_f32 v[12:13], v[18:19], s[4:5], v[12:13] op_sel:[0,0,1] op_sel_hi:[1,1,0]
	s_nop 0
	v_mov_b32_e32 v21, v13
	s_waitcnt vmcnt(0)
	v_pk_mul_f32 v[12:13], v[8:9], s[28:29]
	s_nop 0
	v_pk_fma_f32 v[18:19], v[8:9], s[6:7], v[12:13] op_sel:[0,0,1] op_sel_hi:[1,1,0] neg_lo:[0,0,1] neg_hi:[0,0,1]
	v_pk_fma_f32 v[8:9], v[8:9], s[6:7], v[12:13] op_sel:[0,0,1] op_sel_hi:[1,1,0]
	s_nop 0
	v_mov_b32_e32 v19, v9
	v_pk_add_f32 v[8:9], v[20:21], v[18:19]
	global_store_dwordx2 v[10:11], v[8:9], off offset:128
.LBB108_25:
	s_or_b64 exec, exec, s[2:3]
	v_lshl_add_u64 v[0:1], v[0:1], 0, 16
	v_cmp_gt_i64_e64 s[2:3], s[10:11], v[0:1]
	s_and_b64 exec, exec, s[2:3]
	s_cbranch_execz .LBB108_30
; %bb.26:
	s_lshl_b64 s[2:3], s[18:19], 7
	v_lshl_add_u64 v[0:1], v[6:7], 0, s[2:3]
	s_lshl_b64 s[2:3], s[24:25], 7
	v_lshl_add_u64 v[6:7], v[4:5], 0, s[2:3]
	v_lshl_add_u64 v[4:5], v[0:1], 0, v[2:3]
	;; [unrolled: 1-line block ×3, first 2 shown]
	s_and_saveexec_b64 s[2:3], vcc
	s_cbranch_execz .LBB108_28
; %bb.27:
	global_load_dwordx2 v[2:3], v[4:5], off
	v_pk_mul_f32 v[6:7], v[16:17], s[14:15]
	s_nop 0
	v_pk_fma_f32 v[8:9], v[16:17], s[4:5], v[6:7] op_sel:[0,0,1] op_sel_hi:[1,1,0] neg_lo:[0,0,1] neg_hi:[0,0,1]
	v_pk_fma_f32 v[6:7], v[16:17], s[4:5], v[6:7] op_sel:[0,0,1] op_sel_hi:[1,1,0]
	s_nop 0
	v_mov_b32_e32 v9, v7
	s_waitcnt vmcnt(0)
	v_pk_mul_f32 v[6:7], v[2:3], s[28:29]
	s_nop 0
	v_pk_fma_f32 v[10:11], v[2:3], s[6:7], v[6:7] op_sel:[0,0,1] op_sel_hi:[1,1,0] neg_lo:[0,0,1] neg_hi:[0,0,1]
	v_pk_fma_f32 v[2:3], v[2:3], s[6:7], v[6:7] op_sel:[0,0,1] op_sel_hi:[1,1,0]
	s_nop 0
	v_mov_b32_e32 v11, v3
	v_pk_add_f32 v[2:3], v[8:9], v[10:11]
	global_store_dwordx2 v[0:1], v[2:3], off
.LBB108_28:
	s_or_b64 exec, exec, s[2:3]
	s_and_b64 exec, exec, s[0:1]
	s_cbranch_execz .LBB108_30
; %bb.29:
	global_load_dwordx2 v[2:3], v[4:5], off offset:128
	v_pk_mul_f32 v[4:5], v[14:15], s[14:15]
	s_nop 0
	v_pk_fma_f32 v[6:7], v[14:15], s[4:5], v[4:5] op_sel:[0,0,1] op_sel_hi:[1,1,0] neg_lo:[0,0,1] neg_hi:[0,0,1]
	v_pk_fma_f32 v[4:5], v[14:15], s[4:5], v[4:5] op_sel:[0,0,1] op_sel_hi:[1,1,0]
	s_nop 0
	v_mov_b32_e32 v7, v5
	s_waitcnt vmcnt(0)
	v_pk_mul_f32 v[4:5], v[2:3], s[28:29]
	s_nop 0
	v_pk_fma_f32 v[8:9], v[2:3], s[6:7], v[4:5] op_sel:[0,0,1] op_sel_hi:[1,1,0] neg_lo:[0,0,1] neg_hi:[0,0,1]
	v_pk_fma_f32 v[2:3], v[2:3], s[6:7], v[4:5] op_sel:[0,0,1] op_sel_hi:[1,1,0]
	s_nop 0
	v_mov_b32_e32 v9, v3
	v_pk_add_f32 v[2:3], v[6:7], v[8:9]
	global_store_dwordx2 v[0:1], v[2:3], off offset:128
.LBB108_30:
	s_endpgm
	.section	.rodata,"a",@progbits
	.p2align	6, 0x0
	.amdhsa_kernel _ZN12_GLOBAL__N_135rocblas_gemm_batched_general_kernelI19rocblas_complex_numIfELi16ELi16ELi32ELi32ELi8ELi32ELi8ELi8ELi32ELc84ELc78EKS2_S3_S2_EEvlllT_PT11_llS6_llS4_PT12_llPT13_lli
		.amdhsa_group_segment_fixed_size 4096
		.amdhsa_private_segment_fixed_size 0
		.amdhsa_kernarg_size 140
		.amdhsa_user_sgpr_count 2
		.amdhsa_user_sgpr_dispatch_ptr 0
		.amdhsa_user_sgpr_queue_ptr 0
		.amdhsa_user_sgpr_kernarg_segment_ptr 1
		.amdhsa_user_sgpr_dispatch_id 0
		.amdhsa_user_sgpr_kernarg_preload_length 0
		.amdhsa_user_sgpr_kernarg_preload_offset 0
		.amdhsa_user_sgpr_private_segment_size 0
		.amdhsa_uses_dynamic_stack 0
		.amdhsa_enable_private_segment 0
		.amdhsa_system_sgpr_workgroup_id_x 1
		.amdhsa_system_sgpr_workgroup_id_y 1
		.amdhsa_system_sgpr_workgroup_id_z 1
		.amdhsa_system_sgpr_workgroup_info 0
		.amdhsa_system_vgpr_workitem_id 1
		.amdhsa_next_free_vgpr 136
		.amdhsa_next_free_sgpr 36
		.amdhsa_accum_offset 136
		.amdhsa_reserve_vcc 1
		.amdhsa_float_round_mode_32 0
		.amdhsa_float_round_mode_16_64 0
		.amdhsa_float_denorm_mode_32 3
		.amdhsa_float_denorm_mode_16_64 3
		.amdhsa_dx10_clamp 1
		.amdhsa_ieee_mode 1
		.amdhsa_fp16_overflow 0
		.amdhsa_tg_split 0
		.amdhsa_exception_fp_ieee_invalid_op 0
		.amdhsa_exception_fp_denorm_src 0
		.amdhsa_exception_fp_ieee_div_zero 0
		.amdhsa_exception_fp_ieee_overflow 0
		.amdhsa_exception_fp_ieee_underflow 0
		.amdhsa_exception_fp_ieee_inexact 0
		.amdhsa_exception_int_div_zero 0
	.end_amdhsa_kernel
	.section	.text._ZN12_GLOBAL__N_135rocblas_gemm_batched_general_kernelI19rocblas_complex_numIfELi16ELi16ELi32ELi32ELi8ELi32ELi8ELi8ELi32ELc84ELc78EKS2_S3_S2_EEvlllT_PT11_llS6_llS4_PT12_llPT13_lli,"axG",@progbits,_ZN12_GLOBAL__N_135rocblas_gemm_batched_general_kernelI19rocblas_complex_numIfELi16ELi16ELi32ELi32ELi8ELi32ELi8ELi8ELi32ELc84ELc78EKS2_S3_S2_EEvlllT_PT11_llS6_llS4_PT12_llPT13_lli,comdat
.Lfunc_end108:
	.size	_ZN12_GLOBAL__N_135rocblas_gemm_batched_general_kernelI19rocblas_complex_numIfELi16ELi16ELi32ELi32ELi8ELi32ELi8ELi8ELi32ELc84ELc78EKS2_S3_S2_EEvlllT_PT11_llS6_llS4_PT12_llPT13_lli, .Lfunc_end108-_ZN12_GLOBAL__N_135rocblas_gemm_batched_general_kernelI19rocblas_complex_numIfELi16ELi16ELi32ELi32ELi8ELi32ELi8ELi8ELi32ELc84ELc78EKS2_S3_S2_EEvlllT_PT11_llS6_llS4_PT12_llPT13_lli
                                        ; -- End function
	.set _ZN12_GLOBAL__N_135rocblas_gemm_batched_general_kernelI19rocblas_complex_numIfELi16ELi16ELi32ELi32ELi8ELi32ELi8ELi8ELi32ELc84ELc78EKS2_S3_S2_EEvlllT_PT11_llS6_llS4_PT12_llPT13_lli.num_vgpr, 136
	.set _ZN12_GLOBAL__N_135rocblas_gemm_batched_general_kernelI19rocblas_complex_numIfELi16ELi16ELi32ELi32ELi8ELi32ELi8ELi8ELi32ELc84ELc78EKS2_S3_S2_EEvlllT_PT11_llS6_llS4_PT12_llPT13_lli.num_agpr, 0
	.set _ZN12_GLOBAL__N_135rocblas_gemm_batched_general_kernelI19rocblas_complex_numIfELi16ELi16ELi32ELi32ELi8ELi32ELi8ELi8ELi32ELc84ELc78EKS2_S3_S2_EEvlllT_PT11_llS6_llS4_PT12_llPT13_lli.numbered_sgpr, 36
	.set _ZN12_GLOBAL__N_135rocblas_gemm_batched_general_kernelI19rocblas_complex_numIfELi16ELi16ELi32ELi32ELi8ELi32ELi8ELi8ELi32ELc84ELc78EKS2_S3_S2_EEvlllT_PT11_llS6_llS4_PT12_llPT13_lli.num_named_barrier, 0
	.set _ZN12_GLOBAL__N_135rocblas_gemm_batched_general_kernelI19rocblas_complex_numIfELi16ELi16ELi32ELi32ELi8ELi32ELi8ELi8ELi32ELc84ELc78EKS2_S3_S2_EEvlllT_PT11_llS6_llS4_PT12_llPT13_lli.private_seg_size, 0
	.set _ZN12_GLOBAL__N_135rocblas_gemm_batched_general_kernelI19rocblas_complex_numIfELi16ELi16ELi32ELi32ELi8ELi32ELi8ELi8ELi32ELc84ELc78EKS2_S3_S2_EEvlllT_PT11_llS6_llS4_PT12_llPT13_lli.uses_vcc, 1
	.set _ZN12_GLOBAL__N_135rocblas_gemm_batched_general_kernelI19rocblas_complex_numIfELi16ELi16ELi32ELi32ELi8ELi32ELi8ELi8ELi32ELc84ELc78EKS2_S3_S2_EEvlllT_PT11_llS6_llS4_PT12_llPT13_lli.uses_flat_scratch, 0
	.set _ZN12_GLOBAL__N_135rocblas_gemm_batched_general_kernelI19rocblas_complex_numIfELi16ELi16ELi32ELi32ELi8ELi32ELi8ELi8ELi32ELc84ELc78EKS2_S3_S2_EEvlllT_PT11_llS6_llS4_PT12_llPT13_lli.has_dyn_sized_stack, 0
	.set _ZN12_GLOBAL__N_135rocblas_gemm_batched_general_kernelI19rocblas_complex_numIfELi16ELi16ELi32ELi32ELi8ELi32ELi8ELi8ELi32ELc84ELc78EKS2_S3_S2_EEvlllT_PT11_llS6_llS4_PT12_llPT13_lli.has_recursion, 0
	.set _ZN12_GLOBAL__N_135rocblas_gemm_batched_general_kernelI19rocblas_complex_numIfELi16ELi16ELi32ELi32ELi8ELi32ELi8ELi8ELi32ELc84ELc78EKS2_S3_S2_EEvlllT_PT11_llS6_llS4_PT12_llPT13_lli.has_indirect_call, 0
	.section	.AMDGPU.csdata,"",@progbits
; Kernel info:
; codeLenInByte = 3116
; TotalNumSgprs: 42
; NumVgprs: 136
; NumAgprs: 0
; TotalNumVgprs: 136
; ScratchSize: 0
; MemoryBound: 0
; FloatMode: 240
; IeeeMode: 1
; LDSByteSize: 4096 bytes/workgroup (compile time only)
; SGPRBlocks: 5
; VGPRBlocks: 16
; NumSGPRsForWavesPerEU: 42
; NumVGPRsForWavesPerEU: 136
; AccumOffset: 136
; Occupancy: 3
; WaveLimiterHint : 1
; COMPUTE_PGM_RSRC2:SCRATCH_EN: 0
; COMPUTE_PGM_RSRC2:USER_SGPR: 2
; COMPUTE_PGM_RSRC2:TRAP_HANDLER: 0
; COMPUTE_PGM_RSRC2:TGID_X_EN: 1
; COMPUTE_PGM_RSRC2:TGID_Y_EN: 1
; COMPUTE_PGM_RSRC2:TGID_Z_EN: 1
; COMPUTE_PGM_RSRC2:TIDIG_COMP_CNT: 1
; COMPUTE_PGM_RSRC3_GFX90A:ACCUM_OFFSET: 33
; COMPUTE_PGM_RSRC3_GFX90A:TG_SPLIT: 0
	.section	.text._ZN12_GLOBAL__N_135rocblas_gemm_batched_general_kernelI19rocblas_complex_numIfELi16ELi16ELi32ELi32ELi8ELi32ELi8ELi8ELi32ELc78ELc84EKS2_S3_S2_EEvlllT_PT11_llS6_llS4_PT12_llPT13_lli,"axG",@progbits,_ZN12_GLOBAL__N_135rocblas_gemm_batched_general_kernelI19rocblas_complex_numIfELi16ELi16ELi32ELi32ELi8ELi32ELi8ELi8ELi32ELc78ELc84EKS2_S3_S2_EEvlllT_PT11_llS6_llS4_PT12_llPT13_lli,comdat
	.globl	_ZN12_GLOBAL__N_135rocblas_gemm_batched_general_kernelI19rocblas_complex_numIfELi16ELi16ELi32ELi32ELi8ELi32ELi8ELi8ELi32ELc78ELc84EKS2_S3_S2_EEvlllT_PT11_llS6_llS4_PT12_llPT13_lli ; -- Begin function _ZN12_GLOBAL__N_135rocblas_gemm_batched_general_kernelI19rocblas_complex_numIfELi16ELi16ELi32ELi32ELi8ELi32ELi8ELi8ELi32ELc78ELc84EKS2_S3_S2_EEvlllT_PT11_llS6_llS4_PT12_llPT13_lli
	.p2align	8
	.type	_ZN12_GLOBAL__N_135rocblas_gemm_batched_general_kernelI19rocblas_complex_numIfELi16ELi16ELi32ELi32ELi8ELi32ELi8ELi8ELi32ELc78ELc84EKS2_S3_S2_EEvlllT_PT11_llS6_llS4_PT12_llPT13_lli,@function
_ZN12_GLOBAL__N_135rocblas_gemm_batched_general_kernelI19rocblas_complex_numIfELi16ELi16ELi32ELi32ELi8ELi32ELi8ELi8ELi32ELc78ELc84EKS2_S3_S2_EEvlllT_PT11_llS6_llS4_PT12_llPT13_lli: ; @_ZN12_GLOBAL__N_135rocblas_gemm_batched_general_kernelI19rocblas_complex_numIfELi16ELi16ELi32ELi32ELi8ELi32ELi8ELi8ELi32ELc78ELc84EKS2_S3_S2_EEvlllT_PT11_llS6_llS4_PT12_llPT13_lli
; %bb.0:
	s_load_dwordx16 s[12:27], s[0:1], 0x0
	s_load_dwordx2 s[34:35], s[0:1], 0x50
	s_mov_b32 s10, s3
	v_mov_b32_e32 v23, 0
	s_ashr_i32 s3, s2, 31
	s_ashr_i32 s11, s10, 31
	s_waitcnt lgkmcnt(0)
	v_cmp_lt_i64_e64 s[6:7], s[16:17], 1
	v_and_b32_e32 v12, 0x3ff, v0
	v_bfe_u32 v22, v0, 10, 10
	v_mov_b32_e32 v13, v23
	s_lshl_b64 s[36:37], s[2:3], 5
	s_lshl_b64 s[38:39], s[10:11], 5
	s_and_b64 vcc, exec, s[6:7]
	v_mov_b32_e32 v21, v23
	v_mov_b32_e32 v20, v23
	;; [unrolled: 1-line block ×8, first 2 shown]
	s_cbranch_vccnz .LBB109_7
; %bb.1:
	v_lshl_add_u32 v6, v22, 4, v12
	v_mov_b32_e32 v25, 0
	s_load_dwordx4 s[28:31], s[0:1], 0x40
	v_lshrrev_b32_e32 v0, 3, v6
	v_mov_b32_e32 v1, v25
	v_lshl_add_u64 v[2:3], v[0:1], 0, s[38:39]
	v_and_b32_e32 v1, 31, v6
	v_and_b32_e32 v26, 7, v12
	v_or_b32_e32 v4, s36, v1
	v_mov_b32_e32 v5, s37
	v_cmp_gt_i64_e64 s[6:7], s[12:13], v[4:5]
	v_lshlrev_b32_e32 v4, 3, v1
	v_lshlrev_b32_e32 v1, 3, v26
	v_lshl_or_b32 v0, v0, 6, v1
	v_add_u32_e32 v45, 0x800, v0
	v_mov_b32_e32 v0, 0x800
	s_waitcnt lgkmcnt(0)
	s_mul_i32 s5, s31, s4
	s_mul_hi_u32 s31, s30, s4
	v_lshl_add_u32 v47, v22, 6, v0
	s_add_i32 s31, s31, s5
	s_mul_i32 s30, s30, s4
	v_mad_u64_u32 v[0:1], s[40:41], s28, v26, 0
	v_cmp_gt_i64_e64 s[8:9], s[14:15], v[2:3]
	s_lshl_b64 s[30:31], s[30:31], 3
	v_mov_b32_e32 v2, v1
	s_lshl_b64 s[10:11], s[10:11], 8
	v_mad_u64_u32 v[2:3], s[40:41], s29, v26, v[2:3]
	s_add_u32 s10, s10, s30
	v_mov_b32_e32 v1, v2
	s_addc_u32 s11, s11, s31
	v_lshl_add_u64 v[0:1], v[0:1], 3, s[10:11]
	v_and_b32_e32 v2, 0x7ff8, v6
	v_mov_b32_e32 v3, v25
	v_lshrrev_b32_e32 v24, 5, v6
	v_lshl_add_u64 v[0:1], v[0:1], 0, v[2:3]
	s_mul_i32 s5, s25, s4
	s_mul_hi_u32 s25, s24, s4
	v_lshl_add_u64 v[28:29], s[26:27], 0, v[0:1]
	v_mad_u64_u32 v[0:1], s[26:27], s22, v24, 0
	s_add_i32 s25, s25, s5
	s_mul_i32 s24, s24, s4
	s_lshl_b64 s[10:11], s[28:29], 6
	v_mov_b32_e32 v2, v1
	s_lshl_b64 s[24:25], s[24:25], 3
	s_lshl_b64 s[2:3], s[2:3], 8
	v_mad_u64_u32 v[2:3], s[26:27], s23, v24, v[2:3]
	s_add_u32 s2, s2, s24
	v_mov_b32_e32 v1, v2
	s_addc_u32 s3, s3, s25
	v_lshl_add_u64 v[0:1], v[0:1], 3, s[2:3]
	v_mov_b32_e32 v5, v25
	v_lshl_add_u64 v[0:1], v[0:1], 0, v[4:5]
	v_mov_b32_e32 v27, v25
	v_lshl_or_b32 v44, v24, 8, v4
	v_lshlrev_b32_e32 v46, 3, v12
	v_lshl_add_u64 v[30:31], s[20:21], 0, v[0:1]
	s_lshl_b64 s[2:3], s[22:23], 6
	s_mov_b64 s[20:21], 0
	v_mov_b64_e32 v[32:33], s[16:17]
	v_mov_b32_e32 v14, v25
	v_mov_b32_e32 v15, v25
	;; [unrolled: 1-line block ×8, first 2 shown]
	s_branch .LBB109_3
.LBB109_2:                              ;   in Loop: Header=BB109_3 Depth=1
	s_or_b64 exec, exec, s[22:23]
	s_waitcnt vmcnt(0)
	ds_write_b64 v45, v[0:1]
	s_waitcnt lgkmcnt(0)
	s_barrier
	ds_read2_b64 v[4:7], v46 offset1:16
	ds_read_b128 v[48:51], v47
	ds_read2_b64 v[8:11], v46 offset0:32 offset1:48
	ds_read_b128 v[0:3], v47 offset:16
	ds_read_b128 v[52:55], v47 offset:1024
	s_add_u32 s20, s20, 8
	s_waitcnt lgkmcnt(3)
	v_pk_mul_f32 v[36:37], v[48:49], v[4:5] op_sel:[0,1]
	v_pk_mul_f32 v[56:57], v[48:49], v[6:7] op_sel:[0,1]
	v_pk_fma_f32 v[34:35], v[48:49], v[4:5], v[36:37] op_sel:[0,0,1] op_sel_hi:[1,1,0] neg_lo:[0,0,1] neg_hi:[0,0,1]
	v_pk_fma_f32 v[36:37], v[48:49], v[4:5], v[36:37] op_sel:[0,0,1] op_sel_hi:[1,0,0]
	s_waitcnt lgkmcnt(2)
	v_pk_mul_f32 v[40:41], v[50:51], v[8:9] op_sel:[0,1]
	v_pk_fma_f32 v[42:43], v[48:49], v[6:7], v[56:57] op_sel:[0,0,1] op_sel_hi:[1,1,0] neg_lo:[0,0,1] neg_hi:[0,0,1]
	v_pk_fma_f32 v[72:73], v[48:49], v[6:7], v[56:57] op_sel:[0,0,1] op_sel_hi:[1,0,0]
	v_pk_mul_f32 v[48:49], v[50:51], v[10:11] op_sel:[0,1]
	v_pk_fma_f32 v[38:39], v[50:51], v[8:9], v[40:41] op_sel:[0,0,1] op_sel_hi:[1,1,0] neg_lo:[0,0,1] neg_hi:[0,0,1]
	v_pk_fma_f32 v[40:41], v[50:51], v[8:9], v[40:41] op_sel:[0,0,1] op_sel_hi:[1,0,0]
	v_pk_fma_f32 v[74:75], v[50:51], v[10:11], v[48:49] op_sel:[0,0,1] op_sel_hi:[1,1,0] neg_lo:[0,0,1] neg_hi:[0,0,1]
	v_pk_fma_f32 v[76:77], v[50:51], v[10:11], v[48:49] op_sel:[0,0,1] op_sel_hi:[1,0,0]
	ds_read_b128 v[48:51], v47 offset:1040
	s_waitcnt lgkmcnt(1)
	v_pk_mul_f32 v[56:57], v[52:53], v[4:5] op_sel:[0,1]
	v_mov_b32_e32 v35, v37
	v_pk_fma_f32 v[78:79], v[52:53], v[4:5], v[56:57] op_sel:[0,0,1] op_sel_hi:[1,1,0] neg_lo:[0,0,1] neg_hi:[0,0,1]
	v_pk_fma_f32 v[80:81], v[52:53], v[4:5], v[56:57] op_sel:[0,0,1] op_sel_hi:[1,0,0]
	v_pk_mul_f32 v[4:5], v[52:53], v[6:7] op_sel:[0,1]
	ds_read2_b64 v[56:59], v46 offset0:96 offset1:112
	v_pk_fma_f32 v[82:83], v[52:53], v[6:7], v[4:5] op_sel:[0,0,1] op_sel_hi:[1,1,0] neg_lo:[0,0,1] neg_hi:[0,0,1]
	v_pk_fma_f32 v[84:85], v[52:53], v[6:7], v[4:5] op_sel:[0,0,1] op_sel_hi:[1,0,0]
	v_pk_mul_f32 v[4:5], v[54:55], v[8:9] op_sel:[0,1]
	v_pk_add_f32 v[20:21], v[20:21], v[34:35]
	v_pk_fma_f32 v[86:87], v[54:55], v[8:9], v[4:5] op_sel:[0,0,1] op_sel_hi:[1,1,0] neg_lo:[0,0,1] neg_hi:[0,0,1]
	v_pk_fma_f32 v[88:89], v[54:55], v[8:9], v[4:5] op_sel:[0,0,1] op_sel_hi:[1,0,0]
	ds_read2_b64 v[4:7], v46 offset0:64 offset1:80
	v_pk_mul_f32 v[8:9], v[54:55], v[10:11] op_sel:[0,1]
	v_mov_b32_e32 v79, v81
	v_pk_fma_f32 v[90:91], v[54:55], v[10:11], v[8:9] op_sel:[0,0,1] op_sel_hi:[1,1,0] neg_lo:[0,0,1] neg_hi:[0,0,1]
	v_pk_fma_f32 v[92:93], v[54:55], v[10:11], v[8:9] op_sel:[0,0,1] op_sel_hi:[1,0,0]
	s_waitcnt lgkmcnt(0)
	v_pk_mul_f32 v[8:9], v[0:1], v[4:5] op_sel:[0,1]
	v_pk_mul_f32 v[60:61], v[0:1], v[6:7] op_sel:[0,1]
	v_pk_fma_f32 v[94:95], v[0:1], v[4:5], v[8:9] op_sel:[0,0,1] op_sel_hi:[1,1,0] neg_lo:[0,0,1] neg_hi:[0,0,1]
	v_pk_fma_f32 v[96:97], v[0:1], v[4:5], v[8:9] op_sel:[0,0,1] op_sel_hi:[1,0,0]
	v_pk_mul_f32 v[8:9], v[2:3], v[56:57] op_sel:[0,1]
	v_pk_mul_f32 v[34:35], v[48:49], v[4:5] op_sel:[0,1]
	v_pk_fma_f32 v[98:99], v[2:3], v[56:57], v[8:9] op_sel:[0,0,1] op_sel_hi:[1,1,0] neg_lo:[0,0,1] neg_hi:[0,0,1]
	v_pk_fma_f32 v[100:101], v[2:3], v[56:57], v[8:9] op_sel:[0,0,1] op_sel_hi:[1,0,0]
	ds_read2_b64 v[8:11], v46 offset0:128 offset1:144
	ds_read_b128 v[52:55], v47 offset:32
	v_pk_fma_f32 v[102:103], v[0:1], v[6:7], v[60:61] op_sel:[0,0,1] op_sel_hi:[1,1,0] neg_lo:[0,0,1] neg_hi:[0,0,1]
	v_pk_fma_f32 v[104:105], v[0:1], v[6:7], v[60:61] op_sel:[0,0,1] op_sel_hi:[1,0,0]
	v_pk_mul_f32 v[0:1], v[2:3], v[58:59] op_sel:[0,1]
	v_pk_add_f32 v[16:17], v[16:17], v[78:79]
	v_mov_b32_e32 v87, v89
	v_pk_fma_f32 v[36:37], v[48:49], v[4:5], v[34:35] op_sel:[0,0,1] op_sel_hi:[1,1,0] neg_lo:[0,0,1] neg_hi:[0,0,1]
	v_pk_fma_f32 v[4:5], v[48:49], v[4:5], v[34:35] op_sel:[0,0,1] op_sel_hi:[1,0,0]
	v_pk_fma_f32 v[106:107], v[2:3], v[58:59], v[0:1] op_sel:[0,0,1] op_sel_hi:[1,1,0] neg_lo:[0,0,1] neg_hi:[0,0,1]
	v_pk_fma_f32 v[108:109], v[2:3], v[58:59], v[0:1] op_sel:[0,0,1] op_sel_hi:[1,0,0]
	ds_read2_b64 v[0:3], v46 offset0:160 offset1:176
	ds_read_b128 v[60:63], v47 offset:48
	v_pk_add_f32 v[16:17], v[16:17], v[86:87]
	v_mov_b32_e32 v37, v5
	v_pk_add_f32 v[4:5], v[16:17], v[36:37]
	ds_read_b128 v[34:37], v47 offset:1056
	s_waitcnt lgkmcnt(3)
	v_pk_mul_f32 v[64:65], v[52:53], v[8:9] op_sel:[0,1]
	v_mov_b32_e32 v39, v41
	v_pk_mul_f32 v[16:17], v[50:51], v[56:57] op_sel:[0,1]
	v_pk_fma_f32 v[110:111], v[52:53], v[8:9], v[64:65] op_sel:[0,0,1] op_sel_hi:[1,1,0] neg_lo:[0,0,1] neg_hi:[0,0,1]
	v_pk_fma_f32 v[112:113], v[52:53], v[8:9], v[64:65] op_sel:[0,0,1] op_sel_hi:[1,0,0]
	s_waitcnt lgkmcnt(2)
	v_pk_mul_f32 v[64:65], v[54:55], v[0:1] op_sel:[0,1]
	v_pk_add_f32 v[20:21], v[20:21], v[38:39]
	v_pk_fma_f32 v[38:39], v[50:51], v[56:57], v[16:17] op_sel:[0,0,1] op_sel_hi:[1,1,0] neg_lo:[0,0,1] neg_hi:[0,0,1]
	v_pk_fma_f32 v[16:17], v[50:51], v[56:57], v[16:17] op_sel:[0,0,1] op_sel_hi:[1,0,0]
	v_pk_fma_f32 v[114:115], v[54:55], v[0:1], v[64:65] op_sel:[0,0,1] op_sel_hi:[1,1,0] neg_lo:[0,0,1] neg_hi:[0,0,1]
	v_pk_fma_f32 v[116:117], v[54:55], v[0:1], v[64:65] op_sel:[0,0,1] op_sel_hi:[1,0,0]
	v_pk_mul_f32 v[64:65], v[52:53], v[10:11] op_sel:[0,1]
	v_mov_b32_e32 v39, v17
	v_pk_fma_f32 v[118:119], v[52:53], v[10:11], v[64:65] op_sel:[0,0,1] op_sel_hi:[1,1,0] neg_lo:[0,0,1] neg_hi:[0,0,1]
	v_pk_fma_f32 v[52:53], v[52:53], v[10:11], v[64:65] op_sel:[0,0,1] op_sel_hi:[1,0,0]
	ds_read2_b64 v[64:67], v46 offset0:192 offset1:208
	v_mov_b32_e32 v43, v73
	v_pk_add_f32 v[4:5], v[4:5], v[38:39]
	ds_read_b128 v[38:41], v47 offset:1072
	s_waitcnt lgkmcnt(2)
	v_pk_mul_f32 v[16:17], v[34:35], v[8:9] op_sel:[0,1]
	v_pk_add_f32 v[18:19], v[18:19], v[42:43]
	v_pk_fma_f32 v[42:43], v[34:35], v[8:9], v[16:17] op_sel:[0,0,1] op_sel_hi:[1,1,0] neg_lo:[0,0,1] neg_hi:[0,0,1]
	v_pk_fma_f32 v[8:9], v[34:35], v[8:9], v[16:17] op_sel:[0,0,1] op_sel_hi:[1,0,0]
	ds_read2_b64 v[68:71], v46 offset0:224 offset1:240
	v_mov_b32_e32 v43, v9
	v_pk_mul_f32 v[8:9], v[36:37], v[0:1] op_sel:[0,1]
	v_pk_add_f32 v[4:5], v[4:5], v[42:43]
	v_pk_fma_f32 v[16:17], v[36:37], v[0:1], v[8:9] op_sel:[0,0,1] op_sel_hi:[1,1,0] neg_lo:[0,0,1] neg_hi:[0,0,1]
	v_pk_fma_f32 v[0:1], v[36:37], v[0:1], v[8:9] op_sel:[0,0,1] op_sel_hi:[1,0,0]
	v_mov_b32_e32 v83, v85
	v_mov_b32_e32 v17, v1
	v_pk_add_f32 v[0:1], v[4:5], v[16:17]
	s_waitcnt lgkmcnt(1)
	v_pk_mul_f32 v[4:5], v[38:39], v[64:65] op_sel:[0,1]
	v_mov_b32_e32 v91, v93
	v_pk_fma_f32 v[8:9], v[38:39], v[64:65], v[4:5] op_sel:[0,0,1] op_sel_hi:[1,1,0] neg_lo:[0,0,1] neg_hi:[0,0,1]
	v_pk_fma_f32 v[4:5], v[38:39], v[64:65], v[4:5] op_sel:[0,0,1] op_sel_hi:[1,0,0]
	v_pk_mul_f32 v[120:121], v[54:55], v[2:3] op_sel:[0,1]
	v_mov_b32_e32 v9, v5
	s_waitcnt lgkmcnt(0)
	v_pk_mul_f32 v[4:5], v[40:41], v[68:69] op_sel:[0,1]
	v_pk_add_f32 v[0:1], v[0:1], v[8:9]
	v_pk_fma_f32 v[8:9], v[40:41], v[68:69], v[4:5] op_sel:[0,0,1] op_sel_hi:[1,1,0] neg_lo:[0,0,1] neg_hi:[0,0,1]
	v_pk_fma_f32 v[4:5], v[40:41], v[68:69], v[4:5] op_sel:[0,0,1] op_sel_hi:[1,0,0]
	v_mov_b32_e32 v75, v77
	v_mov_b32_e32 v9, v5
	v_pk_mul_f32 v[4:5], v[48:49], v[6:7] op_sel:[0,1]
	v_pk_add_f32 v[16:17], v[0:1], v[8:9]
	v_pk_fma_f32 v[8:9], v[48:49], v[6:7], v[4:5] op_sel:[0,0,1] op_sel_hi:[1,1,0] neg_lo:[0,0,1] neg_hi:[0,0,1]
	v_pk_fma_f32 v[4:5], v[48:49], v[6:7], v[4:5] op_sel:[0,0,1] op_sel_hi:[1,0,0]
	v_pk_add_f32 v[0:1], v[14:15], v[82:83]
	v_mov_b32_e32 v9, v5
	v_pk_mul_f32 v[4:5], v[50:51], v[58:59] op_sel:[0,1]
	v_pk_add_f32 v[0:1], v[0:1], v[90:91]
	v_pk_fma_f32 v[6:7], v[50:51], v[58:59], v[4:5] op_sel:[0,0,1] op_sel_hi:[1,1,0] neg_lo:[0,0,1] neg_hi:[0,0,1]
	v_pk_fma_f32 v[4:5], v[50:51], v[58:59], v[4:5] op_sel:[0,0,1] op_sel_hi:[1,0,0]
	v_pk_add_f32 v[0:1], v[0:1], v[8:9]
	v_mov_b32_e32 v7, v5
	v_pk_mul_f32 v[4:5], v[34:35], v[10:11] op_sel:[0,1]
	v_pk_add_f32 v[0:1], v[0:1], v[6:7]
	v_pk_fma_f32 v[6:7], v[34:35], v[10:11], v[4:5] op_sel:[0,0,1] op_sel_hi:[1,1,0] neg_lo:[0,0,1] neg_hi:[0,0,1]
	v_pk_fma_f32 v[4:5], v[34:35], v[10:11], v[4:5] op_sel:[0,0,1] op_sel_hi:[1,0,0]
	v_pk_fma_f32 v[122:123], v[54:55], v[2:3], v[120:121] op_sel:[0,0,1] op_sel_hi:[1,1,0] neg_lo:[0,0,1] neg_hi:[0,0,1]
	v_mov_b32_e32 v7, v5
	v_pk_mul_f32 v[4:5], v[36:37], v[2:3] op_sel:[0,1]
	v_pk_fma_f32 v[54:55], v[54:55], v[2:3], v[120:121] op_sel:[0,0,1] op_sel_hi:[1,0,0]
	v_mov_b32_e32 v95, v97
	v_pk_add_f32 v[18:19], v[18:19], v[74:75]
	v_mov_b32_e32 v103, v105
	v_pk_add_f32 v[0:1], v[0:1], v[6:7]
	v_pk_fma_f32 v[6:7], v[36:37], v[2:3], v[4:5] op_sel:[0,0,1] op_sel_hi:[1,1,0] neg_lo:[0,0,1] neg_hi:[0,0,1]
	v_pk_fma_f32 v[2:3], v[36:37], v[2:3], v[4:5] op_sel:[0,0,1] op_sel_hi:[1,0,0]
	v_pk_add_f32 v[20:21], v[20:21], v[94:95]
	v_mov_b32_e32 v99, v101
	v_pk_add_f32 v[18:19], v[18:19], v[102:103]
	v_mov_b32_e32 v107, v109
	v_mov_b32_e32 v7, v3
	v_pk_mul_f32 v[2:3], v[38:39], v[66:67] op_sel:[0,1]
	v_pk_mul_f32 v[120:121], v[60:61], v[64:65] op_sel:[0,1]
	v_pk_mul_f32 v[130:131], v[60:61], v[66:67] op_sel:[0,1]
	v_pk_add_f32 v[20:21], v[20:21], v[98:99]
	v_mov_b32_e32 v111, v113
	v_pk_add_f32 v[18:19], v[18:19], v[106:107]
	v_mov_b32_e32 v119, v53
	v_pk_fma_f32 v[4:5], v[38:39], v[66:67], v[2:3] op_sel:[0,0,1] op_sel_hi:[1,1,0] neg_lo:[0,0,1] neg_hi:[0,0,1]
	v_pk_fma_f32 v[2:3], v[38:39], v[66:67], v[2:3] op_sel:[0,0,1] op_sel_hi:[1,0,0]
	v_pk_fma_f32 v[124:125], v[60:61], v[64:65], v[120:121] op_sel:[0,0,1] op_sel_hi:[1,1,0] neg_lo:[0,0,1] neg_hi:[0,0,1]
	v_pk_fma_f32 v[120:121], v[60:61], v[64:65], v[120:121] op_sel:[0,0,1] op_sel_hi:[1,0,0]
	v_pk_mul_f32 v[126:127], v[62:63], v[68:69] op_sel:[0,1]
	v_pk_fma_f32 v[132:133], v[60:61], v[66:67], v[130:131] op_sel:[0,0,1] op_sel_hi:[1,1,0] neg_lo:[0,0,1] neg_hi:[0,0,1]
	v_pk_fma_f32 v[60:61], v[60:61], v[66:67], v[130:131] op_sel:[0,0,1] op_sel_hi:[1,0,0]
	v_pk_mul_f32 v[130:131], v[62:63], v[70:71] op_sel:[0,1]
	v_pk_add_f32 v[20:21], v[20:21], v[110:111]
	v_mov_b32_e32 v115, v117
	v_pk_add_f32 v[18:19], v[18:19], v[118:119]
	v_mov_b32_e32 v123, v55
	;; [unrolled: 2-line block ×3, first 2 shown]
	v_pk_mul_f32 v[2:3], v[40:41], v[70:71] op_sel:[0,1]
	v_pk_fma_f32 v[128:129], v[62:63], v[68:69], v[126:127] op_sel:[0,0,1] op_sel_hi:[1,1,0] neg_lo:[0,0,1] neg_hi:[0,0,1]
	v_pk_fma_f32 v[126:127], v[62:63], v[68:69], v[126:127] op_sel:[0,0,1] op_sel_hi:[1,0,0]
	v_pk_fma_f32 v[134:135], v[62:63], v[70:71], v[130:131] op_sel:[0,0,1] op_sel_hi:[1,1,0] neg_lo:[0,0,1] neg_hi:[0,0,1]
	v_pk_fma_f32 v[62:63], v[62:63], v[70:71], v[130:131] op_sel:[0,0,1] op_sel_hi:[1,0,0]
	v_pk_add_f32 v[20:21], v[20:21], v[114:115]
	v_mov_b32_e32 v125, v121
	v_pk_add_f32 v[18:19], v[18:19], v[122:123]
	v_mov_b32_e32 v133, v61
	v_pk_add_f32 v[0:1], v[0:1], v[4:5]
	v_pk_fma_f32 v[4:5], v[40:41], v[70:71], v[2:3] op_sel:[0,0,1] op_sel_hi:[1,1,0] neg_lo:[0,0,1] neg_hi:[0,0,1]
	v_pk_fma_f32 v[2:3], v[40:41], v[70:71], v[2:3] op_sel:[0,0,1] op_sel_hi:[1,0,0]
	s_addc_u32 s21, s21, 0
	v_pk_add_f32 v[20:21], v[20:21], v[124:125]
	v_mov_b32_e32 v129, v127
	v_pk_add_f32 v[18:19], v[18:19], v[132:133]
	v_mov_b32_e32 v135, v63
	v_mov_b32_e32 v5, v3
	v_cmp_lt_i64_e32 vcc, s[20:21], v[32:33]
	v_pk_add_f32 v[20:21], v[20:21], v[128:129]
	v_pk_add_f32 v[18:19], v[18:19], v[134:135]
	;; [unrolled: 1-line block ×3, first 2 shown]
	v_lshl_add_u64 v[28:29], v[28:29], 0, s[10:11]
	v_lshl_add_u64 v[30:31], v[30:31], 0, s[2:3]
	s_barrier
	s_cbranch_vccz .LBB109_7
.LBB109_3:                              ; =>This Inner Loop Header: Depth=1
	v_lshl_add_u64 v[0:1], v[24:25], 0, s[20:21]
	v_cmp_gt_i64_e32 vcc, s[16:17], v[0:1]
	s_and_b64 s[24:25], s[6:7], vcc
	v_mov_b32_e32 v0, 0
	v_mov_b32_e32 v1, 0
	s_and_saveexec_b64 s[22:23], s[24:25]
	s_cbranch_execz .LBB109_5
; %bb.4:                                ;   in Loop: Header=BB109_3 Depth=1
	global_load_dwordx2 v[0:1], v[30:31], off
.LBB109_5:                              ;   in Loop: Header=BB109_3 Depth=1
	s_or_b64 exec, exec, s[22:23]
	s_waitcnt vmcnt(0)
	ds_write_b64 v44, v[0:1]
	v_lshl_add_u64 v[0:1], v[26:27], 0, s[20:21]
	v_cmp_gt_i64_e32 vcc, s[16:17], v[0:1]
	s_and_b64 s[24:25], vcc, s[8:9]
	v_mov_b32_e32 v0, 0
	v_mov_b32_e32 v1, 0
	s_and_saveexec_b64 s[22:23], s[24:25]
	s_cbranch_execz .LBB109_2
; %bb.6:                                ;   in Loop: Header=BB109_3 Depth=1
	global_load_dwordx2 v[0:1], v[28:29], off
	s_branch .LBB109_2
.LBB109_7:
	s_load_dwordx4 s[8:11], s[0:1], 0x78
	s_load_dwordx8 s[20:27], s[0:1], 0x58
	v_lshl_add_u64 v[0:1], s[38:39], 0, v[22:23]
	s_waitcnt lgkmcnt(0)
	s_mul_i32 s1, s11, s4
	s_mul_hi_u32 s2, s10, s4
	s_mul_i32 s0, s10, s4
	s_add_i32 s1, s2, s1
	s_lshl_b64 s[0:1], s[0:1], 3
	s_add_u32 s10, s26, s0
	s_addc_u32 s11, s27, s1
	s_or_b32 s0, s34, s35
	s_bitset0_b32 s0, 31
	s_cmp_lg_u32 s0, 0
	v_cmp_gt_i64_e64 s[0:1], s[14:15], v[0:1]
	s_mov_b64 s[2:3], -1
	s_cbranch_scc1 .LBB109_19
; %bb.8:
	s_and_saveexec_b64 s[16:17], s[0:1]
	s_cbranch_execz .LBB109_18
; %bb.9:
	v_mul_lo_u32 v6, v1, s8
	v_mul_lo_u32 v7, v0, s9
	v_mad_u64_u32 v[4:5], s[2:3], v0, s8, 0
	v_add3_u32 v5, v5, v7, v6
	v_lshl_add_u64 v[2:3], s[36:37], 0, v[12:13]
	v_lshl_add_u64 v[4:5], v[4:5], 3, s[10:11]
	v_cmp_gt_i64_e32 vcc, s[12:13], v[2:3]
	s_mov_b32 s26, s18
	s_mov_b32 s27, s18
	;; [unrolled: 1-line block ×4, first 2 shown]
	v_lshl_add_u64 v[6:7], v[2:3], 3, v[4:5]
	s_and_saveexec_b64 s[2:3], vcc
	s_cbranch_execz .LBB109_11
; %bb.10:
	v_pk_mul_f32 v[8:9], v[20:21], s[28:29]
	s_nop 0
	v_pk_fma_f32 v[10:11], v[20:21], s[26:27], v[8:9] op_sel:[0,0,1] op_sel_hi:[1,1,0] neg_lo:[0,0,1] neg_hi:[0,0,1]
	v_pk_fma_f32 v[8:9], v[20:21], s[26:27], v[8:9] op_sel:[0,0,1] op_sel_hi:[1,1,0]
	s_nop 0
	v_mov_b32_e32 v11, v9
	global_store_dwordx2 v[6:7], v[10:11], off
.LBB109_11:
	s_or_b64 exec, exec, s[2:3]
	v_lshl_add_u64 v[8:9], v[2:3], 0, 16
	v_cmp_gt_i64_e64 s[2:3], s[12:13], v[8:9]
	s_and_saveexec_b64 s[6:7], s[2:3]
	s_cbranch_execz .LBB109_13
; %bb.12:
	v_pk_mul_f32 v[8:9], v[18:19], s[28:29]
	s_nop 0
	v_pk_fma_f32 v[10:11], v[18:19], s[26:27], v[8:9] op_sel:[0,0,1] op_sel_hi:[1,1,0] neg_lo:[0,0,1] neg_hi:[0,0,1]
	v_pk_fma_f32 v[8:9], v[18:19], s[26:27], v[8:9] op_sel:[0,0,1] op_sel_hi:[1,1,0]
	s_nop 0
	v_mov_b32_e32 v11, v9
	global_store_dwordx2 v[6:7], v[10:11], off offset:128
.LBB109_13:
	s_or_b64 exec, exec, s[6:7]
	v_lshl_add_u64 v[6:7], v[0:1], 0, 16
	v_cmp_gt_i64_e64 s[6:7], s[14:15], v[6:7]
	s_and_b64 exec, exec, s[6:7]
	s_cbranch_execz .LBB109_18
; %bb.14:
	s_lshl_b64 s[6:7], s[8:9], 7
	v_lshl_add_u64 v[4:5], v[4:5], 0, s[6:7]
	v_lshl_add_u64 v[2:3], v[2:3], 3, v[4:5]
	s_and_saveexec_b64 s[6:7], vcc
	s_cbranch_execz .LBB109_16
; %bb.15:
	v_pk_mul_f32 v[4:5], v[16:17], s[28:29]
	s_nop 0
	v_pk_fma_f32 v[6:7], v[16:17], s[26:27], v[4:5] op_sel:[0,0,1] op_sel_hi:[1,1,0] neg_lo:[0,0,1] neg_hi:[0,0,1]
	v_pk_fma_f32 v[4:5], v[16:17], s[26:27], v[4:5] op_sel:[0,0,1] op_sel_hi:[1,1,0]
	s_nop 0
	v_mov_b32_e32 v7, v5
	global_store_dwordx2 v[2:3], v[6:7], off
.LBB109_16:
	s_or_b64 exec, exec, s[6:7]
	s_and_b64 exec, exec, s[2:3]
	s_cbranch_execz .LBB109_18
; %bb.17:
	v_pk_mul_f32 v[4:5], v[14:15], s[28:29]
	s_nop 0
	v_pk_fma_f32 v[6:7], v[14:15], s[26:27], v[4:5] op_sel:[0,0,1] op_sel_hi:[1,1,0] neg_lo:[0,0,1] neg_hi:[0,0,1]
	v_pk_fma_f32 v[4:5], v[14:15], s[26:27], v[4:5] op_sel:[0,0,1] op_sel_hi:[1,1,0]
	s_nop 0
	v_mov_b32_e32 v7, v5
	global_store_dwordx2 v[2:3], v[6:7], off offset:128
.LBB109_18:
	s_or_b64 exec, exec, s[16:17]
	s_mov_b64 s[2:3], 0
.LBB109_19:
	s_andn2_b64 vcc, exec, s[2:3]
	s_cbranch_vccnz .LBB109_30
; %bb.20:
	s_and_saveexec_b64 s[2:3], s[0:1]
	s_cbranch_execz .LBB109_30
; %bb.21:
	s_mul_i32 s0, s25, s4
	s_mul_hi_u32 s1, s24, s4
	s_add_i32 s1, s1, s0
	s_mul_i32 s0, s24, s4
	s_lshl_b64 s[0:1], s[0:1], 3
	v_mul_lo_u32 v4, v1, s22
	v_mul_lo_u32 v5, v0, s23
	v_mad_u64_u32 v[2:3], s[2:3], v0, s22, 0
	s_add_u32 s0, s20, s0
	v_add3_u32 v3, v3, v5, v4
	v_mul_lo_u32 v6, v1, s8
	v_mul_lo_u32 v7, v0, s9
	v_mad_u64_u32 v[4:5], s[2:3], v0, s8, 0
	s_addc_u32 s1, s21, s1
	v_lshl_add_u64 v[8:9], s[36:37], 0, v[12:13]
	v_add3_u32 v5, v5, v7, v6
	v_cmp_gt_i64_e32 vcc, s[12:13], v[8:9]
	s_mov_b32 s4, s18
	s_mov_b32 s5, s18
	;; [unrolled: 1-line block ×6, first 2 shown]
	v_lshl_add_u64 v[6:7], v[2:3], 3, s[0:1]
	v_lshl_add_u64 v[4:5], v[4:5], 3, s[10:11]
	v_lshlrev_b64 v[2:3], 3, v[8:9]
	s_and_saveexec_b64 s[0:1], vcc
	s_cbranch_execz .LBB109_23
; %bb.22:
	v_lshl_add_u64 v[10:11], v[6:7], 0, v[2:3]
	global_load_dwordx2 v[10:11], v[10:11], off
	v_pk_mul_f32 v[22:23], v[20:21], s[18:19]
	v_lshl_add_u64 v[12:13], v[4:5], 0, v[2:3]
	v_pk_fma_f32 v[24:25], v[20:21], s[4:5], v[22:23] op_sel:[0,0,1] op_sel_hi:[1,1,0] neg_lo:[0,0,1] neg_hi:[0,0,1]
	v_pk_fma_f32 v[20:21], v[20:21], s[4:5], v[22:23] op_sel:[0,0,1] op_sel_hi:[1,1,0]
	s_nop 0
	v_mov_b32_e32 v25, v21
	s_waitcnt vmcnt(0)
	v_pk_mul_f32 v[20:21], v[10:11], s[34:35]
	s_nop 0
	v_pk_fma_f32 v[22:23], v[10:11], s[6:7], v[20:21] op_sel:[0,0,1] op_sel_hi:[1,1,0] neg_lo:[0,0,1] neg_hi:[0,0,1]
	v_pk_fma_f32 v[10:11], v[10:11], s[6:7], v[20:21] op_sel:[0,0,1] op_sel_hi:[1,1,0]
	s_nop 0
	v_mov_b32_e32 v23, v11
	v_pk_add_f32 v[10:11], v[24:25], v[22:23]
	global_store_dwordx2 v[12:13], v[10:11], off
.LBB109_23:
	s_or_b64 exec, exec, s[0:1]
	v_lshl_add_u64 v[8:9], v[8:9], 0, 16
	v_cmp_gt_i64_e64 s[0:1], s[12:13], v[8:9]
	s_and_saveexec_b64 s[2:3], s[0:1]
	s_cbranch_execz .LBB109_25
; %bb.24:
	v_lshl_add_u64 v[8:9], v[6:7], 0, v[2:3]
	global_load_dwordx2 v[8:9], v[8:9], off offset:128
	v_pk_mul_f32 v[12:13], v[18:19], s[18:19]
	v_lshl_add_u64 v[10:11], v[4:5], 0, v[2:3]
	v_pk_fma_f32 v[20:21], v[18:19], s[4:5], v[12:13] op_sel:[0,0,1] op_sel_hi:[1,1,0] neg_lo:[0,0,1] neg_hi:[0,0,1]
	v_pk_fma_f32 v[12:13], v[18:19], s[4:5], v[12:13] op_sel:[0,0,1] op_sel_hi:[1,1,0]
	s_nop 0
	v_mov_b32_e32 v21, v13
	s_waitcnt vmcnt(0)
	v_pk_mul_f32 v[12:13], v[8:9], s[34:35]
	s_nop 0
	v_pk_fma_f32 v[18:19], v[8:9], s[6:7], v[12:13] op_sel:[0,0,1] op_sel_hi:[1,1,0] neg_lo:[0,0,1] neg_hi:[0,0,1]
	v_pk_fma_f32 v[8:9], v[8:9], s[6:7], v[12:13] op_sel:[0,0,1] op_sel_hi:[1,1,0]
	s_nop 0
	v_mov_b32_e32 v19, v9
	v_pk_add_f32 v[8:9], v[20:21], v[18:19]
	global_store_dwordx2 v[10:11], v[8:9], off offset:128
.LBB109_25:
	s_or_b64 exec, exec, s[2:3]
	v_lshl_add_u64 v[0:1], v[0:1], 0, 16
	v_cmp_gt_i64_e64 s[2:3], s[14:15], v[0:1]
	s_and_b64 exec, exec, s[2:3]
	s_cbranch_execz .LBB109_30
; %bb.26:
	s_lshl_b64 s[2:3], s[22:23], 7
	v_lshl_add_u64 v[0:1], v[6:7], 0, s[2:3]
	s_lshl_b64 s[2:3], s[8:9], 7
	v_lshl_add_u64 v[6:7], v[4:5], 0, s[2:3]
	v_lshl_add_u64 v[4:5], v[0:1], 0, v[2:3]
	;; [unrolled: 1-line block ×3, first 2 shown]
	s_and_saveexec_b64 s[2:3], vcc
	s_cbranch_execz .LBB109_28
; %bb.27:
	global_load_dwordx2 v[2:3], v[4:5], off
	v_pk_mul_f32 v[6:7], v[16:17], s[18:19]
	s_nop 0
	v_pk_fma_f32 v[8:9], v[16:17], s[4:5], v[6:7] op_sel:[0,0,1] op_sel_hi:[1,1,0] neg_lo:[0,0,1] neg_hi:[0,0,1]
	v_pk_fma_f32 v[6:7], v[16:17], s[4:5], v[6:7] op_sel:[0,0,1] op_sel_hi:[1,1,0]
	s_nop 0
	v_mov_b32_e32 v9, v7
	s_waitcnt vmcnt(0)
	v_pk_mul_f32 v[6:7], v[2:3], s[34:35]
	s_nop 0
	v_pk_fma_f32 v[10:11], v[2:3], s[6:7], v[6:7] op_sel:[0,0,1] op_sel_hi:[1,1,0] neg_lo:[0,0,1] neg_hi:[0,0,1]
	v_pk_fma_f32 v[2:3], v[2:3], s[6:7], v[6:7] op_sel:[0,0,1] op_sel_hi:[1,1,0]
	s_nop 0
	v_mov_b32_e32 v11, v3
	v_pk_add_f32 v[2:3], v[8:9], v[10:11]
	global_store_dwordx2 v[0:1], v[2:3], off
.LBB109_28:
	s_or_b64 exec, exec, s[2:3]
	s_and_b64 exec, exec, s[0:1]
	s_cbranch_execz .LBB109_30
; %bb.29:
	global_load_dwordx2 v[2:3], v[4:5], off offset:128
	v_pk_mul_f32 v[4:5], v[14:15], s[18:19]
	s_nop 0
	v_pk_fma_f32 v[6:7], v[14:15], s[4:5], v[4:5] op_sel:[0,0,1] op_sel_hi:[1,1,0] neg_lo:[0,0,1] neg_hi:[0,0,1]
	v_pk_fma_f32 v[4:5], v[14:15], s[4:5], v[4:5] op_sel:[0,0,1] op_sel_hi:[1,1,0]
	s_nop 0
	v_mov_b32_e32 v7, v5
	s_waitcnt vmcnt(0)
	v_pk_mul_f32 v[4:5], v[2:3], s[34:35]
	s_nop 0
	v_pk_fma_f32 v[8:9], v[2:3], s[6:7], v[4:5] op_sel:[0,0,1] op_sel_hi:[1,1,0] neg_lo:[0,0,1] neg_hi:[0,0,1]
	v_pk_fma_f32 v[2:3], v[2:3], s[6:7], v[4:5] op_sel:[0,0,1] op_sel_hi:[1,1,0]
	s_nop 0
	v_mov_b32_e32 v9, v3
	v_pk_add_f32 v[2:3], v[6:7], v[8:9]
	global_store_dwordx2 v[0:1], v[2:3], off offset:128
.LBB109_30:
	s_endpgm
	.section	.rodata,"a",@progbits
	.p2align	6, 0x0
	.amdhsa_kernel _ZN12_GLOBAL__N_135rocblas_gemm_batched_general_kernelI19rocblas_complex_numIfELi16ELi16ELi32ELi32ELi8ELi32ELi8ELi8ELi32ELc78ELc84EKS2_S3_S2_EEvlllT_PT11_llS6_llS4_PT12_llPT13_lli
		.amdhsa_group_segment_fixed_size 4096
		.amdhsa_private_segment_fixed_size 0
		.amdhsa_kernarg_size 140
		.amdhsa_user_sgpr_count 2
		.amdhsa_user_sgpr_dispatch_ptr 0
		.amdhsa_user_sgpr_queue_ptr 0
		.amdhsa_user_sgpr_kernarg_segment_ptr 1
		.amdhsa_user_sgpr_dispatch_id 0
		.amdhsa_user_sgpr_kernarg_preload_length 0
		.amdhsa_user_sgpr_kernarg_preload_offset 0
		.amdhsa_user_sgpr_private_segment_size 0
		.amdhsa_uses_dynamic_stack 0
		.amdhsa_enable_private_segment 0
		.amdhsa_system_sgpr_workgroup_id_x 1
		.amdhsa_system_sgpr_workgroup_id_y 1
		.amdhsa_system_sgpr_workgroup_id_z 1
		.amdhsa_system_sgpr_workgroup_info 0
		.amdhsa_system_vgpr_workitem_id 1
		.amdhsa_next_free_vgpr 136
		.amdhsa_next_free_sgpr 42
		.amdhsa_accum_offset 136
		.amdhsa_reserve_vcc 1
		.amdhsa_float_round_mode_32 0
		.amdhsa_float_round_mode_16_64 0
		.amdhsa_float_denorm_mode_32 3
		.amdhsa_float_denorm_mode_16_64 3
		.amdhsa_dx10_clamp 1
		.amdhsa_ieee_mode 1
		.amdhsa_fp16_overflow 0
		.amdhsa_tg_split 0
		.amdhsa_exception_fp_ieee_invalid_op 0
		.amdhsa_exception_fp_denorm_src 0
		.amdhsa_exception_fp_ieee_div_zero 0
		.amdhsa_exception_fp_ieee_overflow 0
		.amdhsa_exception_fp_ieee_underflow 0
		.amdhsa_exception_fp_ieee_inexact 0
		.amdhsa_exception_int_div_zero 0
	.end_amdhsa_kernel
	.section	.text._ZN12_GLOBAL__N_135rocblas_gemm_batched_general_kernelI19rocblas_complex_numIfELi16ELi16ELi32ELi32ELi8ELi32ELi8ELi8ELi32ELc78ELc84EKS2_S3_S2_EEvlllT_PT11_llS6_llS4_PT12_llPT13_lli,"axG",@progbits,_ZN12_GLOBAL__N_135rocblas_gemm_batched_general_kernelI19rocblas_complex_numIfELi16ELi16ELi32ELi32ELi8ELi32ELi8ELi8ELi32ELc78ELc84EKS2_S3_S2_EEvlllT_PT11_llS6_llS4_PT12_llPT13_lli,comdat
.Lfunc_end109:
	.size	_ZN12_GLOBAL__N_135rocblas_gemm_batched_general_kernelI19rocblas_complex_numIfELi16ELi16ELi32ELi32ELi8ELi32ELi8ELi8ELi32ELc78ELc84EKS2_S3_S2_EEvlllT_PT11_llS6_llS4_PT12_llPT13_lli, .Lfunc_end109-_ZN12_GLOBAL__N_135rocblas_gemm_batched_general_kernelI19rocblas_complex_numIfELi16ELi16ELi32ELi32ELi8ELi32ELi8ELi8ELi32ELc78ELc84EKS2_S3_S2_EEvlllT_PT11_llS6_llS4_PT12_llPT13_lli
                                        ; -- End function
	.set _ZN12_GLOBAL__N_135rocblas_gemm_batched_general_kernelI19rocblas_complex_numIfELi16ELi16ELi32ELi32ELi8ELi32ELi8ELi8ELi32ELc78ELc84EKS2_S3_S2_EEvlllT_PT11_llS6_llS4_PT12_llPT13_lli.num_vgpr, 136
	.set _ZN12_GLOBAL__N_135rocblas_gemm_batched_general_kernelI19rocblas_complex_numIfELi16ELi16ELi32ELi32ELi8ELi32ELi8ELi8ELi32ELc78ELc84EKS2_S3_S2_EEvlllT_PT11_llS6_llS4_PT12_llPT13_lli.num_agpr, 0
	.set _ZN12_GLOBAL__N_135rocblas_gemm_batched_general_kernelI19rocblas_complex_numIfELi16ELi16ELi32ELi32ELi8ELi32ELi8ELi8ELi32ELc78ELc84EKS2_S3_S2_EEvlllT_PT11_llS6_llS4_PT12_llPT13_lli.numbered_sgpr, 42
	.set _ZN12_GLOBAL__N_135rocblas_gemm_batched_general_kernelI19rocblas_complex_numIfELi16ELi16ELi32ELi32ELi8ELi32ELi8ELi8ELi32ELc78ELc84EKS2_S3_S2_EEvlllT_PT11_llS6_llS4_PT12_llPT13_lli.num_named_barrier, 0
	.set _ZN12_GLOBAL__N_135rocblas_gemm_batched_general_kernelI19rocblas_complex_numIfELi16ELi16ELi32ELi32ELi8ELi32ELi8ELi8ELi32ELc78ELc84EKS2_S3_S2_EEvlllT_PT11_llS6_llS4_PT12_llPT13_lli.private_seg_size, 0
	.set _ZN12_GLOBAL__N_135rocblas_gemm_batched_general_kernelI19rocblas_complex_numIfELi16ELi16ELi32ELi32ELi8ELi32ELi8ELi8ELi32ELc78ELc84EKS2_S3_S2_EEvlllT_PT11_llS6_llS4_PT12_llPT13_lli.uses_vcc, 1
	.set _ZN12_GLOBAL__N_135rocblas_gemm_batched_general_kernelI19rocblas_complex_numIfELi16ELi16ELi32ELi32ELi8ELi32ELi8ELi8ELi32ELc78ELc84EKS2_S3_S2_EEvlllT_PT11_llS6_llS4_PT12_llPT13_lli.uses_flat_scratch, 0
	.set _ZN12_GLOBAL__N_135rocblas_gemm_batched_general_kernelI19rocblas_complex_numIfELi16ELi16ELi32ELi32ELi8ELi32ELi8ELi8ELi32ELc78ELc84EKS2_S3_S2_EEvlllT_PT11_llS6_llS4_PT12_llPT13_lli.has_dyn_sized_stack, 0
	.set _ZN12_GLOBAL__N_135rocblas_gemm_batched_general_kernelI19rocblas_complex_numIfELi16ELi16ELi32ELi32ELi8ELi32ELi8ELi8ELi32ELc78ELc84EKS2_S3_S2_EEvlllT_PT11_llS6_llS4_PT12_llPT13_lli.has_recursion, 0
	.set _ZN12_GLOBAL__N_135rocblas_gemm_batched_general_kernelI19rocblas_complex_numIfELi16ELi16ELi32ELi32ELi8ELi32ELi8ELi8ELi32ELc78ELc84EKS2_S3_S2_EEvlllT_PT11_llS6_llS4_PT12_llPT13_lli.has_indirect_call, 0
	.section	.AMDGPU.csdata,"",@progbits
; Kernel info:
; codeLenInByte = 3124
; TotalNumSgprs: 48
; NumVgprs: 136
; NumAgprs: 0
; TotalNumVgprs: 136
; ScratchSize: 0
; MemoryBound: 0
; FloatMode: 240
; IeeeMode: 1
; LDSByteSize: 4096 bytes/workgroup (compile time only)
; SGPRBlocks: 5
; VGPRBlocks: 16
; NumSGPRsForWavesPerEU: 48
; NumVGPRsForWavesPerEU: 136
; AccumOffset: 136
; Occupancy: 3
; WaveLimiterHint : 1
; COMPUTE_PGM_RSRC2:SCRATCH_EN: 0
; COMPUTE_PGM_RSRC2:USER_SGPR: 2
; COMPUTE_PGM_RSRC2:TRAP_HANDLER: 0
; COMPUTE_PGM_RSRC2:TGID_X_EN: 1
; COMPUTE_PGM_RSRC2:TGID_Y_EN: 1
; COMPUTE_PGM_RSRC2:TGID_Z_EN: 1
; COMPUTE_PGM_RSRC2:TIDIG_COMP_CNT: 1
; COMPUTE_PGM_RSRC3_GFX90A:ACCUM_OFFSET: 33
; COMPUTE_PGM_RSRC3_GFX90A:TG_SPLIT: 0
	.section	.text._ZN12_GLOBAL__N_135rocblas_gemm_batched_general_kernelI19rocblas_complex_numIfELi16ELi16ELi32ELi32ELi8ELi32ELi8ELi8ELi32ELc84ELc84EKS2_S3_S2_EEvlllT_PT11_llS6_llS4_PT12_llPT13_lli,"axG",@progbits,_ZN12_GLOBAL__N_135rocblas_gemm_batched_general_kernelI19rocblas_complex_numIfELi16ELi16ELi32ELi32ELi8ELi32ELi8ELi8ELi32ELc84ELc84EKS2_S3_S2_EEvlllT_PT11_llS6_llS4_PT12_llPT13_lli,comdat
	.globl	_ZN12_GLOBAL__N_135rocblas_gemm_batched_general_kernelI19rocblas_complex_numIfELi16ELi16ELi32ELi32ELi8ELi32ELi8ELi8ELi32ELc84ELc84EKS2_S3_S2_EEvlllT_PT11_llS6_llS4_PT12_llPT13_lli ; -- Begin function _ZN12_GLOBAL__N_135rocblas_gemm_batched_general_kernelI19rocblas_complex_numIfELi16ELi16ELi32ELi32ELi8ELi32ELi8ELi8ELi32ELc84ELc84EKS2_S3_S2_EEvlllT_PT11_llS6_llS4_PT12_llPT13_lli
	.p2align	8
	.type	_ZN12_GLOBAL__N_135rocblas_gemm_batched_general_kernelI19rocblas_complex_numIfELi16ELi16ELi32ELi32ELi8ELi32ELi8ELi8ELi32ELc84ELc84EKS2_S3_S2_EEvlllT_PT11_llS6_llS4_PT12_llPT13_lli,@function
_ZN12_GLOBAL__N_135rocblas_gemm_batched_general_kernelI19rocblas_complex_numIfELi16ELi16ELi32ELi32ELi8ELi32ELi8ELi8ELi32ELc84ELc84EKS2_S3_S2_EEvlllT_PT11_llS6_llS4_PT12_llPT13_lli: ; @_ZN12_GLOBAL__N_135rocblas_gemm_batched_general_kernelI19rocblas_complex_numIfELi16ELi16ELi32ELi32ELi8ELi32ELi8ELi8ELi32ELc84ELc84EKS2_S3_S2_EEvlllT_PT11_llS6_llS4_PT12_llPT13_lli
; %bb.0:
	s_load_dwordx16 s[8:23], s[0:1], 0x0
	s_load_dwordx2 s[28:29], s[0:1], 0x50
	s_mov_b32 s36, s3
	s_ashr_i32 s3, s2, 31
	v_mov_b32_e32 v23, 0
	s_lshl_b64 s[30:31], s[2:3], 5
	s_ashr_i32 s37, s36, 31
	s_waitcnt lgkmcnt(0)
	v_cmp_lt_i64_e64 s[2:3], s[12:13], 1
	v_and_b32_e32 v12, 0x3ff, v0
	v_bfe_u32 v22, v0, 10, 10
	v_mov_b32_e32 v13, v23
	s_lshl_b64 s[34:35], s[36:37], 5
	s_and_b64 vcc, exec, s[2:3]
	v_mov_b32_e32 v21, v23
	v_mov_b32_e32 v20, v23
	;; [unrolled: 1-line block ×8, first 2 shown]
	s_cbranch_vccnz .LBB110_7
; %bb.1:
	s_load_dwordx4 s[24:27], s[0:1], 0x40
	v_lshl_add_u32 v8, v22, 4, v12
	v_mov_b32_e32 v25, 0
	v_lshrrev_b32_e32 v0, 3, v8
	v_mov_b32_e32 v1, v25
	v_and_b32_e32 v4, 31, v8
	v_lshrrev_b32_e32 v24, 5, v8
	v_and_b32_e32 v26, 7, v12
	v_lshl_add_u64 v[2:3], v[0:1], 0, s[34:35]
	v_lshlrev_b32_e32 v1, 3, v4
	v_lshl_or_b32 v44, v24, 8, v1
	v_lshlrev_b32_e32 v1, 3, v26
	v_lshl_or_b32 v0, v0, 6, v1
	v_add_u32_e32 v45, 0x800, v0
	v_mov_b32_e32 v0, 0x800
	s_waitcnt lgkmcnt(0)
	s_mul_i32 s5, s27, s4
	s_mul_hi_u32 s27, s26, s4
	v_lshl_add_u32 v47, v22, 6, v0
	s_add_i32 s27, s27, s5
	s_mul_i32 s26, s26, s4
	v_mad_u64_u32 v[0:1], s[38:39], s24, v26, 0
	v_cmp_gt_i64_e64 s[6:7], s[10:11], v[2:3]
	s_lshl_b64 s[26:27], s[26:27], 3
	v_mov_b32_e32 v2, v1
	s_lshl_b64 s[36:37], s[36:37], 8
	v_mad_u64_u32 v[2:3], s[38:39], s25, v26, v[2:3]
	s_add_u32 s26, s36, s26
	v_mov_b32_e32 v1, v2
	s_addc_u32 s27, s37, s27
	v_lshl_add_u64 v[0:1], v[0:1], 3, s[26:27]
	v_and_b32_e32 v2, 0x7ff8, v8
	v_mov_b32_e32 v3, v25
	v_mov_b32_e32 v5, v25
	v_lshl_add_u64 v[0:1], v[0:1], 0, v[2:3]
	v_lshl_add_u64 v[28:29], s[22:23], 0, v[0:1]
	;; [unrolled: 1-line block ×3, first 2 shown]
	v_mul_lo_u32 v2, s19, v0
	v_mul_lo_u32 v3, s18, v1
	v_mad_u64_u32 v[0:1], s[18:19], s18, v0, 0
	s_mul_i32 s5, s21, s4
	s_mul_hi_u32 s18, s20, s4
	s_add_i32 s19, s18, s5
	s_mul_i32 s18, s20, s4
	v_add3_u32 v1, v1, v3, v2
	s_lshl_b64 s[18:19], s[18:19], 3
	v_lshl_add_u64 v[0:1], v[0:1], 3, s[18:19]
	v_lshlrev_b32_e32 v2, 3, v24
	v_mov_b32_e32 v3, v25
	v_or_b32_e32 v6, s30, v4
	v_mov_b32_e32 v7, s31
	v_lshl_add_u64 v[0:1], v[0:1], 0, v[2:3]
	v_mov_b32_e32 v27, v25
	v_cmp_gt_i64_e64 s[2:3], s[8:9], v[6:7]
	v_lshlrev_b32_e32 v46, 3, v12
	s_lshl_b64 s[22:23], s[24:25], 6
	v_lshl_add_u64 v[30:31], s[16:17], 0, v[0:1]
	s_mov_b64 s[16:17], 0
	v_mov_b64_e32 v[32:33], s[12:13]
	v_mov_b32_e32 v14, v25
	v_mov_b32_e32 v15, v25
	;; [unrolled: 1-line block ×8, first 2 shown]
	s_branch .LBB110_3
.LBB110_2:                              ;   in Loop: Header=BB110_3 Depth=1
	s_or_b64 exec, exec, s[18:19]
	s_waitcnt vmcnt(0)
	ds_write_b64 v45, v[0:1]
	s_waitcnt lgkmcnt(0)
	s_barrier
	ds_read2_b64 v[4:7], v46 offset1:16
	ds_read_b128 v[48:51], v47
	ds_read2_b64 v[8:11], v46 offset0:32 offset1:48
	ds_read_b128 v[0:3], v47 offset:16
	ds_read_b128 v[52:55], v47 offset:1024
	s_add_u32 s16, s16, 8
	s_waitcnt lgkmcnt(3)
	v_pk_mul_f32 v[36:37], v[48:49], v[4:5] op_sel:[0,1]
	v_pk_mul_f32 v[56:57], v[48:49], v[6:7] op_sel:[0,1]
	v_pk_fma_f32 v[34:35], v[48:49], v[4:5], v[36:37] op_sel:[0,0,1] op_sel_hi:[1,1,0] neg_lo:[0,0,1] neg_hi:[0,0,1]
	v_pk_fma_f32 v[36:37], v[48:49], v[4:5], v[36:37] op_sel:[0,0,1] op_sel_hi:[1,0,0]
	s_waitcnt lgkmcnt(2)
	v_pk_mul_f32 v[40:41], v[50:51], v[8:9] op_sel:[0,1]
	v_pk_fma_f32 v[42:43], v[48:49], v[6:7], v[56:57] op_sel:[0,0,1] op_sel_hi:[1,1,0] neg_lo:[0,0,1] neg_hi:[0,0,1]
	v_pk_fma_f32 v[72:73], v[48:49], v[6:7], v[56:57] op_sel:[0,0,1] op_sel_hi:[1,0,0]
	v_pk_mul_f32 v[48:49], v[50:51], v[10:11] op_sel:[0,1]
	v_pk_fma_f32 v[38:39], v[50:51], v[8:9], v[40:41] op_sel:[0,0,1] op_sel_hi:[1,1,0] neg_lo:[0,0,1] neg_hi:[0,0,1]
	v_pk_fma_f32 v[40:41], v[50:51], v[8:9], v[40:41] op_sel:[0,0,1] op_sel_hi:[1,0,0]
	v_pk_fma_f32 v[74:75], v[50:51], v[10:11], v[48:49] op_sel:[0,0,1] op_sel_hi:[1,1,0] neg_lo:[0,0,1] neg_hi:[0,0,1]
	v_pk_fma_f32 v[76:77], v[50:51], v[10:11], v[48:49] op_sel:[0,0,1] op_sel_hi:[1,0,0]
	ds_read_b128 v[48:51], v47 offset:1040
	s_waitcnt lgkmcnt(1)
	v_pk_mul_f32 v[56:57], v[52:53], v[4:5] op_sel:[0,1]
	v_mov_b32_e32 v35, v37
	v_pk_fma_f32 v[78:79], v[52:53], v[4:5], v[56:57] op_sel:[0,0,1] op_sel_hi:[1,1,0] neg_lo:[0,0,1] neg_hi:[0,0,1]
	v_pk_fma_f32 v[80:81], v[52:53], v[4:5], v[56:57] op_sel:[0,0,1] op_sel_hi:[1,0,0]
	v_pk_mul_f32 v[4:5], v[52:53], v[6:7] op_sel:[0,1]
	ds_read2_b64 v[56:59], v46 offset0:96 offset1:112
	v_pk_fma_f32 v[82:83], v[52:53], v[6:7], v[4:5] op_sel:[0,0,1] op_sel_hi:[1,1,0] neg_lo:[0,0,1] neg_hi:[0,0,1]
	v_pk_fma_f32 v[84:85], v[52:53], v[6:7], v[4:5] op_sel:[0,0,1] op_sel_hi:[1,0,0]
	v_pk_mul_f32 v[4:5], v[54:55], v[8:9] op_sel:[0,1]
	v_pk_add_f32 v[20:21], v[20:21], v[34:35]
	v_pk_fma_f32 v[86:87], v[54:55], v[8:9], v[4:5] op_sel:[0,0,1] op_sel_hi:[1,1,0] neg_lo:[0,0,1] neg_hi:[0,0,1]
	v_pk_fma_f32 v[88:89], v[54:55], v[8:9], v[4:5] op_sel:[0,0,1] op_sel_hi:[1,0,0]
	ds_read2_b64 v[4:7], v46 offset0:64 offset1:80
	v_pk_mul_f32 v[8:9], v[54:55], v[10:11] op_sel:[0,1]
	v_mov_b32_e32 v79, v81
	v_pk_fma_f32 v[90:91], v[54:55], v[10:11], v[8:9] op_sel:[0,0,1] op_sel_hi:[1,1,0] neg_lo:[0,0,1] neg_hi:[0,0,1]
	v_pk_fma_f32 v[92:93], v[54:55], v[10:11], v[8:9] op_sel:[0,0,1] op_sel_hi:[1,0,0]
	s_waitcnt lgkmcnt(0)
	v_pk_mul_f32 v[8:9], v[0:1], v[4:5] op_sel:[0,1]
	v_pk_mul_f32 v[60:61], v[0:1], v[6:7] op_sel:[0,1]
	v_pk_fma_f32 v[94:95], v[0:1], v[4:5], v[8:9] op_sel:[0,0,1] op_sel_hi:[1,1,0] neg_lo:[0,0,1] neg_hi:[0,0,1]
	v_pk_fma_f32 v[96:97], v[0:1], v[4:5], v[8:9] op_sel:[0,0,1] op_sel_hi:[1,0,0]
	v_pk_mul_f32 v[8:9], v[2:3], v[56:57] op_sel:[0,1]
	v_pk_mul_f32 v[34:35], v[48:49], v[4:5] op_sel:[0,1]
	v_pk_fma_f32 v[98:99], v[2:3], v[56:57], v[8:9] op_sel:[0,0,1] op_sel_hi:[1,1,0] neg_lo:[0,0,1] neg_hi:[0,0,1]
	v_pk_fma_f32 v[100:101], v[2:3], v[56:57], v[8:9] op_sel:[0,0,1] op_sel_hi:[1,0,0]
	ds_read2_b64 v[8:11], v46 offset0:128 offset1:144
	ds_read_b128 v[52:55], v47 offset:32
	v_pk_fma_f32 v[102:103], v[0:1], v[6:7], v[60:61] op_sel:[0,0,1] op_sel_hi:[1,1,0] neg_lo:[0,0,1] neg_hi:[0,0,1]
	v_pk_fma_f32 v[104:105], v[0:1], v[6:7], v[60:61] op_sel:[0,0,1] op_sel_hi:[1,0,0]
	v_pk_mul_f32 v[0:1], v[2:3], v[58:59] op_sel:[0,1]
	v_pk_add_f32 v[16:17], v[16:17], v[78:79]
	v_mov_b32_e32 v87, v89
	v_pk_fma_f32 v[36:37], v[48:49], v[4:5], v[34:35] op_sel:[0,0,1] op_sel_hi:[1,1,0] neg_lo:[0,0,1] neg_hi:[0,0,1]
	v_pk_fma_f32 v[4:5], v[48:49], v[4:5], v[34:35] op_sel:[0,0,1] op_sel_hi:[1,0,0]
	v_pk_fma_f32 v[106:107], v[2:3], v[58:59], v[0:1] op_sel:[0,0,1] op_sel_hi:[1,1,0] neg_lo:[0,0,1] neg_hi:[0,0,1]
	v_pk_fma_f32 v[108:109], v[2:3], v[58:59], v[0:1] op_sel:[0,0,1] op_sel_hi:[1,0,0]
	ds_read2_b64 v[0:3], v46 offset0:160 offset1:176
	ds_read_b128 v[60:63], v47 offset:48
	v_pk_add_f32 v[16:17], v[16:17], v[86:87]
	v_mov_b32_e32 v37, v5
	v_pk_add_f32 v[4:5], v[16:17], v[36:37]
	ds_read_b128 v[34:37], v47 offset:1056
	s_waitcnt lgkmcnt(3)
	v_pk_mul_f32 v[64:65], v[52:53], v[8:9] op_sel:[0,1]
	v_mov_b32_e32 v39, v41
	v_pk_mul_f32 v[16:17], v[50:51], v[56:57] op_sel:[0,1]
	v_pk_fma_f32 v[110:111], v[52:53], v[8:9], v[64:65] op_sel:[0,0,1] op_sel_hi:[1,1,0] neg_lo:[0,0,1] neg_hi:[0,0,1]
	v_pk_fma_f32 v[112:113], v[52:53], v[8:9], v[64:65] op_sel:[0,0,1] op_sel_hi:[1,0,0]
	s_waitcnt lgkmcnt(2)
	v_pk_mul_f32 v[64:65], v[54:55], v[0:1] op_sel:[0,1]
	v_pk_add_f32 v[20:21], v[20:21], v[38:39]
	v_pk_fma_f32 v[38:39], v[50:51], v[56:57], v[16:17] op_sel:[0,0,1] op_sel_hi:[1,1,0] neg_lo:[0,0,1] neg_hi:[0,0,1]
	v_pk_fma_f32 v[16:17], v[50:51], v[56:57], v[16:17] op_sel:[0,0,1] op_sel_hi:[1,0,0]
	v_pk_fma_f32 v[114:115], v[54:55], v[0:1], v[64:65] op_sel:[0,0,1] op_sel_hi:[1,1,0] neg_lo:[0,0,1] neg_hi:[0,0,1]
	v_pk_fma_f32 v[116:117], v[54:55], v[0:1], v[64:65] op_sel:[0,0,1] op_sel_hi:[1,0,0]
	v_pk_mul_f32 v[64:65], v[52:53], v[10:11] op_sel:[0,1]
	v_mov_b32_e32 v39, v17
	v_pk_fma_f32 v[118:119], v[52:53], v[10:11], v[64:65] op_sel:[0,0,1] op_sel_hi:[1,1,0] neg_lo:[0,0,1] neg_hi:[0,0,1]
	v_pk_fma_f32 v[52:53], v[52:53], v[10:11], v[64:65] op_sel:[0,0,1] op_sel_hi:[1,0,0]
	ds_read2_b64 v[64:67], v46 offset0:192 offset1:208
	v_mov_b32_e32 v43, v73
	v_pk_add_f32 v[4:5], v[4:5], v[38:39]
	ds_read_b128 v[38:41], v47 offset:1072
	s_waitcnt lgkmcnt(2)
	v_pk_mul_f32 v[16:17], v[34:35], v[8:9] op_sel:[0,1]
	v_pk_add_f32 v[18:19], v[18:19], v[42:43]
	v_pk_fma_f32 v[42:43], v[34:35], v[8:9], v[16:17] op_sel:[0,0,1] op_sel_hi:[1,1,0] neg_lo:[0,0,1] neg_hi:[0,0,1]
	v_pk_fma_f32 v[8:9], v[34:35], v[8:9], v[16:17] op_sel:[0,0,1] op_sel_hi:[1,0,0]
	ds_read2_b64 v[68:71], v46 offset0:224 offset1:240
	v_mov_b32_e32 v43, v9
	v_pk_mul_f32 v[8:9], v[36:37], v[0:1] op_sel:[0,1]
	v_pk_add_f32 v[4:5], v[4:5], v[42:43]
	v_pk_fma_f32 v[16:17], v[36:37], v[0:1], v[8:9] op_sel:[0,0,1] op_sel_hi:[1,1,0] neg_lo:[0,0,1] neg_hi:[0,0,1]
	v_pk_fma_f32 v[0:1], v[36:37], v[0:1], v[8:9] op_sel:[0,0,1] op_sel_hi:[1,0,0]
	v_mov_b32_e32 v83, v85
	v_mov_b32_e32 v17, v1
	v_pk_add_f32 v[0:1], v[4:5], v[16:17]
	s_waitcnt lgkmcnt(1)
	v_pk_mul_f32 v[4:5], v[38:39], v[64:65] op_sel:[0,1]
	v_mov_b32_e32 v91, v93
	v_pk_fma_f32 v[8:9], v[38:39], v[64:65], v[4:5] op_sel:[0,0,1] op_sel_hi:[1,1,0] neg_lo:[0,0,1] neg_hi:[0,0,1]
	v_pk_fma_f32 v[4:5], v[38:39], v[64:65], v[4:5] op_sel:[0,0,1] op_sel_hi:[1,0,0]
	v_pk_mul_f32 v[120:121], v[54:55], v[2:3] op_sel:[0,1]
	v_mov_b32_e32 v9, v5
	s_waitcnt lgkmcnt(0)
	v_pk_mul_f32 v[4:5], v[40:41], v[68:69] op_sel:[0,1]
	v_pk_add_f32 v[0:1], v[0:1], v[8:9]
	v_pk_fma_f32 v[8:9], v[40:41], v[68:69], v[4:5] op_sel:[0,0,1] op_sel_hi:[1,1,0] neg_lo:[0,0,1] neg_hi:[0,0,1]
	v_pk_fma_f32 v[4:5], v[40:41], v[68:69], v[4:5] op_sel:[0,0,1] op_sel_hi:[1,0,0]
	v_mov_b32_e32 v75, v77
	v_mov_b32_e32 v9, v5
	v_pk_mul_f32 v[4:5], v[48:49], v[6:7] op_sel:[0,1]
	v_pk_add_f32 v[16:17], v[0:1], v[8:9]
	v_pk_fma_f32 v[8:9], v[48:49], v[6:7], v[4:5] op_sel:[0,0,1] op_sel_hi:[1,1,0] neg_lo:[0,0,1] neg_hi:[0,0,1]
	v_pk_fma_f32 v[4:5], v[48:49], v[6:7], v[4:5] op_sel:[0,0,1] op_sel_hi:[1,0,0]
	v_pk_add_f32 v[0:1], v[14:15], v[82:83]
	v_mov_b32_e32 v9, v5
	v_pk_mul_f32 v[4:5], v[50:51], v[58:59] op_sel:[0,1]
	v_pk_add_f32 v[0:1], v[0:1], v[90:91]
	v_pk_fma_f32 v[6:7], v[50:51], v[58:59], v[4:5] op_sel:[0,0,1] op_sel_hi:[1,1,0] neg_lo:[0,0,1] neg_hi:[0,0,1]
	v_pk_fma_f32 v[4:5], v[50:51], v[58:59], v[4:5] op_sel:[0,0,1] op_sel_hi:[1,0,0]
	v_pk_add_f32 v[0:1], v[0:1], v[8:9]
	v_mov_b32_e32 v7, v5
	v_pk_mul_f32 v[4:5], v[34:35], v[10:11] op_sel:[0,1]
	v_pk_add_f32 v[0:1], v[0:1], v[6:7]
	v_pk_fma_f32 v[6:7], v[34:35], v[10:11], v[4:5] op_sel:[0,0,1] op_sel_hi:[1,1,0] neg_lo:[0,0,1] neg_hi:[0,0,1]
	v_pk_fma_f32 v[4:5], v[34:35], v[10:11], v[4:5] op_sel:[0,0,1] op_sel_hi:[1,0,0]
	v_pk_fma_f32 v[122:123], v[54:55], v[2:3], v[120:121] op_sel:[0,0,1] op_sel_hi:[1,1,0] neg_lo:[0,0,1] neg_hi:[0,0,1]
	v_mov_b32_e32 v7, v5
	v_pk_mul_f32 v[4:5], v[36:37], v[2:3] op_sel:[0,1]
	v_pk_fma_f32 v[54:55], v[54:55], v[2:3], v[120:121] op_sel:[0,0,1] op_sel_hi:[1,0,0]
	v_mov_b32_e32 v95, v97
	v_pk_add_f32 v[18:19], v[18:19], v[74:75]
	v_mov_b32_e32 v103, v105
	v_pk_add_f32 v[0:1], v[0:1], v[6:7]
	v_pk_fma_f32 v[6:7], v[36:37], v[2:3], v[4:5] op_sel:[0,0,1] op_sel_hi:[1,1,0] neg_lo:[0,0,1] neg_hi:[0,0,1]
	v_pk_fma_f32 v[2:3], v[36:37], v[2:3], v[4:5] op_sel:[0,0,1] op_sel_hi:[1,0,0]
	v_pk_add_f32 v[20:21], v[20:21], v[94:95]
	v_mov_b32_e32 v99, v101
	v_pk_add_f32 v[18:19], v[18:19], v[102:103]
	v_mov_b32_e32 v107, v109
	v_mov_b32_e32 v7, v3
	v_pk_mul_f32 v[2:3], v[38:39], v[66:67] op_sel:[0,1]
	v_pk_mul_f32 v[120:121], v[60:61], v[64:65] op_sel:[0,1]
	;; [unrolled: 1-line block ×3, first 2 shown]
	v_pk_add_f32 v[20:21], v[20:21], v[98:99]
	v_mov_b32_e32 v111, v113
	v_pk_add_f32 v[18:19], v[18:19], v[106:107]
	v_mov_b32_e32 v119, v53
	v_pk_fma_f32 v[4:5], v[38:39], v[66:67], v[2:3] op_sel:[0,0,1] op_sel_hi:[1,1,0] neg_lo:[0,0,1] neg_hi:[0,0,1]
	v_pk_fma_f32 v[2:3], v[38:39], v[66:67], v[2:3] op_sel:[0,0,1] op_sel_hi:[1,0,0]
	v_pk_fma_f32 v[124:125], v[60:61], v[64:65], v[120:121] op_sel:[0,0,1] op_sel_hi:[1,1,0] neg_lo:[0,0,1] neg_hi:[0,0,1]
	v_pk_fma_f32 v[120:121], v[60:61], v[64:65], v[120:121] op_sel:[0,0,1] op_sel_hi:[1,0,0]
	v_pk_mul_f32 v[126:127], v[62:63], v[68:69] op_sel:[0,1]
	v_pk_fma_f32 v[132:133], v[60:61], v[66:67], v[130:131] op_sel:[0,0,1] op_sel_hi:[1,1,0] neg_lo:[0,0,1] neg_hi:[0,0,1]
	v_pk_fma_f32 v[60:61], v[60:61], v[66:67], v[130:131] op_sel:[0,0,1] op_sel_hi:[1,0,0]
	v_pk_mul_f32 v[130:131], v[62:63], v[70:71] op_sel:[0,1]
	v_pk_add_f32 v[20:21], v[20:21], v[110:111]
	v_mov_b32_e32 v115, v117
	v_pk_add_f32 v[18:19], v[18:19], v[118:119]
	v_mov_b32_e32 v123, v55
	;; [unrolled: 2-line block ×3, first 2 shown]
	v_pk_mul_f32 v[2:3], v[40:41], v[70:71] op_sel:[0,1]
	v_pk_fma_f32 v[128:129], v[62:63], v[68:69], v[126:127] op_sel:[0,0,1] op_sel_hi:[1,1,0] neg_lo:[0,0,1] neg_hi:[0,0,1]
	v_pk_fma_f32 v[126:127], v[62:63], v[68:69], v[126:127] op_sel:[0,0,1] op_sel_hi:[1,0,0]
	v_pk_fma_f32 v[134:135], v[62:63], v[70:71], v[130:131] op_sel:[0,0,1] op_sel_hi:[1,1,0] neg_lo:[0,0,1] neg_hi:[0,0,1]
	v_pk_fma_f32 v[62:63], v[62:63], v[70:71], v[130:131] op_sel:[0,0,1] op_sel_hi:[1,0,0]
	v_pk_add_f32 v[20:21], v[20:21], v[114:115]
	v_mov_b32_e32 v125, v121
	v_pk_add_f32 v[18:19], v[18:19], v[122:123]
	v_mov_b32_e32 v133, v61
	v_pk_add_f32 v[0:1], v[0:1], v[4:5]
	v_pk_fma_f32 v[4:5], v[40:41], v[70:71], v[2:3] op_sel:[0,0,1] op_sel_hi:[1,1,0] neg_lo:[0,0,1] neg_hi:[0,0,1]
	v_pk_fma_f32 v[2:3], v[40:41], v[70:71], v[2:3] op_sel:[0,0,1] op_sel_hi:[1,0,0]
	s_addc_u32 s17, s17, 0
	v_pk_add_f32 v[20:21], v[20:21], v[124:125]
	v_mov_b32_e32 v129, v127
	v_pk_add_f32 v[18:19], v[18:19], v[132:133]
	v_mov_b32_e32 v135, v63
	v_mov_b32_e32 v5, v3
	v_cmp_lt_i64_e32 vcc, s[16:17], v[32:33]
	v_pk_add_f32 v[20:21], v[20:21], v[128:129]
	v_pk_add_f32 v[18:19], v[18:19], v[134:135]
	;; [unrolled: 1-line block ×3, first 2 shown]
	v_lshl_add_u64 v[28:29], v[28:29], 0, s[22:23]
	v_lshl_add_u64 v[30:31], v[30:31], 0, 64
	s_barrier
	s_cbranch_vccz .LBB110_7
.LBB110_3:                              ; =>This Inner Loop Header: Depth=1
	v_lshl_add_u64 v[0:1], v[24:25], 0, s[16:17]
	v_cmp_gt_i64_e32 vcc, s[12:13], v[0:1]
	s_and_b64 s[20:21], s[2:3], vcc
	v_mov_b32_e32 v0, 0
	v_mov_b32_e32 v1, 0
	s_and_saveexec_b64 s[18:19], s[20:21]
	s_cbranch_execz .LBB110_5
; %bb.4:                                ;   in Loop: Header=BB110_3 Depth=1
	global_load_dwordx2 v[0:1], v[30:31], off
.LBB110_5:                              ;   in Loop: Header=BB110_3 Depth=1
	s_or_b64 exec, exec, s[18:19]
	s_waitcnt vmcnt(0)
	ds_write_b64 v44, v[0:1]
	v_lshl_add_u64 v[0:1], v[26:27], 0, s[16:17]
	v_cmp_gt_i64_e32 vcc, s[12:13], v[0:1]
	s_and_b64 s[20:21], vcc, s[6:7]
	v_mov_b32_e32 v0, 0
	v_mov_b32_e32 v1, 0
	s_and_saveexec_b64 s[18:19], s[20:21]
	s_cbranch_execz .LBB110_2
; %bb.6:                                ;   in Loop: Header=BB110_3 Depth=1
	global_load_dwordx2 v[0:1], v[28:29], off
	s_branch .LBB110_2
.LBB110_7:
	s_load_dwordx4 s[24:27], s[0:1], 0x78
	s_load_dwordx8 s[16:23], s[0:1], 0x58
	v_lshl_add_u64 v[0:1], s[34:35], 0, v[22:23]
	s_waitcnt lgkmcnt(0)
	s_mul_i32 s1, s27, s4
	s_mul_hi_u32 s2, s26, s4
	s_mul_i32 s0, s26, s4
	s_add_i32 s1, s2, s1
	s_lshl_b64 s[0:1], s[0:1], 3
	s_add_u32 s12, s22, s0
	s_addc_u32 s13, s23, s1
	s_or_b32 s0, s28, s29
	s_bitset0_b32 s0, 31
	s_cmp_lg_u32 s0, 0
	v_cmp_gt_i64_e64 s[0:1], s[10:11], v[0:1]
	s_mov_b64 s[2:3], -1
	s_cbranch_scc1 .LBB110_19
; %bb.8:
	s_and_saveexec_b64 s[22:23], s[0:1]
	s_cbranch_execz .LBB110_18
; %bb.9:
	v_mul_lo_u32 v6, v1, s24
	v_mul_lo_u32 v7, v0, s25
	v_mad_u64_u32 v[4:5], s[2:3], v0, s24, 0
	v_add3_u32 v5, v5, v7, v6
	v_lshl_add_u64 v[2:3], s[30:31], 0, v[12:13]
	v_lshl_add_u64 v[4:5], v[4:5], 3, s[12:13]
	v_cmp_gt_i64_e32 vcc, s[8:9], v[2:3]
	s_mov_b32 s26, s14
	s_mov_b32 s27, s14
	;; [unrolled: 1-line block ×4, first 2 shown]
	v_lshl_add_u64 v[6:7], v[2:3], 3, v[4:5]
	s_and_saveexec_b64 s[2:3], vcc
	s_cbranch_execz .LBB110_11
; %bb.10:
	v_pk_mul_f32 v[8:9], v[20:21], s[34:35]
	s_nop 0
	v_pk_fma_f32 v[10:11], v[20:21], s[26:27], v[8:9] op_sel:[0,0,1] op_sel_hi:[1,1,0] neg_lo:[0,0,1] neg_hi:[0,0,1]
	v_pk_fma_f32 v[8:9], v[20:21], s[26:27], v[8:9] op_sel:[0,0,1] op_sel_hi:[1,1,0]
	s_nop 0
	v_mov_b32_e32 v11, v9
	global_store_dwordx2 v[6:7], v[10:11], off
.LBB110_11:
	s_or_b64 exec, exec, s[2:3]
	v_lshl_add_u64 v[8:9], v[2:3], 0, 16
	v_cmp_gt_i64_e64 s[2:3], s[8:9], v[8:9]
	s_and_saveexec_b64 s[6:7], s[2:3]
	s_cbranch_execz .LBB110_13
; %bb.12:
	v_pk_mul_f32 v[8:9], v[18:19], s[34:35]
	s_nop 0
	v_pk_fma_f32 v[10:11], v[18:19], s[26:27], v[8:9] op_sel:[0,0,1] op_sel_hi:[1,1,0] neg_lo:[0,0,1] neg_hi:[0,0,1]
	v_pk_fma_f32 v[8:9], v[18:19], s[26:27], v[8:9] op_sel:[0,0,1] op_sel_hi:[1,1,0]
	s_nop 0
	v_mov_b32_e32 v11, v9
	global_store_dwordx2 v[6:7], v[10:11], off offset:128
.LBB110_13:
	s_or_b64 exec, exec, s[6:7]
	v_lshl_add_u64 v[6:7], v[0:1], 0, 16
	v_cmp_gt_i64_e64 s[6:7], s[10:11], v[6:7]
	s_and_b64 exec, exec, s[6:7]
	s_cbranch_execz .LBB110_18
; %bb.14:
	s_lshl_b64 s[6:7], s[24:25], 7
	v_lshl_add_u64 v[4:5], v[4:5], 0, s[6:7]
	v_lshl_add_u64 v[2:3], v[2:3], 3, v[4:5]
	s_and_saveexec_b64 s[6:7], vcc
	s_cbranch_execz .LBB110_16
; %bb.15:
	v_pk_mul_f32 v[4:5], v[16:17], s[34:35]
	s_nop 0
	v_pk_fma_f32 v[6:7], v[16:17], s[26:27], v[4:5] op_sel:[0,0,1] op_sel_hi:[1,1,0] neg_lo:[0,0,1] neg_hi:[0,0,1]
	v_pk_fma_f32 v[4:5], v[16:17], s[26:27], v[4:5] op_sel:[0,0,1] op_sel_hi:[1,1,0]
	s_nop 0
	v_mov_b32_e32 v7, v5
	global_store_dwordx2 v[2:3], v[6:7], off
.LBB110_16:
	s_or_b64 exec, exec, s[6:7]
	s_and_b64 exec, exec, s[2:3]
	s_cbranch_execz .LBB110_18
; %bb.17:
	v_pk_mul_f32 v[4:5], v[14:15], s[34:35]
	s_nop 0
	v_pk_fma_f32 v[6:7], v[14:15], s[26:27], v[4:5] op_sel:[0,0,1] op_sel_hi:[1,1,0] neg_lo:[0,0,1] neg_hi:[0,0,1]
	v_pk_fma_f32 v[4:5], v[14:15], s[26:27], v[4:5] op_sel:[0,0,1] op_sel_hi:[1,1,0]
	s_nop 0
	v_mov_b32_e32 v7, v5
	global_store_dwordx2 v[2:3], v[6:7], off offset:128
.LBB110_18:
	s_or_b64 exec, exec, s[22:23]
	s_mov_b64 s[2:3], 0
.LBB110_19:
	s_andn2_b64 vcc, exec, s[2:3]
	s_cbranch_vccnz .LBB110_30
; %bb.20:
	s_and_saveexec_b64 s[2:3], s[0:1]
	s_cbranch_execz .LBB110_30
; %bb.21:
	s_mul_i32 s0, s21, s4
	s_mul_hi_u32 s1, s20, s4
	s_add_i32 s1, s1, s0
	s_mul_i32 s0, s20, s4
	s_lshl_b64 s[0:1], s[0:1], 3
	v_mul_lo_u32 v4, v1, s18
	v_mul_lo_u32 v5, v0, s19
	v_mad_u64_u32 v[2:3], s[2:3], v0, s18, 0
	s_add_u32 s0, s16, s0
	v_add3_u32 v3, v3, v5, v4
	v_mul_lo_u32 v6, v1, s24
	v_mul_lo_u32 v7, v0, s25
	v_mad_u64_u32 v[4:5], s[2:3], v0, s24, 0
	s_addc_u32 s1, s17, s1
	v_lshl_add_u64 v[8:9], s[30:31], 0, v[12:13]
	v_add3_u32 v5, v5, v7, v6
	v_cmp_gt_i64_e32 vcc, s[8:9], v[8:9]
	s_mov_b32 s4, s14
	s_mov_b32 s5, s14
	;; [unrolled: 1-line block ×6, first 2 shown]
	v_lshl_add_u64 v[6:7], v[2:3], 3, s[0:1]
	v_lshl_add_u64 v[4:5], v[4:5], 3, s[12:13]
	v_lshlrev_b64 v[2:3], 3, v[8:9]
	s_and_saveexec_b64 s[0:1], vcc
	s_cbranch_execz .LBB110_23
; %bb.22:
	v_lshl_add_u64 v[10:11], v[6:7], 0, v[2:3]
	global_load_dwordx2 v[10:11], v[10:11], off
	v_pk_mul_f32 v[22:23], v[20:21], s[14:15]
	v_lshl_add_u64 v[12:13], v[4:5], 0, v[2:3]
	v_pk_fma_f32 v[24:25], v[20:21], s[4:5], v[22:23] op_sel:[0,0,1] op_sel_hi:[1,1,0] neg_lo:[0,0,1] neg_hi:[0,0,1]
	v_pk_fma_f32 v[20:21], v[20:21], s[4:5], v[22:23] op_sel:[0,0,1] op_sel_hi:[1,1,0]
	s_nop 0
	v_mov_b32_e32 v25, v21
	s_waitcnt vmcnt(0)
	v_pk_mul_f32 v[20:21], v[10:11], s[28:29]
	s_nop 0
	v_pk_fma_f32 v[22:23], v[10:11], s[6:7], v[20:21] op_sel:[0,0,1] op_sel_hi:[1,1,0] neg_lo:[0,0,1] neg_hi:[0,0,1]
	v_pk_fma_f32 v[10:11], v[10:11], s[6:7], v[20:21] op_sel:[0,0,1] op_sel_hi:[1,1,0]
	s_nop 0
	v_mov_b32_e32 v23, v11
	v_pk_add_f32 v[10:11], v[24:25], v[22:23]
	global_store_dwordx2 v[12:13], v[10:11], off
.LBB110_23:
	s_or_b64 exec, exec, s[0:1]
	v_lshl_add_u64 v[8:9], v[8:9], 0, 16
	v_cmp_gt_i64_e64 s[0:1], s[8:9], v[8:9]
	s_and_saveexec_b64 s[2:3], s[0:1]
	s_cbranch_execz .LBB110_25
; %bb.24:
	v_lshl_add_u64 v[8:9], v[6:7], 0, v[2:3]
	global_load_dwordx2 v[8:9], v[8:9], off offset:128
	v_pk_mul_f32 v[12:13], v[18:19], s[14:15]
	v_lshl_add_u64 v[10:11], v[4:5], 0, v[2:3]
	v_pk_fma_f32 v[20:21], v[18:19], s[4:5], v[12:13] op_sel:[0,0,1] op_sel_hi:[1,1,0] neg_lo:[0,0,1] neg_hi:[0,0,1]
	v_pk_fma_f32 v[12:13], v[18:19], s[4:5], v[12:13] op_sel:[0,0,1] op_sel_hi:[1,1,0]
	s_nop 0
	v_mov_b32_e32 v21, v13
	s_waitcnt vmcnt(0)
	v_pk_mul_f32 v[12:13], v[8:9], s[28:29]
	s_nop 0
	v_pk_fma_f32 v[18:19], v[8:9], s[6:7], v[12:13] op_sel:[0,0,1] op_sel_hi:[1,1,0] neg_lo:[0,0,1] neg_hi:[0,0,1]
	v_pk_fma_f32 v[8:9], v[8:9], s[6:7], v[12:13] op_sel:[0,0,1] op_sel_hi:[1,1,0]
	s_nop 0
	v_mov_b32_e32 v19, v9
	v_pk_add_f32 v[8:9], v[20:21], v[18:19]
	global_store_dwordx2 v[10:11], v[8:9], off offset:128
.LBB110_25:
	s_or_b64 exec, exec, s[2:3]
	v_lshl_add_u64 v[0:1], v[0:1], 0, 16
	v_cmp_gt_i64_e64 s[2:3], s[10:11], v[0:1]
	s_and_b64 exec, exec, s[2:3]
	s_cbranch_execz .LBB110_30
; %bb.26:
	s_lshl_b64 s[2:3], s[18:19], 7
	v_lshl_add_u64 v[0:1], v[6:7], 0, s[2:3]
	s_lshl_b64 s[2:3], s[24:25], 7
	v_lshl_add_u64 v[6:7], v[4:5], 0, s[2:3]
	v_lshl_add_u64 v[4:5], v[0:1], 0, v[2:3]
	;; [unrolled: 1-line block ×3, first 2 shown]
	s_and_saveexec_b64 s[2:3], vcc
	s_cbranch_execz .LBB110_28
; %bb.27:
	global_load_dwordx2 v[2:3], v[4:5], off
	v_pk_mul_f32 v[6:7], v[16:17], s[14:15]
	s_nop 0
	v_pk_fma_f32 v[8:9], v[16:17], s[4:5], v[6:7] op_sel:[0,0,1] op_sel_hi:[1,1,0] neg_lo:[0,0,1] neg_hi:[0,0,1]
	v_pk_fma_f32 v[6:7], v[16:17], s[4:5], v[6:7] op_sel:[0,0,1] op_sel_hi:[1,1,0]
	s_nop 0
	v_mov_b32_e32 v9, v7
	s_waitcnt vmcnt(0)
	v_pk_mul_f32 v[6:7], v[2:3], s[28:29]
	s_nop 0
	v_pk_fma_f32 v[10:11], v[2:3], s[6:7], v[6:7] op_sel:[0,0,1] op_sel_hi:[1,1,0] neg_lo:[0,0,1] neg_hi:[0,0,1]
	v_pk_fma_f32 v[2:3], v[2:3], s[6:7], v[6:7] op_sel:[0,0,1] op_sel_hi:[1,1,0]
	s_nop 0
	v_mov_b32_e32 v11, v3
	v_pk_add_f32 v[2:3], v[8:9], v[10:11]
	global_store_dwordx2 v[0:1], v[2:3], off
.LBB110_28:
	s_or_b64 exec, exec, s[2:3]
	s_and_b64 exec, exec, s[0:1]
	s_cbranch_execz .LBB110_30
; %bb.29:
	global_load_dwordx2 v[2:3], v[4:5], off offset:128
	v_pk_mul_f32 v[4:5], v[14:15], s[14:15]
	s_nop 0
	v_pk_fma_f32 v[6:7], v[14:15], s[4:5], v[4:5] op_sel:[0,0,1] op_sel_hi:[1,1,0] neg_lo:[0,0,1] neg_hi:[0,0,1]
	v_pk_fma_f32 v[4:5], v[14:15], s[4:5], v[4:5] op_sel:[0,0,1] op_sel_hi:[1,1,0]
	s_nop 0
	v_mov_b32_e32 v7, v5
	s_waitcnt vmcnt(0)
	v_pk_mul_f32 v[4:5], v[2:3], s[28:29]
	s_nop 0
	v_pk_fma_f32 v[8:9], v[2:3], s[6:7], v[4:5] op_sel:[0,0,1] op_sel_hi:[1,1,0] neg_lo:[0,0,1] neg_hi:[0,0,1]
	v_pk_fma_f32 v[2:3], v[2:3], s[6:7], v[4:5] op_sel:[0,0,1] op_sel_hi:[1,1,0]
	s_nop 0
	v_mov_b32_e32 v9, v3
	v_pk_add_f32 v[2:3], v[6:7], v[8:9]
	global_store_dwordx2 v[0:1], v[2:3], off offset:128
.LBB110_30:
	s_endpgm
	.section	.rodata,"a",@progbits
	.p2align	6, 0x0
	.amdhsa_kernel _ZN12_GLOBAL__N_135rocblas_gemm_batched_general_kernelI19rocblas_complex_numIfELi16ELi16ELi32ELi32ELi8ELi32ELi8ELi8ELi32ELc84ELc84EKS2_S3_S2_EEvlllT_PT11_llS6_llS4_PT12_llPT13_lli
		.amdhsa_group_segment_fixed_size 4096
		.amdhsa_private_segment_fixed_size 0
		.amdhsa_kernarg_size 140
		.amdhsa_user_sgpr_count 2
		.amdhsa_user_sgpr_dispatch_ptr 0
		.amdhsa_user_sgpr_queue_ptr 0
		.amdhsa_user_sgpr_kernarg_segment_ptr 1
		.amdhsa_user_sgpr_dispatch_id 0
		.amdhsa_user_sgpr_kernarg_preload_length 0
		.amdhsa_user_sgpr_kernarg_preload_offset 0
		.amdhsa_user_sgpr_private_segment_size 0
		.amdhsa_uses_dynamic_stack 0
		.amdhsa_enable_private_segment 0
		.amdhsa_system_sgpr_workgroup_id_x 1
		.amdhsa_system_sgpr_workgroup_id_y 1
		.amdhsa_system_sgpr_workgroup_id_z 1
		.amdhsa_system_sgpr_workgroup_info 0
		.amdhsa_system_vgpr_workitem_id 1
		.amdhsa_next_free_vgpr 136
		.amdhsa_next_free_sgpr 40
		.amdhsa_accum_offset 136
		.amdhsa_reserve_vcc 1
		.amdhsa_float_round_mode_32 0
		.amdhsa_float_round_mode_16_64 0
		.amdhsa_float_denorm_mode_32 3
		.amdhsa_float_denorm_mode_16_64 3
		.amdhsa_dx10_clamp 1
		.amdhsa_ieee_mode 1
		.amdhsa_fp16_overflow 0
		.amdhsa_tg_split 0
		.amdhsa_exception_fp_ieee_invalid_op 0
		.amdhsa_exception_fp_denorm_src 0
		.amdhsa_exception_fp_ieee_div_zero 0
		.amdhsa_exception_fp_ieee_overflow 0
		.amdhsa_exception_fp_ieee_underflow 0
		.amdhsa_exception_fp_ieee_inexact 0
		.amdhsa_exception_int_div_zero 0
	.end_amdhsa_kernel
	.section	.text._ZN12_GLOBAL__N_135rocblas_gemm_batched_general_kernelI19rocblas_complex_numIfELi16ELi16ELi32ELi32ELi8ELi32ELi8ELi8ELi32ELc84ELc84EKS2_S3_S2_EEvlllT_PT11_llS6_llS4_PT12_llPT13_lli,"axG",@progbits,_ZN12_GLOBAL__N_135rocblas_gemm_batched_general_kernelI19rocblas_complex_numIfELi16ELi16ELi32ELi32ELi8ELi32ELi8ELi8ELi32ELc84ELc84EKS2_S3_S2_EEvlllT_PT11_llS6_llS4_PT12_llPT13_lli,comdat
.Lfunc_end110:
	.size	_ZN12_GLOBAL__N_135rocblas_gemm_batched_general_kernelI19rocblas_complex_numIfELi16ELi16ELi32ELi32ELi8ELi32ELi8ELi8ELi32ELc84ELc84EKS2_S3_S2_EEvlllT_PT11_llS6_llS4_PT12_llPT13_lli, .Lfunc_end110-_ZN12_GLOBAL__N_135rocblas_gemm_batched_general_kernelI19rocblas_complex_numIfELi16ELi16ELi32ELi32ELi8ELi32ELi8ELi8ELi32ELc84ELc84EKS2_S3_S2_EEvlllT_PT11_llS6_llS4_PT12_llPT13_lli
                                        ; -- End function
	.set _ZN12_GLOBAL__N_135rocblas_gemm_batched_general_kernelI19rocblas_complex_numIfELi16ELi16ELi32ELi32ELi8ELi32ELi8ELi8ELi32ELc84ELc84EKS2_S3_S2_EEvlllT_PT11_llS6_llS4_PT12_llPT13_lli.num_vgpr, 136
	.set _ZN12_GLOBAL__N_135rocblas_gemm_batched_general_kernelI19rocblas_complex_numIfELi16ELi16ELi32ELi32ELi8ELi32ELi8ELi8ELi32ELc84ELc84EKS2_S3_S2_EEvlllT_PT11_llS6_llS4_PT12_llPT13_lli.num_agpr, 0
	.set _ZN12_GLOBAL__N_135rocblas_gemm_batched_general_kernelI19rocblas_complex_numIfELi16ELi16ELi32ELi32ELi8ELi32ELi8ELi8ELi32ELc84ELc84EKS2_S3_S2_EEvlllT_PT11_llS6_llS4_PT12_llPT13_lli.numbered_sgpr, 40
	.set _ZN12_GLOBAL__N_135rocblas_gemm_batched_general_kernelI19rocblas_complex_numIfELi16ELi16ELi32ELi32ELi8ELi32ELi8ELi8ELi32ELc84ELc84EKS2_S3_S2_EEvlllT_PT11_llS6_llS4_PT12_llPT13_lli.num_named_barrier, 0
	.set _ZN12_GLOBAL__N_135rocblas_gemm_batched_general_kernelI19rocblas_complex_numIfELi16ELi16ELi32ELi32ELi8ELi32ELi8ELi8ELi32ELc84ELc84EKS2_S3_S2_EEvlllT_PT11_llS6_llS4_PT12_llPT13_lli.private_seg_size, 0
	.set _ZN12_GLOBAL__N_135rocblas_gemm_batched_general_kernelI19rocblas_complex_numIfELi16ELi16ELi32ELi32ELi8ELi32ELi8ELi8ELi32ELc84ELc84EKS2_S3_S2_EEvlllT_PT11_llS6_llS4_PT12_llPT13_lli.uses_vcc, 1
	.set _ZN12_GLOBAL__N_135rocblas_gemm_batched_general_kernelI19rocblas_complex_numIfELi16ELi16ELi32ELi32ELi8ELi32ELi8ELi8ELi32ELc84ELc84EKS2_S3_S2_EEvlllT_PT11_llS6_llS4_PT12_llPT13_lli.uses_flat_scratch, 0
	.set _ZN12_GLOBAL__N_135rocblas_gemm_batched_general_kernelI19rocblas_complex_numIfELi16ELi16ELi32ELi32ELi8ELi32ELi8ELi8ELi32ELc84ELc84EKS2_S3_S2_EEvlllT_PT11_llS6_llS4_PT12_llPT13_lli.has_dyn_sized_stack, 0
	.set _ZN12_GLOBAL__N_135rocblas_gemm_batched_general_kernelI19rocblas_complex_numIfELi16ELi16ELi32ELi32ELi8ELi32ELi8ELi8ELi32ELc84ELc84EKS2_S3_S2_EEvlllT_PT11_llS6_llS4_PT12_llPT13_lli.has_recursion, 0
	.set _ZN12_GLOBAL__N_135rocblas_gemm_batched_general_kernelI19rocblas_complex_numIfELi16ELi16ELi32ELi32ELi8ELi32ELi8ELi8ELi32ELc84ELc84EKS2_S3_S2_EEvlllT_PT11_llS6_llS4_PT12_llPT13_lli.has_indirect_call, 0
	.section	.AMDGPU.csdata,"",@progbits
; Kernel info:
; codeLenInByte = 3132
; TotalNumSgprs: 46
; NumVgprs: 136
; NumAgprs: 0
; TotalNumVgprs: 136
; ScratchSize: 0
; MemoryBound: 0
; FloatMode: 240
; IeeeMode: 1
; LDSByteSize: 4096 bytes/workgroup (compile time only)
; SGPRBlocks: 5
; VGPRBlocks: 16
; NumSGPRsForWavesPerEU: 46
; NumVGPRsForWavesPerEU: 136
; AccumOffset: 136
; Occupancy: 3
; WaveLimiterHint : 1
; COMPUTE_PGM_RSRC2:SCRATCH_EN: 0
; COMPUTE_PGM_RSRC2:USER_SGPR: 2
; COMPUTE_PGM_RSRC2:TRAP_HANDLER: 0
; COMPUTE_PGM_RSRC2:TGID_X_EN: 1
; COMPUTE_PGM_RSRC2:TGID_Y_EN: 1
; COMPUTE_PGM_RSRC2:TGID_Z_EN: 1
; COMPUTE_PGM_RSRC2:TIDIG_COMP_CNT: 1
; COMPUTE_PGM_RSRC3_GFX90A:ACCUM_OFFSET: 33
; COMPUTE_PGM_RSRC3_GFX90A:TG_SPLIT: 0
	.section	.text._ZN12_GLOBAL__N_135rocblas_gemm_batched_general_kernelI19rocblas_complex_numIfELi16ELi16ELi32ELi32ELi8ELi32ELi8ELi8ELi32ELc67ELc67EKS2_S3_S2_EEvlllT_PT11_llS6_llS4_PT12_llPT13_lli,"axG",@progbits,_ZN12_GLOBAL__N_135rocblas_gemm_batched_general_kernelI19rocblas_complex_numIfELi16ELi16ELi32ELi32ELi8ELi32ELi8ELi8ELi32ELc67ELc67EKS2_S3_S2_EEvlllT_PT11_llS6_llS4_PT12_llPT13_lli,comdat
	.globl	_ZN12_GLOBAL__N_135rocblas_gemm_batched_general_kernelI19rocblas_complex_numIfELi16ELi16ELi32ELi32ELi8ELi32ELi8ELi8ELi32ELc67ELc67EKS2_S3_S2_EEvlllT_PT11_llS6_llS4_PT12_llPT13_lli ; -- Begin function _ZN12_GLOBAL__N_135rocblas_gemm_batched_general_kernelI19rocblas_complex_numIfELi16ELi16ELi32ELi32ELi8ELi32ELi8ELi8ELi32ELc67ELc67EKS2_S3_S2_EEvlllT_PT11_llS6_llS4_PT12_llPT13_lli
	.p2align	8
	.type	_ZN12_GLOBAL__N_135rocblas_gemm_batched_general_kernelI19rocblas_complex_numIfELi16ELi16ELi32ELi32ELi8ELi32ELi8ELi8ELi32ELc67ELc67EKS2_S3_S2_EEvlllT_PT11_llS6_llS4_PT12_llPT13_lli,@function
_ZN12_GLOBAL__N_135rocblas_gemm_batched_general_kernelI19rocblas_complex_numIfELi16ELi16ELi32ELi32ELi8ELi32ELi8ELi8ELi32ELc67ELc67EKS2_S3_S2_EEvlllT_PT11_llS6_llS4_PT12_llPT13_lli: ; @_ZN12_GLOBAL__N_135rocblas_gemm_batched_general_kernelI19rocblas_complex_numIfELi16ELi16ELi32ELi32ELi8ELi32ELi8ELi8ELi32ELc67ELc67EKS2_S3_S2_EEvlllT_PT11_llS6_llS4_PT12_llPT13_lli
; %bb.0:
	s_load_dwordx16 s[8:23], s[0:1], 0x0
	s_load_dwordx2 s[28:29], s[0:1], 0x50
	s_mov_b32 s34, s3
	s_ashr_i32 s3, s2, 31
	v_mov_b32_e32 v23, 0
	s_lshl_b64 s[30:31], s[2:3], 5
	s_ashr_i32 s35, s34, 31
	s_waitcnt lgkmcnt(0)
	v_cmp_lt_i64_e64 s[2:3], s[12:13], 1
	v_and_b32_e32 v12, 0x3ff, v0
	v_bfe_u32 v22, v0, 10, 10
	v_mov_b32_e32 v13, v23
	s_lshl_b64 s[6:7], s[34:35], 5
	s_and_b64 vcc, exec, s[2:3]
	v_mov_b32_e32 v21, v23
	v_mov_b32_e32 v20, v23
	;; [unrolled: 1-line block ×8, first 2 shown]
	s_cbranch_vccnz .LBB111_11
; %bb.1:
	s_load_dwordx4 s[24:27], s[0:1], 0x40
	v_lshl_add_u32 v8, v22, 4, v12
	v_mov_b32_e32 v25, 0
	v_lshrrev_b32_e32 v0, 3, v8
	v_mov_b32_e32 v1, v25
	v_and_b32_e32 v4, 31, v8
	v_lshrrev_b32_e32 v24, 5, v8
	v_and_b32_e32 v26, 7, v12
	v_lshl_add_u64 v[2:3], v[0:1], 0, s[6:7]
	v_lshlrev_b32_e32 v1, 3, v4
	v_lshl_or_b32 v44, v24, 8, v1
	v_lshlrev_b32_e32 v1, 3, v26
	v_lshl_or_b32 v0, v0, 6, v1
	v_add_u32_e32 v45, 0x800, v0
	v_mov_b32_e32 v0, 0x800
	s_waitcnt lgkmcnt(0)
	s_mul_i32 s5, s27, s4
	s_mul_hi_u32 s27, s26, s4
	v_lshl_add_u32 v47, v22, 6, v0
	s_add_i32 s27, s27, s5
	s_mul_i32 s26, s26, s4
	v_mad_u64_u32 v[0:1], s[36:37], s24, v26, 0
	v_cmp_gt_i64_e64 s[2:3], s[10:11], v[2:3]
	s_lshl_b64 s[26:27], s[26:27], 3
	v_mov_b32_e32 v2, v1
	s_lshl_b64 s[34:35], s[34:35], 8
	v_mad_u64_u32 v[2:3], s[36:37], s25, v26, v[2:3]
	s_add_u32 s26, s34, s26
	v_mov_b32_e32 v1, v2
	s_addc_u32 s27, s35, s27
	v_lshl_add_u64 v[0:1], v[0:1], 3, s[26:27]
	v_and_b32_e32 v2, 0x7ff8, v8
	v_mov_b32_e32 v3, v25
	v_lshl_add_u64 v[0:1], v[0:1], 0, v[2:3]
	v_mov_b32_e32 v5, v25
	v_lshl_add_u64 v[0:1], s[22:23], 0, v[0:1]
	v_lshl_add_u64 v[28:29], v[0:1], 0, 4
	;; [unrolled: 1-line block ×3, first 2 shown]
	v_mul_lo_u32 v2, s19, v0
	v_mul_lo_u32 v3, s18, v1
	v_mad_u64_u32 v[0:1], s[18:19], s18, v0, 0
	s_mul_i32 s5, s21, s4
	s_mul_hi_u32 s18, s20, s4
	s_add_i32 s19, s18, s5
	s_mul_i32 s18, s20, s4
	v_add3_u32 v1, v1, v3, v2
	s_lshl_b64 s[18:19], s[18:19], 3
	v_lshl_add_u64 v[0:1], v[0:1], 3, s[18:19]
	v_lshlrev_b32_e32 v2, 3, v24
	v_mov_b32_e32 v3, v25
	v_or_b32_e32 v6, s30, v4
	v_mov_b32_e32 v7, s31
	v_lshl_add_u64 v[0:1], v[0:1], 0, v[2:3]
	v_cmp_gt_i64_e32 vcc, s[8:9], v[6:7]
	v_lshl_add_u64 v[0:1], s[16:17], 0, v[0:1]
	v_mov_b32_e32 v27, v25
	v_lshlrev_b32_e32 v46, 3, v12
	s_lshl_b64 s[22:23], s[24:25], 6
	v_lshl_add_u64 v[30:31], v[0:1], 0, 4
	s_mov_b64 s[16:17], 0
	s_xor_b64 s[18:19], vcc, -1
	s_xor_b64 s[2:3], s[2:3], -1
	v_mov_b64_e32 v[32:33], s[12:13]
	v_mov_b32_e32 v14, v25
	v_mov_b32_e32 v15, v25
	;; [unrolled: 1-line block ×8, first 2 shown]
	s_branch .LBB111_3
.LBB111_2:                              ;   in Loop: Header=BB111_3 Depth=1
	s_or_b64 exec, exec, s[20:21]
	ds_write_b32 v45, v0 offset:4
	s_waitcnt lgkmcnt(0)
	s_barrier
	ds_read2_b64 v[4:7], v46 offset1:16
	ds_read_b128 v[48:51], v47
	ds_read2_b64 v[8:11], v46 offset0:32 offset1:48
	ds_read_b128 v[0:3], v47 offset:16
	ds_read_b128 v[52:55], v47 offset:1024
	s_add_u32 s16, s16, 8
	s_waitcnt lgkmcnt(3)
	v_pk_mul_f32 v[36:37], v[48:49], v[4:5] op_sel:[0,1]
	v_pk_mul_f32 v[56:57], v[48:49], v[6:7] op_sel:[0,1]
	v_pk_fma_f32 v[34:35], v[48:49], v[4:5], v[36:37] op_sel:[0,0,1] op_sel_hi:[1,1,0] neg_lo:[0,0,1] neg_hi:[0,0,1]
	v_pk_fma_f32 v[36:37], v[48:49], v[4:5], v[36:37] op_sel:[0,0,1] op_sel_hi:[1,0,0]
	s_waitcnt lgkmcnt(2)
	v_pk_mul_f32 v[40:41], v[50:51], v[8:9] op_sel:[0,1]
	v_pk_fma_f32 v[42:43], v[48:49], v[6:7], v[56:57] op_sel:[0,0,1] op_sel_hi:[1,1,0] neg_lo:[0,0,1] neg_hi:[0,0,1]
	v_pk_fma_f32 v[68:69], v[48:49], v[6:7], v[56:57] op_sel:[0,0,1] op_sel_hi:[1,0,0]
	v_pk_mul_f32 v[48:49], v[50:51], v[10:11] op_sel:[0,1]
	v_pk_fma_f32 v[38:39], v[50:51], v[8:9], v[40:41] op_sel:[0,0,1] op_sel_hi:[1,1,0] neg_lo:[0,0,1] neg_hi:[0,0,1]
	v_pk_fma_f32 v[40:41], v[50:51], v[8:9], v[40:41] op_sel:[0,0,1] op_sel_hi:[1,0,0]
	v_pk_fma_f32 v[70:71], v[50:51], v[10:11], v[48:49] op_sel:[0,0,1] op_sel_hi:[1,1,0] neg_lo:[0,0,1] neg_hi:[0,0,1]
	v_pk_fma_f32 v[72:73], v[50:51], v[10:11], v[48:49] op_sel:[0,0,1] op_sel_hi:[1,0,0]
	ds_read_b128 v[48:51], v47 offset:1040
	s_waitcnt lgkmcnt(1)
	v_pk_mul_f32 v[56:57], v[52:53], v[4:5] op_sel:[0,1]
	v_mov_b32_e32 v43, v69
	v_pk_fma_f32 v[74:75], v[52:53], v[4:5], v[56:57] op_sel:[0,0,1] op_sel_hi:[1,1,0] neg_lo:[0,0,1] neg_hi:[0,0,1]
	v_pk_fma_f32 v[76:77], v[52:53], v[4:5], v[56:57] op_sel:[0,0,1] op_sel_hi:[1,0,0]
	v_pk_mul_f32 v[4:5], v[52:53], v[6:7] op_sel:[0,1]
	ds_read2_b64 v[56:59], v46 offset0:96 offset1:112
	v_pk_fma_f32 v[78:79], v[52:53], v[6:7], v[4:5] op_sel:[0,0,1] op_sel_hi:[1,1,0] neg_lo:[0,0,1] neg_hi:[0,0,1]
	v_pk_fma_f32 v[80:81], v[52:53], v[6:7], v[4:5] op_sel:[0,0,1] op_sel_hi:[1,0,0]
	v_pk_mul_f32 v[4:5], v[54:55], v[8:9] op_sel:[0,1]
	v_pk_add_f32 v[18:19], v[18:19], v[42:43]
	v_pk_fma_f32 v[82:83], v[54:55], v[8:9], v[4:5] op_sel:[0,0,1] op_sel_hi:[1,1,0] neg_lo:[0,0,1] neg_hi:[0,0,1]
	v_pk_fma_f32 v[84:85], v[54:55], v[8:9], v[4:5] op_sel:[0,0,1] op_sel_hi:[1,0,0]
	ds_read2_b64 v[4:7], v46 offset0:64 offset1:80
	v_pk_mul_f32 v[8:9], v[54:55], v[10:11] op_sel:[0,1]
	v_mov_b32_e32 v71, v73
	v_pk_fma_f32 v[86:87], v[54:55], v[10:11], v[8:9] op_sel:[0,0,1] op_sel_hi:[1,1,0] neg_lo:[0,0,1] neg_hi:[0,0,1]
	v_pk_fma_f32 v[88:89], v[54:55], v[10:11], v[8:9] op_sel:[0,0,1] op_sel_hi:[1,0,0]
	s_waitcnt lgkmcnt(0)
	v_pk_mul_f32 v[8:9], v[0:1], v[4:5] op_sel:[0,1]
	v_pk_mul_f32 v[60:61], v[0:1], v[6:7] op_sel:[0,1]
	v_pk_fma_f32 v[90:91], v[0:1], v[4:5], v[8:9] op_sel:[0,0,1] op_sel_hi:[1,1,0] neg_lo:[0,0,1] neg_hi:[0,0,1]
	v_pk_fma_f32 v[92:93], v[0:1], v[4:5], v[8:9] op_sel:[0,0,1] op_sel_hi:[1,0,0]
	v_pk_mul_f32 v[8:9], v[2:3], v[56:57] op_sel:[0,1]
	v_pk_fma_f32 v[98:99], v[0:1], v[6:7], v[60:61] op_sel:[0,0,1] op_sel_hi:[1,1,0] neg_lo:[0,0,1] neg_hi:[0,0,1]
	v_pk_fma_f32 v[94:95], v[2:3], v[56:57], v[8:9] op_sel:[0,0,1] op_sel_hi:[1,1,0] neg_lo:[0,0,1] neg_hi:[0,0,1]
	v_pk_fma_f32 v[96:97], v[2:3], v[56:57], v[8:9] op_sel:[0,0,1] op_sel_hi:[1,0,0]
	ds_read2_b64 v[8:11], v46 offset0:128 offset1:144
	ds_read_b128 v[52:55], v47 offset:32
	v_pk_fma_f32 v[100:101], v[0:1], v[6:7], v[60:61] op_sel:[0,0,1] op_sel_hi:[1,0,0]
	v_pk_mul_f32 v[0:1], v[2:3], v[58:59] op_sel:[0,1]
	v_pk_add_f32 v[18:19], v[18:19], v[70:71]
	v_pk_fma_f32 v[102:103], v[2:3], v[58:59], v[0:1] op_sel:[0,0,1] op_sel_hi:[1,1,0] neg_lo:[0,0,1] neg_hi:[0,0,1]
	s_waitcnt lgkmcnt(0)
	v_pk_mul_f32 v[60:61], v[52:53], v[8:9] op_sel:[0,1]
	v_pk_fma_f32 v[104:105], v[2:3], v[58:59], v[0:1] op_sel:[0,0,1] op_sel_hi:[1,0,0]
	v_pk_fma_f32 v[106:107], v[52:53], v[8:9], v[60:61] op_sel:[0,0,1] op_sel_hi:[1,1,0] neg_lo:[0,0,1] neg_hi:[0,0,1]
	v_pk_fma_f32 v[108:109], v[52:53], v[8:9], v[60:61] op_sel:[0,0,1] op_sel_hi:[1,0,0]
	ds_read2_b64 v[60:63], v46 offset0:160 offset1:176
	ds_read_b128 v[0:3], v47 offset:48
	v_mov_b32_e32 v99, v101
	v_pk_add_f32 v[18:19], v[18:19], v[98:99]
	v_mov_b32_e32 v103, v105
	s_waitcnt lgkmcnt(1)
	v_pk_mul_f32 v[64:65], v[54:55], v[60:61] op_sel:[0,1]
	v_pk_add_f32 v[18:19], v[18:19], v[102:103]
	v_pk_fma_f32 v[110:111], v[54:55], v[60:61], v[64:65] op_sel:[0,0,1] op_sel_hi:[1,1,0] neg_lo:[0,0,1] neg_hi:[0,0,1]
	v_pk_fma_f32 v[112:113], v[54:55], v[60:61], v[64:65] op_sel:[0,0,1] op_sel_hi:[1,0,0]
	v_pk_mul_f32 v[64:65], v[52:53], v[10:11] op_sel:[0,1]
	v_mov_b32_e32 v75, v77
	v_pk_fma_f32 v[114:115], v[52:53], v[10:11], v[64:65] op_sel:[0,0,1] op_sel_hi:[1,1,0] neg_lo:[0,0,1] neg_hi:[0,0,1]
	v_pk_fma_f32 v[116:117], v[52:53], v[10:11], v[64:65] op_sel:[0,0,1] op_sel_hi:[1,0,0]
	v_pk_mul_f32 v[52:53], v[54:55], v[62:63] op_sel:[0,1]
	v_mov_b32_e32 v115, v117
	v_pk_fma_f32 v[118:119], v[54:55], v[62:63], v[52:53] op_sel:[0,0,1] op_sel_hi:[1,1,0] neg_lo:[0,0,1] neg_hi:[0,0,1]
	v_pk_fma_f32 v[120:121], v[54:55], v[62:63], v[52:53] op_sel:[0,0,1] op_sel_hi:[1,0,0]
	ds_read2_b64 v[52:55], v46 offset0:192 offset1:208
	v_pk_add_f32 v[18:19], v[18:19], v[114:115]
	v_mov_b32_e32 v119, v121
	v_pk_add_f32 v[18:19], v[18:19], v[118:119]
	v_mov_b32_e32 v83, v85
	s_waitcnt lgkmcnt(0)
	v_pk_mul_f32 v[64:65], v[0:1], v[52:53] op_sel:[0,1]
	v_pk_mul_f32 v[130:131], v[0:1], v[54:55] op_sel:[0,1]
	v_pk_fma_f32 v[122:123], v[0:1], v[52:53], v[64:65] op_sel:[0,0,1] op_sel_hi:[1,1,0] neg_lo:[0,0,1] neg_hi:[0,0,1]
	v_pk_fma_f32 v[124:125], v[0:1], v[52:53], v[64:65] op_sel:[0,0,1] op_sel_hi:[1,0,0]
	ds_read2_b64 v[64:67], v46 offset0:224 offset1:240
	v_pk_fma_f32 v[132:133], v[0:1], v[54:55], v[130:131] op_sel:[0,0,1] op_sel_hi:[1,1,0] neg_lo:[0,0,1] neg_hi:[0,0,1]
	v_pk_fma_f32 v[0:1], v[0:1], v[54:55], v[130:131] op_sel:[0,0,1] op_sel_hi:[1,0,0]
	v_mov_b32_e32 v35, v37
	v_mov_b32_e32 v133, v1
	s_waitcnt lgkmcnt(0)
	v_pk_mul_f32 v[126:127], v[2:3], v[64:65] op_sel:[0,1]
	v_pk_mul_f32 v[130:131], v[2:3], v[66:67] op_sel:[0,1]
	v_pk_fma_f32 v[128:129], v[2:3], v[64:65], v[126:127] op_sel:[0,0,1] op_sel_hi:[1,1,0] neg_lo:[0,0,1] neg_hi:[0,0,1]
	v_pk_fma_f32 v[126:127], v[2:3], v[64:65], v[126:127] op_sel:[0,0,1] op_sel_hi:[1,0,0]
	v_pk_fma_f32 v[134:135], v[2:3], v[66:67], v[130:131] op_sel:[0,0,1] op_sel_hi:[1,1,0] neg_lo:[0,0,1] neg_hi:[0,0,1]
	v_pk_fma_f32 v[2:3], v[2:3], v[66:67], v[130:131] op_sel:[0,0,1] op_sel_hi:[1,0,0]
	v_pk_add_f32 v[0:1], v[18:19], v[132:133]
	v_mov_b32_e32 v135, v3
	v_pk_mul_f32 v[2:3], v[48:49], v[4:5] op_sel:[0,1]
	v_pk_add_f32 v[18:19], v[0:1], v[134:135]
	v_pk_add_f32 v[0:1], v[16:17], v[74:75]
	v_pk_fma_f32 v[16:17], v[48:49], v[4:5], v[2:3] op_sel:[0,0,1] op_sel_hi:[1,1,0] neg_lo:[0,0,1] neg_hi:[0,0,1]
	v_pk_fma_f32 v[2:3], v[48:49], v[4:5], v[2:3] op_sel:[0,0,1] op_sel_hi:[1,0,0]
	v_pk_add_f32 v[0:1], v[0:1], v[82:83]
	v_mov_b32_e32 v17, v3
	v_pk_add_f32 v[4:5], v[0:1], v[16:17]
	ds_read_b128 v[0:3], v47 offset:1056
	v_pk_mul_f32 v[16:17], v[50:51], v[56:57] op_sel:[0,1]
	v_pk_add_f32 v[20:21], v[20:21], v[34:35]
	v_pk_fma_f32 v[34:35], v[50:51], v[56:57], v[16:17] op_sel:[0,0,1] op_sel_hi:[1,1,0] neg_lo:[0,0,1] neg_hi:[0,0,1]
	v_pk_fma_f32 v[16:17], v[50:51], v[56:57], v[16:17] op_sel:[0,0,1] op_sel_hi:[1,0,0]
	v_mov_b32_e32 v39, v41
	v_mov_b32_e32 v35, v17
	v_pk_add_f32 v[4:5], v[4:5], v[34:35]
	ds_read_b128 v[34:37], v47 offset:1072
	s_waitcnt lgkmcnt(1)
	v_pk_mul_f32 v[16:17], v[0:1], v[8:9] op_sel:[0,1]
	v_pk_add_f32 v[20:21], v[20:21], v[38:39]
	v_pk_fma_f32 v[38:39], v[0:1], v[8:9], v[16:17] op_sel:[0,0,1] op_sel_hi:[1,1,0] neg_lo:[0,0,1] neg_hi:[0,0,1]
	v_pk_fma_f32 v[8:9], v[0:1], v[8:9], v[16:17] op_sel:[0,0,1] op_sel_hi:[1,0,0]
	v_mov_b32_e32 v79, v81
	v_mov_b32_e32 v39, v9
	v_pk_mul_f32 v[8:9], v[2:3], v[60:61] op_sel:[0,1]
	v_pk_add_f32 v[4:5], v[4:5], v[38:39]
	v_pk_fma_f32 v[16:17], v[2:3], v[60:61], v[8:9] op_sel:[0,0,1] op_sel_hi:[1,1,0] neg_lo:[0,0,1] neg_hi:[0,0,1]
	v_pk_fma_f32 v[8:9], v[2:3], v[60:61], v[8:9] op_sel:[0,0,1] op_sel_hi:[1,0,0]
	v_mov_b32_e32 v87, v89
	v_mov_b32_e32 v17, v9
	s_waitcnt lgkmcnt(0)
	v_pk_mul_f32 v[8:9], v[34:35], v[52:53] op_sel:[0,1]
	v_pk_add_f32 v[4:5], v[4:5], v[16:17]
	v_pk_fma_f32 v[16:17], v[34:35], v[52:53], v[8:9] op_sel:[0,0,1] op_sel_hi:[1,1,0] neg_lo:[0,0,1] neg_hi:[0,0,1]
	v_pk_fma_f32 v[8:9], v[34:35], v[52:53], v[8:9] op_sel:[0,0,1] op_sel_hi:[1,0,0]
	v_mov_b32_e32 v91, v93
	v_mov_b32_e32 v17, v9
	v_pk_mul_f32 v[8:9], v[36:37], v[64:65] op_sel:[0,1]
	v_pk_add_f32 v[4:5], v[4:5], v[16:17]
	v_pk_fma_f32 v[16:17], v[36:37], v[64:65], v[8:9] op_sel:[0,0,1] op_sel_hi:[1,1,0] neg_lo:[0,0,1] neg_hi:[0,0,1]
	v_pk_fma_f32 v[8:9], v[36:37], v[64:65], v[8:9] op_sel:[0,0,1] op_sel_hi:[1,0,0]
	v_pk_add_f32 v[20:21], v[20:21], v[90:91]
	v_mov_b32_e32 v17, v9
	v_pk_mul_f32 v[8:9], v[48:49], v[6:7] op_sel:[0,1]
	v_pk_add_f32 v[16:17], v[4:5], v[16:17]
	v_pk_add_f32 v[4:5], v[14:15], v[78:79]
	v_pk_fma_f32 v[14:15], v[48:49], v[6:7], v[8:9] op_sel:[0,0,1] op_sel_hi:[1,1,0] neg_lo:[0,0,1] neg_hi:[0,0,1]
	v_pk_fma_f32 v[6:7], v[48:49], v[6:7], v[8:9] op_sel:[0,0,1] op_sel_hi:[1,0,0]
	v_pk_add_f32 v[4:5], v[4:5], v[86:87]
	v_mov_b32_e32 v15, v7
	v_pk_mul_f32 v[6:7], v[50:51], v[58:59] op_sel:[0,1]
	v_pk_add_f32 v[4:5], v[4:5], v[14:15]
	v_pk_fma_f32 v[8:9], v[50:51], v[58:59], v[6:7] op_sel:[0,0,1] op_sel_hi:[1,1,0] neg_lo:[0,0,1] neg_hi:[0,0,1]
	v_pk_fma_f32 v[6:7], v[50:51], v[58:59], v[6:7] op_sel:[0,0,1] op_sel_hi:[1,0,0]
	v_mov_b32_e32 v95, v97
	v_mov_b32_e32 v9, v7
	v_pk_mul_f32 v[6:7], v[0:1], v[10:11] op_sel:[0,1]
	v_pk_add_f32 v[4:5], v[4:5], v[8:9]
	v_pk_fma_f32 v[8:9], v[0:1], v[10:11], v[6:7] op_sel:[0,0,1] op_sel_hi:[1,1,0] neg_lo:[0,0,1] neg_hi:[0,0,1]
	v_pk_fma_f32 v[0:1], v[0:1], v[10:11], v[6:7] op_sel:[0,0,1] op_sel_hi:[1,0,0]
	v_pk_add_f32 v[20:21], v[20:21], v[94:95]
	v_mov_b32_e32 v9, v1
	v_pk_add_f32 v[0:1], v[4:5], v[8:9]
	v_pk_mul_f32 v[4:5], v[2:3], v[62:63] op_sel:[0,1]
	v_mov_b32_e32 v107, v109
	v_pk_fma_f32 v[6:7], v[2:3], v[62:63], v[4:5] op_sel:[0,0,1] op_sel_hi:[1,1,0] neg_lo:[0,0,1] neg_hi:[0,0,1]
	v_pk_fma_f32 v[2:3], v[2:3], v[62:63], v[4:5] op_sel:[0,0,1] op_sel_hi:[1,0,0]
	v_pk_add_f32 v[20:21], v[20:21], v[106:107]
	v_mov_b32_e32 v7, v3
	v_pk_mul_f32 v[2:3], v[34:35], v[54:55] op_sel:[0,1]
	v_mov_b32_e32 v111, v113
	v_pk_fma_f32 v[4:5], v[34:35], v[54:55], v[2:3] op_sel:[0,0,1] op_sel_hi:[1,1,0] neg_lo:[0,0,1] neg_hi:[0,0,1]
	v_pk_fma_f32 v[2:3], v[34:35], v[54:55], v[2:3] op_sel:[0,0,1] op_sel_hi:[1,0,0]
	v_pk_add_f32 v[0:1], v[0:1], v[6:7]
	v_mov_b32_e32 v5, v3
	v_pk_mul_f32 v[2:3], v[36:37], v[66:67] op_sel:[0,1]
	v_pk_add_f32 v[20:21], v[20:21], v[110:111]
	v_mov_b32_e32 v123, v125
	v_pk_add_f32 v[0:1], v[0:1], v[4:5]
	v_pk_fma_f32 v[4:5], v[36:37], v[66:67], v[2:3] op_sel:[0,0,1] op_sel_hi:[1,1,0] neg_lo:[0,0,1] neg_hi:[0,0,1]
	v_pk_fma_f32 v[2:3], v[36:37], v[66:67], v[2:3] op_sel:[0,0,1] op_sel_hi:[1,0,0]
	s_addc_u32 s17, s17, 0
	v_pk_add_f32 v[20:21], v[20:21], v[122:123]
	v_mov_b32_e32 v129, v127
	v_mov_b32_e32 v5, v3
	v_cmp_lt_i64_e32 vcc, s[16:17], v[32:33]
	v_pk_add_f32 v[20:21], v[20:21], v[128:129]
	v_pk_add_f32 v[14:15], v[0:1], v[4:5]
	v_lshl_add_u64 v[28:29], v[28:29], 0, s[22:23]
	v_lshl_add_u64 v[30:31], v[30:31], 0, 64
	s_barrier
	s_cbranch_vccz .LBB111_11
.LBB111_3:                              ; =>This Inner Loop Header: Depth=1
	v_lshl_add_u64 v[0:1], v[24:25], 0, s[16:17]
	v_cmp_le_i64_e32 vcc, s[12:13], v[0:1]
	s_or_b64 s[20:21], s[18:19], vcc
	s_and_saveexec_b64 s[24:25], s[20:21]
	s_xor_b64 s[20:21], exec, s[24:25]
; %bb.4:                                ;   in Loop: Header=BB111_3 Depth=1
	ds_write_b32 v44, v25
; %bb.5:                                ;   in Loop: Header=BB111_3 Depth=1
	s_or_saveexec_b64 s[20:21], s[20:21]
	v_mov_b32_e32 v0, 0
	s_xor_b64 exec, exec, s[20:21]
	s_cbranch_execz .LBB111_7
; %bb.6:                                ;   in Loop: Header=BB111_3 Depth=1
	global_load_dwordx2 v[2:3], v[30:31], off offset:-4
	s_waitcnt vmcnt(0)
	v_xor_b32_e32 v0, 0x80000000, v3
	ds_write_b32 v44, v2
.LBB111_7:                              ;   in Loop: Header=BB111_3 Depth=1
	s_or_b64 exec, exec, s[20:21]
	ds_write_b32 v44, v0 offset:4
	v_lshl_add_u64 v[0:1], v[26:27], 0, s[16:17]
	v_cmp_le_i64_e32 vcc, s[12:13], v[0:1]
	s_or_b64 s[20:21], vcc, s[2:3]
	s_and_saveexec_b64 s[24:25], s[20:21]
	s_xor_b64 s[20:21], exec, s[24:25]
; %bb.8:                                ;   in Loop: Header=BB111_3 Depth=1
	ds_write_b32 v45, v25
; %bb.9:                                ;   in Loop: Header=BB111_3 Depth=1
	s_or_saveexec_b64 s[20:21], s[20:21]
	v_mov_b32_e32 v0, 0
	s_xor_b64 exec, exec, s[20:21]
	s_cbranch_execz .LBB111_2
; %bb.10:                               ;   in Loop: Header=BB111_3 Depth=1
	global_load_dwordx2 v[2:3], v[28:29], off offset:-4
	s_waitcnt vmcnt(0)
	v_xor_b32_e32 v0, 0x80000000, v3
	ds_write_b32 v45, v2
	s_branch .LBB111_2
.LBB111_11:
	s_load_dwordx4 s[24:27], s[0:1], 0x78
	s_load_dwordx8 s[16:23], s[0:1], 0x58
	v_lshl_add_u64 v[0:1], s[6:7], 0, v[22:23]
	s_waitcnt lgkmcnt(0)
	s_mul_i32 s1, s27, s4
	s_mul_hi_u32 s2, s26, s4
	s_mul_i32 s0, s26, s4
	s_add_i32 s1, s2, s1
	s_lshl_b64 s[0:1], s[0:1], 3
	s_add_u32 s12, s22, s0
	s_addc_u32 s13, s23, s1
	s_or_b32 s0, s28, s29
	s_bitset0_b32 s0, 31
	s_cmp_lg_u32 s0, 0
	v_cmp_gt_i64_e64 s[0:1], s[10:11], v[0:1]
	s_mov_b64 s[2:3], -1
	s_cbranch_scc1 .LBB111_23
; %bb.12:
	s_and_saveexec_b64 s[22:23], s[0:1]
	s_cbranch_execz .LBB111_22
; %bb.13:
	v_mul_lo_u32 v6, v1, s24
	v_mul_lo_u32 v7, v0, s25
	v_mad_u64_u32 v[4:5], s[2:3], v0, s24, 0
	v_add3_u32 v5, v5, v7, v6
	v_lshl_add_u64 v[2:3], s[30:31], 0, v[12:13]
	v_lshl_add_u64 v[4:5], v[4:5], 3, s[12:13]
	v_cmp_gt_i64_e32 vcc, s[8:9], v[2:3]
	s_mov_b32 s26, s14
	s_mov_b32 s27, s14
	;; [unrolled: 1-line block ×4, first 2 shown]
	v_lshl_add_u64 v[6:7], v[2:3], 3, v[4:5]
	s_and_saveexec_b64 s[2:3], vcc
	s_cbranch_execz .LBB111_15
; %bb.14:
	v_pk_mul_f32 v[8:9], v[20:21], s[34:35]
	s_nop 0
	v_pk_fma_f32 v[10:11], v[20:21], s[26:27], v[8:9] op_sel:[0,0,1] op_sel_hi:[1,1,0] neg_lo:[0,0,1] neg_hi:[0,0,1]
	v_pk_fma_f32 v[8:9], v[20:21], s[26:27], v[8:9] op_sel:[0,0,1] op_sel_hi:[1,1,0]
	s_nop 0
	v_mov_b32_e32 v11, v9
	global_store_dwordx2 v[6:7], v[10:11], off
.LBB111_15:
	s_or_b64 exec, exec, s[2:3]
	v_lshl_add_u64 v[8:9], v[2:3], 0, 16
	v_cmp_gt_i64_e64 s[2:3], s[8:9], v[8:9]
	s_and_saveexec_b64 s[6:7], s[2:3]
	s_cbranch_execz .LBB111_17
; %bb.16:
	v_pk_mul_f32 v[8:9], v[18:19], s[34:35]
	s_nop 0
	v_pk_fma_f32 v[10:11], v[18:19], s[26:27], v[8:9] op_sel:[0,0,1] op_sel_hi:[1,1,0] neg_lo:[0,0,1] neg_hi:[0,0,1]
	v_pk_fma_f32 v[8:9], v[18:19], s[26:27], v[8:9] op_sel:[0,0,1] op_sel_hi:[1,1,0]
	s_nop 0
	v_mov_b32_e32 v11, v9
	global_store_dwordx2 v[6:7], v[10:11], off offset:128
.LBB111_17:
	s_or_b64 exec, exec, s[6:7]
	v_lshl_add_u64 v[6:7], v[0:1], 0, 16
	v_cmp_gt_i64_e64 s[6:7], s[10:11], v[6:7]
	s_and_b64 exec, exec, s[6:7]
	s_cbranch_execz .LBB111_22
; %bb.18:
	s_lshl_b64 s[6:7], s[24:25], 7
	v_lshl_add_u64 v[4:5], v[4:5], 0, s[6:7]
	v_lshl_add_u64 v[2:3], v[2:3], 3, v[4:5]
	s_and_saveexec_b64 s[6:7], vcc
	s_cbranch_execz .LBB111_20
; %bb.19:
	v_pk_mul_f32 v[4:5], v[16:17], s[34:35]
	s_nop 0
	v_pk_fma_f32 v[6:7], v[16:17], s[26:27], v[4:5] op_sel:[0,0,1] op_sel_hi:[1,1,0] neg_lo:[0,0,1] neg_hi:[0,0,1]
	v_pk_fma_f32 v[4:5], v[16:17], s[26:27], v[4:5] op_sel:[0,0,1] op_sel_hi:[1,1,0]
	s_nop 0
	v_mov_b32_e32 v7, v5
	global_store_dwordx2 v[2:3], v[6:7], off
.LBB111_20:
	s_or_b64 exec, exec, s[6:7]
	s_and_b64 exec, exec, s[2:3]
	s_cbranch_execz .LBB111_22
; %bb.21:
	v_pk_mul_f32 v[4:5], v[14:15], s[34:35]
	s_nop 0
	v_pk_fma_f32 v[6:7], v[14:15], s[26:27], v[4:5] op_sel:[0,0,1] op_sel_hi:[1,1,0] neg_lo:[0,0,1] neg_hi:[0,0,1]
	v_pk_fma_f32 v[4:5], v[14:15], s[26:27], v[4:5] op_sel:[0,0,1] op_sel_hi:[1,1,0]
	s_nop 0
	v_mov_b32_e32 v7, v5
	global_store_dwordx2 v[2:3], v[6:7], off offset:128
.LBB111_22:
	s_or_b64 exec, exec, s[22:23]
	s_mov_b64 s[2:3], 0
.LBB111_23:
	s_andn2_b64 vcc, exec, s[2:3]
	s_cbranch_vccnz .LBB111_34
; %bb.24:
	s_and_saveexec_b64 s[2:3], s[0:1]
	s_cbranch_execz .LBB111_34
; %bb.25:
	s_mul_i32 s0, s21, s4
	s_mul_hi_u32 s1, s20, s4
	s_add_i32 s1, s1, s0
	s_mul_i32 s0, s20, s4
	s_lshl_b64 s[0:1], s[0:1], 3
	v_mul_lo_u32 v4, v1, s18
	v_mul_lo_u32 v5, v0, s19
	v_mad_u64_u32 v[2:3], s[2:3], v0, s18, 0
	s_add_u32 s0, s16, s0
	v_add3_u32 v3, v3, v5, v4
	v_mul_lo_u32 v6, v1, s24
	v_mul_lo_u32 v7, v0, s25
	v_mad_u64_u32 v[4:5], s[2:3], v0, s24, 0
	s_addc_u32 s1, s17, s1
	v_lshl_add_u64 v[8:9], s[30:31], 0, v[12:13]
	v_add3_u32 v5, v5, v7, v6
	v_cmp_gt_i64_e32 vcc, s[8:9], v[8:9]
	s_mov_b32 s4, s14
	s_mov_b32 s5, s14
	s_mov_b32 s14, s15
	s_mov_b32 s6, s28
	s_mov_b32 s7, s28
	s_mov_b32 s28, s29
	v_lshl_add_u64 v[6:7], v[2:3], 3, s[0:1]
	v_lshl_add_u64 v[4:5], v[4:5], 3, s[12:13]
	v_lshlrev_b64 v[2:3], 3, v[8:9]
	s_and_saveexec_b64 s[0:1], vcc
	s_cbranch_execz .LBB111_27
; %bb.26:
	v_lshl_add_u64 v[10:11], v[6:7], 0, v[2:3]
	global_load_dwordx2 v[10:11], v[10:11], off
	v_pk_mul_f32 v[22:23], v[20:21], s[14:15]
	v_lshl_add_u64 v[12:13], v[4:5], 0, v[2:3]
	v_pk_fma_f32 v[24:25], v[20:21], s[4:5], v[22:23] op_sel:[0,0,1] op_sel_hi:[1,1,0] neg_lo:[0,0,1] neg_hi:[0,0,1]
	v_pk_fma_f32 v[20:21], v[20:21], s[4:5], v[22:23] op_sel:[0,0,1] op_sel_hi:[1,1,0]
	s_nop 0
	v_mov_b32_e32 v25, v21
	s_waitcnt vmcnt(0)
	v_pk_mul_f32 v[20:21], v[10:11], s[28:29]
	s_nop 0
	v_pk_fma_f32 v[22:23], v[10:11], s[6:7], v[20:21] op_sel:[0,0,1] op_sel_hi:[1,1,0] neg_lo:[0,0,1] neg_hi:[0,0,1]
	v_pk_fma_f32 v[10:11], v[10:11], s[6:7], v[20:21] op_sel:[0,0,1] op_sel_hi:[1,1,0]
	s_nop 0
	v_mov_b32_e32 v23, v11
	v_pk_add_f32 v[10:11], v[24:25], v[22:23]
	global_store_dwordx2 v[12:13], v[10:11], off
.LBB111_27:
	s_or_b64 exec, exec, s[0:1]
	v_lshl_add_u64 v[8:9], v[8:9], 0, 16
	v_cmp_gt_i64_e64 s[0:1], s[8:9], v[8:9]
	s_and_saveexec_b64 s[2:3], s[0:1]
	s_cbranch_execz .LBB111_29
; %bb.28:
	v_lshl_add_u64 v[8:9], v[6:7], 0, v[2:3]
	global_load_dwordx2 v[8:9], v[8:9], off offset:128
	v_pk_mul_f32 v[12:13], v[18:19], s[14:15]
	v_lshl_add_u64 v[10:11], v[4:5], 0, v[2:3]
	v_pk_fma_f32 v[20:21], v[18:19], s[4:5], v[12:13] op_sel:[0,0,1] op_sel_hi:[1,1,0] neg_lo:[0,0,1] neg_hi:[0,0,1]
	v_pk_fma_f32 v[12:13], v[18:19], s[4:5], v[12:13] op_sel:[0,0,1] op_sel_hi:[1,1,0]
	s_nop 0
	v_mov_b32_e32 v21, v13
	s_waitcnt vmcnt(0)
	v_pk_mul_f32 v[12:13], v[8:9], s[28:29]
	s_nop 0
	v_pk_fma_f32 v[18:19], v[8:9], s[6:7], v[12:13] op_sel:[0,0,1] op_sel_hi:[1,1,0] neg_lo:[0,0,1] neg_hi:[0,0,1]
	v_pk_fma_f32 v[8:9], v[8:9], s[6:7], v[12:13] op_sel:[0,0,1] op_sel_hi:[1,1,0]
	s_nop 0
	v_mov_b32_e32 v19, v9
	v_pk_add_f32 v[8:9], v[20:21], v[18:19]
	global_store_dwordx2 v[10:11], v[8:9], off offset:128
.LBB111_29:
	s_or_b64 exec, exec, s[2:3]
	v_lshl_add_u64 v[0:1], v[0:1], 0, 16
	v_cmp_gt_i64_e64 s[2:3], s[10:11], v[0:1]
	s_and_b64 exec, exec, s[2:3]
	s_cbranch_execz .LBB111_34
; %bb.30:
	s_lshl_b64 s[2:3], s[18:19], 7
	v_lshl_add_u64 v[0:1], v[6:7], 0, s[2:3]
	s_lshl_b64 s[2:3], s[24:25], 7
	v_lshl_add_u64 v[6:7], v[4:5], 0, s[2:3]
	v_lshl_add_u64 v[4:5], v[0:1], 0, v[2:3]
	;; [unrolled: 1-line block ×3, first 2 shown]
	s_and_saveexec_b64 s[2:3], vcc
	s_cbranch_execz .LBB111_32
; %bb.31:
	global_load_dwordx2 v[2:3], v[4:5], off
	v_pk_mul_f32 v[6:7], v[16:17], s[14:15]
	s_nop 0
	v_pk_fma_f32 v[8:9], v[16:17], s[4:5], v[6:7] op_sel:[0,0,1] op_sel_hi:[1,1,0] neg_lo:[0,0,1] neg_hi:[0,0,1]
	v_pk_fma_f32 v[6:7], v[16:17], s[4:5], v[6:7] op_sel:[0,0,1] op_sel_hi:[1,1,0]
	s_nop 0
	v_mov_b32_e32 v9, v7
	s_waitcnt vmcnt(0)
	v_pk_mul_f32 v[6:7], v[2:3], s[28:29]
	s_nop 0
	v_pk_fma_f32 v[10:11], v[2:3], s[6:7], v[6:7] op_sel:[0,0,1] op_sel_hi:[1,1,0] neg_lo:[0,0,1] neg_hi:[0,0,1]
	v_pk_fma_f32 v[2:3], v[2:3], s[6:7], v[6:7] op_sel:[0,0,1] op_sel_hi:[1,1,0]
	s_nop 0
	v_mov_b32_e32 v11, v3
	v_pk_add_f32 v[2:3], v[8:9], v[10:11]
	global_store_dwordx2 v[0:1], v[2:3], off
.LBB111_32:
	s_or_b64 exec, exec, s[2:3]
	s_and_b64 exec, exec, s[0:1]
	s_cbranch_execz .LBB111_34
; %bb.33:
	global_load_dwordx2 v[2:3], v[4:5], off offset:128
	v_pk_mul_f32 v[4:5], v[14:15], s[14:15]
	s_nop 0
	v_pk_fma_f32 v[6:7], v[14:15], s[4:5], v[4:5] op_sel:[0,0,1] op_sel_hi:[1,1,0] neg_lo:[0,0,1] neg_hi:[0,0,1]
	v_pk_fma_f32 v[4:5], v[14:15], s[4:5], v[4:5] op_sel:[0,0,1] op_sel_hi:[1,1,0]
	s_nop 0
	v_mov_b32_e32 v7, v5
	s_waitcnt vmcnt(0)
	v_pk_mul_f32 v[4:5], v[2:3], s[28:29]
	s_nop 0
	v_pk_fma_f32 v[8:9], v[2:3], s[6:7], v[4:5] op_sel:[0,0,1] op_sel_hi:[1,1,0] neg_lo:[0,0,1] neg_hi:[0,0,1]
	v_pk_fma_f32 v[2:3], v[2:3], s[6:7], v[4:5] op_sel:[0,0,1] op_sel_hi:[1,1,0]
	s_nop 0
	v_mov_b32_e32 v9, v3
	v_pk_add_f32 v[2:3], v[6:7], v[8:9]
	global_store_dwordx2 v[0:1], v[2:3], off offset:128
.LBB111_34:
	s_endpgm
	.section	.rodata,"a",@progbits
	.p2align	6, 0x0
	.amdhsa_kernel _ZN12_GLOBAL__N_135rocblas_gemm_batched_general_kernelI19rocblas_complex_numIfELi16ELi16ELi32ELi32ELi8ELi32ELi8ELi8ELi32ELc67ELc67EKS2_S3_S2_EEvlllT_PT11_llS6_llS4_PT12_llPT13_lli
		.amdhsa_group_segment_fixed_size 4096
		.amdhsa_private_segment_fixed_size 0
		.amdhsa_kernarg_size 140
		.amdhsa_user_sgpr_count 2
		.amdhsa_user_sgpr_dispatch_ptr 0
		.amdhsa_user_sgpr_queue_ptr 0
		.amdhsa_user_sgpr_kernarg_segment_ptr 1
		.amdhsa_user_sgpr_dispatch_id 0
		.amdhsa_user_sgpr_kernarg_preload_length 0
		.amdhsa_user_sgpr_kernarg_preload_offset 0
		.amdhsa_user_sgpr_private_segment_size 0
		.amdhsa_uses_dynamic_stack 0
		.amdhsa_enable_private_segment 0
		.amdhsa_system_sgpr_workgroup_id_x 1
		.amdhsa_system_sgpr_workgroup_id_y 1
		.amdhsa_system_sgpr_workgroup_id_z 1
		.amdhsa_system_sgpr_workgroup_info 0
		.amdhsa_system_vgpr_workitem_id 1
		.amdhsa_next_free_vgpr 136
		.amdhsa_next_free_sgpr 38
		.amdhsa_accum_offset 136
		.amdhsa_reserve_vcc 1
		.amdhsa_float_round_mode_32 0
		.amdhsa_float_round_mode_16_64 0
		.amdhsa_float_denorm_mode_32 3
		.amdhsa_float_denorm_mode_16_64 3
		.amdhsa_dx10_clamp 1
		.amdhsa_ieee_mode 1
		.amdhsa_fp16_overflow 0
		.amdhsa_tg_split 0
		.amdhsa_exception_fp_ieee_invalid_op 0
		.amdhsa_exception_fp_denorm_src 0
		.amdhsa_exception_fp_ieee_div_zero 0
		.amdhsa_exception_fp_ieee_overflow 0
		.amdhsa_exception_fp_ieee_underflow 0
		.amdhsa_exception_fp_ieee_inexact 0
		.amdhsa_exception_int_div_zero 0
	.end_amdhsa_kernel
	.section	.text._ZN12_GLOBAL__N_135rocblas_gemm_batched_general_kernelI19rocblas_complex_numIfELi16ELi16ELi32ELi32ELi8ELi32ELi8ELi8ELi32ELc67ELc67EKS2_S3_S2_EEvlllT_PT11_llS6_llS4_PT12_llPT13_lli,"axG",@progbits,_ZN12_GLOBAL__N_135rocblas_gemm_batched_general_kernelI19rocblas_complex_numIfELi16ELi16ELi32ELi32ELi8ELi32ELi8ELi8ELi32ELc67ELc67EKS2_S3_S2_EEvlllT_PT11_llS6_llS4_PT12_llPT13_lli,comdat
.Lfunc_end111:
	.size	_ZN12_GLOBAL__N_135rocblas_gemm_batched_general_kernelI19rocblas_complex_numIfELi16ELi16ELi32ELi32ELi8ELi32ELi8ELi8ELi32ELc67ELc67EKS2_S3_S2_EEvlllT_PT11_llS6_llS4_PT12_llPT13_lli, .Lfunc_end111-_ZN12_GLOBAL__N_135rocblas_gemm_batched_general_kernelI19rocblas_complex_numIfELi16ELi16ELi32ELi32ELi8ELi32ELi8ELi8ELi32ELc67ELc67EKS2_S3_S2_EEvlllT_PT11_llS6_llS4_PT12_llPT13_lli
                                        ; -- End function
	.set _ZN12_GLOBAL__N_135rocblas_gemm_batched_general_kernelI19rocblas_complex_numIfELi16ELi16ELi32ELi32ELi8ELi32ELi8ELi8ELi32ELc67ELc67EKS2_S3_S2_EEvlllT_PT11_llS6_llS4_PT12_llPT13_lli.num_vgpr, 136
	.set _ZN12_GLOBAL__N_135rocblas_gemm_batched_general_kernelI19rocblas_complex_numIfELi16ELi16ELi32ELi32ELi8ELi32ELi8ELi8ELi32ELc67ELc67EKS2_S3_S2_EEvlllT_PT11_llS6_llS4_PT12_llPT13_lli.num_agpr, 0
	.set _ZN12_GLOBAL__N_135rocblas_gemm_batched_general_kernelI19rocblas_complex_numIfELi16ELi16ELi32ELi32ELi8ELi32ELi8ELi8ELi32ELc67ELc67EKS2_S3_S2_EEvlllT_PT11_llS6_llS4_PT12_llPT13_lli.numbered_sgpr, 38
	.set _ZN12_GLOBAL__N_135rocblas_gemm_batched_general_kernelI19rocblas_complex_numIfELi16ELi16ELi32ELi32ELi8ELi32ELi8ELi8ELi32ELc67ELc67EKS2_S3_S2_EEvlllT_PT11_llS6_llS4_PT12_llPT13_lli.num_named_barrier, 0
	.set _ZN12_GLOBAL__N_135rocblas_gemm_batched_general_kernelI19rocblas_complex_numIfELi16ELi16ELi32ELi32ELi8ELi32ELi8ELi8ELi32ELc67ELc67EKS2_S3_S2_EEvlllT_PT11_llS6_llS4_PT12_llPT13_lli.private_seg_size, 0
	.set _ZN12_GLOBAL__N_135rocblas_gemm_batched_general_kernelI19rocblas_complex_numIfELi16ELi16ELi32ELi32ELi8ELi32ELi8ELi8ELi32ELc67ELc67EKS2_S3_S2_EEvlllT_PT11_llS6_llS4_PT12_llPT13_lli.uses_vcc, 1
	.set _ZN12_GLOBAL__N_135rocblas_gemm_batched_general_kernelI19rocblas_complex_numIfELi16ELi16ELi32ELi32ELi8ELi32ELi8ELi8ELi32ELc67ELc67EKS2_S3_S2_EEvlllT_PT11_llS6_llS4_PT12_llPT13_lli.uses_flat_scratch, 0
	.set _ZN12_GLOBAL__N_135rocblas_gemm_batched_general_kernelI19rocblas_complex_numIfELi16ELi16ELi32ELi32ELi8ELi32ELi8ELi8ELi32ELc67ELc67EKS2_S3_S2_EEvlllT_PT11_llS6_llS4_PT12_llPT13_lli.has_dyn_sized_stack, 0
	.set _ZN12_GLOBAL__N_135rocblas_gemm_batched_general_kernelI19rocblas_complex_numIfELi16ELi16ELi32ELi32ELi8ELi32ELi8ELi8ELi32ELc67ELc67EKS2_S3_S2_EEvlllT_PT11_llS6_llS4_PT12_llPT13_lli.has_recursion, 0
	.set _ZN12_GLOBAL__N_135rocblas_gemm_batched_general_kernelI19rocblas_complex_numIfELi16ELi16ELi32ELi32ELi8ELi32ELi8ELi8ELi32ELc67ELc67EKS2_S3_S2_EEvlllT_PT11_llS6_llS4_PT12_llPT13_lli.has_indirect_call, 0
	.section	.AMDGPU.csdata,"",@progbits
; Kernel info:
; codeLenInByte = 3220
; TotalNumSgprs: 44
; NumVgprs: 136
; NumAgprs: 0
; TotalNumVgprs: 136
; ScratchSize: 0
; MemoryBound: 0
; FloatMode: 240
; IeeeMode: 1
; LDSByteSize: 4096 bytes/workgroup (compile time only)
; SGPRBlocks: 5
; VGPRBlocks: 16
; NumSGPRsForWavesPerEU: 44
; NumVGPRsForWavesPerEU: 136
; AccumOffset: 136
; Occupancy: 3
; WaveLimiterHint : 1
; COMPUTE_PGM_RSRC2:SCRATCH_EN: 0
; COMPUTE_PGM_RSRC2:USER_SGPR: 2
; COMPUTE_PGM_RSRC2:TRAP_HANDLER: 0
; COMPUTE_PGM_RSRC2:TGID_X_EN: 1
; COMPUTE_PGM_RSRC2:TGID_Y_EN: 1
; COMPUTE_PGM_RSRC2:TGID_Z_EN: 1
; COMPUTE_PGM_RSRC2:TIDIG_COMP_CNT: 1
; COMPUTE_PGM_RSRC3_GFX90A:ACCUM_OFFSET: 33
; COMPUTE_PGM_RSRC3_GFX90A:TG_SPLIT: 0
	.section	.text._ZN12_GLOBAL__N_135rocblas_gemm_batched_general_kernelI19rocblas_complex_numIfELi16ELi16ELi32ELi32ELi8ELi32ELi8ELi8ELi32ELc67ELc78EKS2_S3_S2_EEvlllT_PT11_llS6_llS4_PT12_llPT13_lli,"axG",@progbits,_ZN12_GLOBAL__N_135rocblas_gemm_batched_general_kernelI19rocblas_complex_numIfELi16ELi16ELi32ELi32ELi8ELi32ELi8ELi8ELi32ELc67ELc78EKS2_S3_S2_EEvlllT_PT11_llS6_llS4_PT12_llPT13_lli,comdat
	.globl	_ZN12_GLOBAL__N_135rocblas_gemm_batched_general_kernelI19rocblas_complex_numIfELi16ELi16ELi32ELi32ELi8ELi32ELi8ELi8ELi32ELc67ELc78EKS2_S3_S2_EEvlllT_PT11_llS6_llS4_PT12_llPT13_lli ; -- Begin function _ZN12_GLOBAL__N_135rocblas_gemm_batched_general_kernelI19rocblas_complex_numIfELi16ELi16ELi32ELi32ELi8ELi32ELi8ELi8ELi32ELc67ELc78EKS2_S3_S2_EEvlllT_PT11_llS6_llS4_PT12_llPT13_lli
	.p2align	8
	.type	_ZN12_GLOBAL__N_135rocblas_gemm_batched_general_kernelI19rocblas_complex_numIfELi16ELi16ELi32ELi32ELi8ELi32ELi8ELi8ELi32ELc67ELc78EKS2_S3_S2_EEvlllT_PT11_llS6_llS4_PT12_llPT13_lli,@function
_ZN12_GLOBAL__N_135rocblas_gemm_batched_general_kernelI19rocblas_complex_numIfELi16ELi16ELi32ELi32ELi8ELi32ELi8ELi8ELi32ELc67ELc78EKS2_S3_S2_EEvlllT_PT11_llS6_llS4_PT12_llPT13_lli: ; @_ZN12_GLOBAL__N_135rocblas_gemm_batched_general_kernelI19rocblas_complex_numIfELi16ELi16ELi32ELi32ELi8ELi32ELi8ELi8ELi32ELc67ELc78EKS2_S3_S2_EEvlllT_PT11_llS6_llS4_PT12_llPT13_lli
; %bb.0:
	s_load_dwordx16 s[8:23], s[0:1], 0x0
	s_load_dwordx2 s[28:29], s[0:1], 0x50
	s_mov_b32 s6, s3
	s_ashr_i32 s3, s2, 31
	v_mov_b32_e32 v23, 0
	s_lshl_b64 s[30:31], s[2:3], 5
	s_ashr_i32 s7, s6, 31
	s_waitcnt lgkmcnt(0)
	v_cmp_lt_i64_e64 s[2:3], s[12:13], 1
	v_and_b32_e32 v12, 0x3ff, v0
	v_bfe_u32 v22, v0, 10, 10
	v_mov_b32_e32 v13, v23
	s_lshl_b64 s[6:7], s[6:7], 5
	s_and_b64 vcc, exec, s[2:3]
	v_mov_b32_e32 v21, v23
	v_mov_b32_e32 v20, v23
	;; [unrolled: 1-line block ×8, first 2 shown]
	s_cbranch_vccnz .LBB112_9
; %bb.1:
	v_lshl_add_u32 v4, v22, 4, v12
	s_load_dwordx4 s[24:27], s[0:1], 0x40
	v_lshrrev_b32_e32 v24, 5, v4
	v_lshrrev_b32_e32 v0, 3, v4
	v_and_b32_e32 v4, 31, v4
	v_mov_b32_e32 v25, 0
	v_and_b32_e32 v26, 7, v12
	v_or_b32_e32 v6, s30, v4
	v_mov_b32_e32 v7, s31
	v_mov_b32_e32 v1, v25
	v_cmp_gt_i64_e32 vcc, s[8:9], v[6:7]
	v_lshlrev_b32_e32 v6, 3, v26
	v_lshl_add_u64 v[2:3], v[0:1], 0, s[6:7]
	v_lshl_or_b32 v0, v0, 6, v6
	v_lshlrev_b32_e32 v1, 3, v4
	v_add_u32_e32 v45, 0x800, v0
	v_mov_b32_e32 v0, 0x800
	v_lshl_or_b32 v44, v24, 8, v1
	v_cmp_gt_i64_e64 s[2:3], s[10:11], v[2:3]
	v_lshl_add_u32 v47, v22, 6, v0
	s_waitcnt lgkmcnt(0)
	v_mul_lo_u32 v7, s25, v2
	v_mul_lo_u32 v3, s24, v3
	v_mad_u64_u32 v[0:1], s[24:25], s24, v2, 0
	s_mul_i32 s5, s27, s4
	s_mul_hi_u32 s24, s26, s4
	s_add_i32 s25, s24, s5
	s_mul_i32 s24, s26, s4
	v_add3_u32 v1, v1, v3, v7
	s_lshl_b64 s[24:25], s[24:25], 3
	v_lshl_add_u64 v[0:1], v[0:1], 3, s[24:25]
	v_mov_b32_e32 v7, v25
	v_mov_b32_e32 v5, v25
	v_lshl_add_u64 v[0:1], v[0:1], 0, v[6:7]
	v_lshl_add_u64 v[28:29], s[22:23], 0, v[0:1]
	;; [unrolled: 1-line block ×3, first 2 shown]
	v_mul_lo_u32 v2, s19, v0
	v_mul_lo_u32 v3, s18, v1
	v_mad_u64_u32 v[0:1], s[18:19], s18, v0, 0
	s_mul_i32 s5, s21, s4
	s_mul_hi_u32 s18, s20, s4
	s_add_i32 s19, s18, s5
	s_mul_i32 s18, s20, s4
	v_add3_u32 v1, v1, v3, v2
	s_lshl_b64 s[18:19], s[18:19], 3
	v_lshl_add_u64 v[0:1], v[0:1], 3, s[18:19]
	v_lshlrev_b32_e32 v2, 3, v24
	v_mov_b32_e32 v3, v25
	v_lshl_add_u64 v[0:1], v[0:1], 0, v[2:3]
	v_lshl_add_u64 v[0:1], s[16:17], 0, v[0:1]
	v_mov_b32_e32 v27, v25
	v_lshlrev_b32_e32 v46, 3, v12
	v_lshl_add_u64 v[30:31], v[0:1], 0, 4
	s_mov_b64 s[16:17], 0
	s_xor_b64 s[18:19], vcc, -1
	v_mov_b64_e32 v[32:33], s[12:13]
	v_mov_b32_e32 v14, v25
	v_mov_b32_e32 v15, v25
	v_mov_b32_e32 v16, v25
	v_mov_b32_e32 v17, v25
	v_mov_b32_e32 v18, v25
	v_mov_b32_e32 v19, v25
	v_mov_b32_e32 v20, v25
	v_mov_b32_e32 v21, v25
	s_branch .LBB112_3
.LBB112_2:                              ;   in Loop: Header=BB112_3 Depth=1
	s_or_b64 exec, exec, s[20:21]
	s_waitcnt vmcnt(0)
	ds_write_b64 v45, v[2:3]
	s_waitcnt lgkmcnt(0)
	s_barrier
	ds_read2_b64 v[4:7], v46 offset1:16
	ds_read_b128 v[48:51], v47
	ds_read2_b64 v[8:11], v46 offset0:32 offset1:48
	ds_read_b128 v[0:3], v47 offset:16
	ds_read_b128 v[52:55], v47 offset:1024
	s_add_u32 s16, s16, 8
	s_waitcnt lgkmcnt(3)
	v_pk_mul_f32 v[36:37], v[48:49], v[4:5] op_sel:[0,1]
	v_pk_mul_f32 v[56:57], v[48:49], v[6:7] op_sel:[0,1]
	v_pk_fma_f32 v[34:35], v[48:49], v[4:5], v[36:37] op_sel:[0,0,1] op_sel_hi:[1,1,0] neg_lo:[0,0,1] neg_hi:[0,0,1]
	v_pk_fma_f32 v[36:37], v[48:49], v[4:5], v[36:37] op_sel:[0,0,1] op_sel_hi:[1,0,0]
	s_waitcnt lgkmcnt(2)
	v_pk_mul_f32 v[40:41], v[50:51], v[8:9] op_sel:[0,1]
	v_pk_fma_f32 v[42:43], v[48:49], v[6:7], v[56:57] op_sel:[0,0,1] op_sel_hi:[1,1,0] neg_lo:[0,0,1] neg_hi:[0,0,1]
	v_pk_fma_f32 v[72:73], v[48:49], v[6:7], v[56:57] op_sel:[0,0,1] op_sel_hi:[1,0,0]
	v_pk_mul_f32 v[48:49], v[50:51], v[10:11] op_sel:[0,1]
	v_pk_fma_f32 v[38:39], v[50:51], v[8:9], v[40:41] op_sel:[0,0,1] op_sel_hi:[1,1,0] neg_lo:[0,0,1] neg_hi:[0,0,1]
	v_pk_fma_f32 v[40:41], v[50:51], v[8:9], v[40:41] op_sel:[0,0,1] op_sel_hi:[1,0,0]
	v_pk_fma_f32 v[74:75], v[50:51], v[10:11], v[48:49] op_sel:[0,0,1] op_sel_hi:[1,1,0] neg_lo:[0,0,1] neg_hi:[0,0,1]
	v_pk_fma_f32 v[76:77], v[50:51], v[10:11], v[48:49] op_sel:[0,0,1] op_sel_hi:[1,0,0]
	ds_read_b128 v[48:51], v47 offset:1040
	s_waitcnt lgkmcnt(1)
	v_pk_mul_f32 v[56:57], v[52:53], v[4:5] op_sel:[0,1]
	v_mov_b32_e32 v35, v37
	v_pk_fma_f32 v[78:79], v[52:53], v[4:5], v[56:57] op_sel:[0,0,1] op_sel_hi:[1,1,0] neg_lo:[0,0,1] neg_hi:[0,0,1]
	v_pk_fma_f32 v[80:81], v[52:53], v[4:5], v[56:57] op_sel:[0,0,1] op_sel_hi:[1,0,0]
	v_pk_mul_f32 v[4:5], v[52:53], v[6:7] op_sel:[0,1]
	ds_read2_b64 v[56:59], v46 offset0:96 offset1:112
	v_pk_fma_f32 v[82:83], v[52:53], v[6:7], v[4:5] op_sel:[0,0,1] op_sel_hi:[1,1,0] neg_lo:[0,0,1] neg_hi:[0,0,1]
	v_pk_fma_f32 v[84:85], v[52:53], v[6:7], v[4:5] op_sel:[0,0,1] op_sel_hi:[1,0,0]
	v_pk_mul_f32 v[4:5], v[54:55], v[8:9] op_sel:[0,1]
	v_pk_add_f32 v[20:21], v[20:21], v[34:35]
	v_pk_fma_f32 v[86:87], v[54:55], v[8:9], v[4:5] op_sel:[0,0,1] op_sel_hi:[1,1,0] neg_lo:[0,0,1] neg_hi:[0,0,1]
	v_pk_fma_f32 v[88:89], v[54:55], v[8:9], v[4:5] op_sel:[0,0,1] op_sel_hi:[1,0,0]
	ds_read2_b64 v[4:7], v46 offset0:64 offset1:80
	v_pk_mul_f32 v[8:9], v[54:55], v[10:11] op_sel:[0,1]
	v_mov_b32_e32 v79, v81
	v_pk_fma_f32 v[90:91], v[54:55], v[10:11], v[8:9] op_sel:[0,0,1] op_sel_hi:[1,1,0] neg_lo:[0,0,1] neg_hi:[0,0,1]
	v_pk_fma_f32 v[92:93], v[54:55], v[10:11], v[8:9] op_sel:[0,0,1] op_sel_hi:[1,0,0]
	s_waitcnt lgkmcnt(0)
	v_pk_mul_f32 v[8:9], v[0:1], v[4:5] op_sel:[0,1]
	v_pk_mul_f32 v[60:61], v[0:1], v[6:7] op_sel:[0,1]
	v_pk_fma_f32 v[94:95], v[0:1], v[4:5], v[8:9] op_sel:[0,0,1] op_sel_hi:[1,1,0] neg_lo:[0,0,1] neg_hi:[0,0,1]
	v_pk_fma_f32 v[96:97], v[0:1], v[4:5], v[8:9] op_sel:[0,0,1] op_sel_hi:[1,0,0]
	v_pk_mul_f32 v[8:9], v[2:3], v[56:57] op_sel:[0,1]
	v_pk_mul_f32 v[34:35], v[48:49], v[4:5] op_sel:[0,1]
	v_pk_fma_f32 v[98:99], v[2:3], v[56:57], v[8:9] op_sel:[0,0,1] op_sel_hi:[1,1,0] neg_lo:[0,0,1] neg_hi:[0,0,1]
	v_pk_fma_f32 v[100:101], v[2:3], v[56:57], v[8:9] op_sel:[0,0,1] op_sel_hi:[1,0,0]
	ds_read2_b64 v[8:11], v46 offset0:128 offset1:144
	ds_read_b128 v[52:55], v47 offset:32
	v_pk_fma_f32 v[102:103], v[0:1], v[6:7], v[60:61] op_sel:[0,0,1] op_sel_hi:[1,1,0] neg_lo:[0,0,1] neg_hi:[0,0,1]
	v_pk_fma_f32 v[104:105], v[0:1], v[6:7], v[60:61] op_sel:[0,0,1] op_sel_hi:[1,0,0]
	v_pk_mul_f32 v[0:1], v[2:3], v[58:59] op_sel:[0,1]
	v_pk_add_f32 v[16:17], v[16:17], v[78:79]
	v_mov_b32_e32 v87, v89
	v_pk_fma_f32 v[36:37], v[48:49], v[4:5], v[34:35] op_sel:[0,0,1] op_sel_hi:[1,1,0] neg_lo:[0,0,1] neg_hi:[0,0,1]
	v_pk_fma_f32 v[4:5], v[48:49], v[4:5], v[34:35] op_sel:[0,0,1] op_sel_hi:[1,0,0]
	v_pk_fma_f32 v[106:107], v[2:3], v[58:59], v[0:1] op_sel:[0,0,1] op_sel_hi:[1,1,0] neg_lo:[0,0,1] neg_hi:[0,0,1]
	v_pk_fma_f32 v[108:109], v[2:3], v[58:59], v[0:1] op_sel:[0,0,1] op_sel_hi:[1,0,0]
	ds_read2_b64 v[0:3], v46 offset0:160 offset1:176
	ds_read_b128 v[60:63], v47 offset:48
	v_pk_add_f32 v[16:17], v[16:17], v[86:87]
	v_mov_b32_e32 v37, v5
	v_pk_add_f32 v[4:5], v[16:17], v[36:37]
	ds_read_b128 v[34:37], v47 offset:1056
	s_waitcnt lgkmcnt(3)
	v_pk_mul_f32 v[64:65], v[52:53], v[8:9] op_sel:[0,1]
	v_mov_b32_e32 v39, v41
	v_pk_mul_f32 v[16:17], v[50:51], v[56:57] op_sel:[0,1]
	v_pk_fma_f32 v[110:111], v[52:53], v[8:9], v[64:65] op_sel:[0,0,1] op_sel_hi:[1,1,0] neg_lo:[0,0,1] neg_hi:[0,0,1]
	v_pk_fma_f32 v[112:113], v[52:53], v[8:9], v[64:65] op_sel:[0,0,1] op_sel_hi:[1,0,0]
	s_waitcnt lgkmcnt(2)
	v_pk_mul_f32 v[64:65], v[54:55], v[0:1] op_sel:[0,1]
	v_pk_add_f32 v[20:21], v[20:21], v[38:39]
	v_pk_fma_f32 v[38:39], v[50:51], v[56:57], v[16:17] op_sel:[0,0,1] op_sel_hi:[1,1,0] neg_lo:[0,0,1] neg_hi:[0,0,1]
	v_pk_fma_f32 v[16:17], v[50:51], v[56:57], v[16:17] op_sel:[0,0,1] op_sel_hi:[1,0,0]
	v_pk_fma_f32 v[114:115], v[54:55], v[0:1], v[64:65] op_sel:[0,0,1] op_sel_hi:[1,1,0] neg_lo:[0,0,1] neg_hi:[0,0,1]
	v_pk_fma_f32 v[116:117], v[54:55], v[0:1], v[64:65] op_sel:[0,0,1] op_sel_hi:[1,0,0]
	v_pk_mul_f32 v[64:65], v[52:53], v[10:11] op_sel:[0,1]
	v_mov_b32_e32 v39, v17
	v_pk_fma_f32 v[118:119], v[52:53], v[10:11], v[64:65] op_sel:[0,0,1] op_sel_hi:[1,1,0] neg_lo:[0,0,1] neg_hi:[0,0,1]
	v_pk_fma_f32 v[52:53], v[52:53], v[10:11], v[64:65] op_sel:[0,0,1] op_sel_hi:[1,0,0]
	ds_read2_b64 v[64:67], v46 offset0:192 offset1:208
	v_mov_b32_e32 v43, v73
	v_pk_add_f32 v[4:5], v[4:5], v[38:39]
	ds_read_b128 v[38:41], v47 offset:1072
	s_waitcnt lgkmcnt(2)
	v_pk_mul_f32 v[16:17], v[34:35], v[8:9] op_sel:[0,1]
	v_pk_add_f32 v[18:19], v[18:19], v[42:43]
	v_pk_fma_f32 v[42:43], v[34:35], v[8:9], v[16:17] op_sel:[0,0,1] op_sel_hi:[1,1,0] neg_lo:[0,0,1] neg_hi:[0,0,1]
	v_pk_fma_f32 v[8:9], v[34:35], v[8:9], v[16:17] op_sel:[0,0,1] op_sel_hi:[1,0,0]
	ds_read2_b64 v[68:71], v46 offset0:224 offset1:240
	v_mov_b32_e32 v43, v9
	v_pk_mul_f32 v[8:9], v[36:37], v[0:1] op_sel:[0,1]
	v_pk_add_f32 v[4:5], v[4:5], v[42:43]
	v_pk_fma_f32 v[16:17], v[36:37], v[0:1], v[8:9] op_sel:[0,0,1] op_sel_hi:[1,1,0] neg_lo:[0,0,1] neg_hi:[0,0,1]
	v_pk_fma_f32 v[0:1], v[36:37], v[0:1], v[8:9] op_sel:[0,0,1] op_sel_hi:[1,0,0]
	v_mov_b32_e32 v83, v85
	v_mov_b32_e32 v17, v1
	v_pk_add_f32 v[0:1], v[4:5], v[16:17]
	s_waitcnt lgkmcnt(1)
	v_pk_mul_f32 v[4:5], v[38:39], v[64:65] op_sel:[0,1]
	v_mov_b32_e32 v91, v93
	v_pk_fma_f32 v[8:9], v[38:39], v[64:65], v[4:5] op_sel:[0,0,1] op_sel_hi:[1,1,0] neg_lo:[0,0,1] neg_hi:[0,0,1]
	v_pk_fma_f32 v[4:5], v[38:39], v[64:65], v[4:5] op_sel:[0,0,1] op_sel_hi:[1,0,0]
	v_pk_mul_f32 v[120:121], v[54:55], v[2:3] op_sel:[0,1]
	v_mov_b32_e32 v9, v5
	s_waitcnt lgkmcnt(0)
	v_pk_mul_f32 v[4:5], v[40:41], v[68:69] op_sel:[0,1]
	v_pk_add_f32 v[0:1], v[0:1], v[8:9]
	v_pk_fma_f32 v[8:9], v[40:41], v[68:69], v[4:5] op_sel:[0,0,1] op_sel_hi:[1,1,0] neg_lo:[0,0,1] neg_hi:[0,0,1]
	v_pk_fma_f32 v[4:5], v[40:41], v[68:69], v[4:5] op_sel:[0,0,1] op_sel_hi:[1,0,0]
	v_mov_b32_e32 v75, v77
	v_mov_b32_e32 v9, v5
	v_pk_mul_f32 v[4:5], v[48:49], v[6:7] op_sel:[0,1]
	v_pk_add_f32 v[16:17], v[0:1], v[8:9]
	v_pk_fma_f32 v[8:9], v[48:49], v[6:7], v[4:5] op_sel:[0,0,1] op_sel_hi:[1,1,0] neg_lo:[0,0,1] neg_hi:[0,0,1]
	v_pk_fma_f32 v[4:5], v[48:49], v[6:7], v[4:5] op_sel:[0,0,1] op_sel_hi:[1,0,0]
	v_pk_add_f32 v[0:1], v[14:15], v[82:83]
	v_mov_b32_e32 v9, v5
	v_pk_mul_f32 v[4:5], v[50:51], v[58:59] op_sel:[0,1]
	v_pk_add_f32 v[0:1], v[0:1], v[90:91]
	v_pk_fma_f32 v[6:7], v[50:51], v[58:59], v[4:5] op_sel:[0,0,1] op_sel_hi:[1,1,0] neg_lo:[0,0,1] neg_hi:[0,0,1]
	v_pk_fma_f32 v[4:5], v[50:51], v[58:59], v[4:5] op_sel:[0,0,1] op_sel_hi:[1,0,0]
	v_pk_add_f32 v[0:1], v[0:1], v[8:9]
	v_mov_b32_e32 v7, v5
	v_pk_mul_f32 v[4:5], v[34:35], v[10:11] op_sel:[0,1]
	v_pk_add_f32 v[0:1], v[0:1], v[6:7]
	v_pk_fma_f32 v[6:7], v[34:35], v[10:11], v[4:5] op_sel:[0,0,1] op_sel_hi:[1,1,0] neg_lo:[0,0,1] neg_hi:[0,0,1]
	v_pk_fma_f32 v[4:5], v[34:35], v[10:11], v[4:5] op_sel:[0,0,1] op_sel_hi:[1,0,0]
	v_pk_fma_f32 v[122:123], v[54:55], v[2:3], v[120:121] op_sel:[0,0,1] op_sel_hi:[1,1,0] neg_lo:[0,0,1] neg_hi:[0,0,1]
	v_mov_b32_e32 v7, v5
	v_pk_mul_f32 v[4:5], v[36:37], v[2:3] op_sel:[0,1]
	v_pk_fma_f32 v[54:55], v[54:55], v[2:3], v[120:121] op_sel:[0,0,1] op_sel_hi:[1,0,0]
	v_mov_b32_e32 v95, v97
	v_pk_add_f32 v[18:19], v[18:19], v[74:75]
	v_mov_b32_e32 v103, v105
	v_pk_add_f32 v[0:1], v[0:1], v[6:7]
	v_pk_fma_f32 v[6:7], v[36:37], v[2:3], v[4:5] op_sel:[0,0,1] op_sel_hi:[1,1,0] neg_lo:[0,0,1] neg_hi:[0,0,1]
	v_pk_fma_f32 v[2:3], v[36:37], v[2:3], v[4:5] op_sel:[0,0,1] op_sel_hi:[1,0,0]
	v_pk_add_f32 v[20:21], v[20:21], v[94:95]
	v_mov_b32_e32 v99, v101
	v_pk_add_f32 v[18:19], v[18:19], v[102:103]
	v_mov_b32_e32 v107, v109
	v_mov_b32_e32 v7, v3
	v_pk_mul_f32 v[2:3], v[38:39], v[66:67] op_sel:[0,1]
	v_pk_mul_f32 v[120:121], v[60:61], v[64:65] op_sel:[0,1]
	;; [unrolled: 1-line block ×3, first 2 shown]
	v_pk_add_f32 v[20:21], v[20:21], v[98:99]
	v_mov_b32_e32 v111, v113
	v_pk_add_f32 v[18:19], v[18:19], v[106:107]
	v_mov_b32_e32 v119, v53
	v_pk_fma_f32 v[4:5], v[38:39], v[66:67], v[2:3] op_sel:[0,0,1] op_sel_hi:[1,1,0] neg_lo:[0,0,1] neg_hi:[0,0,1]
	v_pk_fma_f32 v[2:3], v[38:39], v[66:67], v[2:3] op_sel:[0,0,1] op_sel_hi:[1,0,0]
	v_pk_fma_f32 v[124:125], v[60:61], v[64:65], v[120:121] op_sel:[0,0,1] op_sel_hi:[1,1,0] neg_lo:[0,0,1] neg_hi:[0,0,1]
	v_pk_fma_f32 v[120:121], v[60:61], v[64:65], v[120:121] op_sel:[0,0,1] op_sel_hi:[1,0,0]
	v_pk_mul_f32 v[126:127], v[62:63], v[68:69] op_sel:[0,1]
	v_pk_fma_f32 v[132:133], v[60:61], v[66:67], v[130:131] op_sel:[0,0,1] op_sel_hi:[1,1,0] neg_lo:[0,0,1] neg_hi:[0,0,1]
	v_pk_fma_f32 v[60:61], v[60:61], v[66:67], v[130:131] op_sel:[0,0,1] op_sel_hi:[1,0,0]
	v_pk_mul_f32 v[130:131], v[62:63], v[70:71] op_sel:[0,1]
	v_pk_add_f32 v[20:21], v[20:21], v[110:111]
	v_mov_b32_e32 v115, v117
	v_pk_add_f32 v[18:19], v[18:19], v[118:119]
	v_mov_b32_e32 v123, v55
	;; [unrolled: 2-line block ×3, first 2 shown]
	v_pk_mul_f32 v[2:3], v[40:41], v[70:71] op_sel:[0,1]
	v_pk_fma_f32 v[128:129], v[62:63], v[68:69], v[126:127] op_sel:[0,0,1] op_sel_hi:[1,1,0] neg_lo:[0,0,1] neg_hi:[0,0,1]
	v_pk_fma_f32 v[126:127], v[62:63], v[68:69], v[126:127] op_sel:[0,0,1] op_sel_hi:[1,0,0]
	v_pk_fma_f32 v[134:135], v[62:63], v[70:71], v[130:131] op_sel:[0,0,1] op_sel_hi:[1,1,0] neg_lo:[0,0,1] neg_hi:[0,0,1]
	v_pk_fma_f32 v[62:63], v[62:63], v[70:71], v[130:131] op_sel:[0,0,1] op_sel_hi:[1,0,0]
	v_pk_add_f32 v[20:21], v[20:21], v[114:115]
	v_mov_b32_e32 v125, v121
	v_pk_add_f32 v[18:19], v[18:19], v[122:123]
	v_mov_b32_e32 v133, v61
	v_pk_add_f32 v[0:1], v[0:1], v[4:5]
	v_pk_fma_f32 v[4:5], v[40:41], v[70:71], v[2:3] op_sel:[0,0,1] op_sel_hi:[1,1,0] neg_lo:[0,0,1] neg_hi:[0,0,1]
	v_pk_fma_f32 v[2:3], v[40:41], v[70:71], v[2:3] op_sel:[0,0,1] op_sel_hi:[1,0,0]
	s_addc_u32 s17, s17, 0
	v_pk_add_f32 v[20:21], v[20:21], v[124:125]
	v_mov_b32_e32 v129, v127
	v_pk_add_f32 v[18:19], v[18:19], v[132:133]
	v_mov_b32_e32 v135, v63
	v_mov_b32_e32 v5, v3
	v_cmp_lt_i64_e32 vcc, s[16:17], v[32:33]
	v_pk_add_f32 v[20:21], v[20:21], v[128:129]
	v_pk_add_f32 v[18:19], v[18:19], v[134:135]
	;; [unrolled: 1-line block ×3, first 2 shown]
	v_lshl_add_u64 v[28:29], v[28:29], 0, 64
	v_lshl_add_u64 v[30:31], v[30:31], 0, 64
	s_barrier
	s_cbranch_vccz .LBB112_9
.LBB112_3:                              ; =>This Inner Loop Header: Depth=1
	v_lshl_add_u64 v[0:1], v[24:25], 0, s[16:17]
	v_cmp_le_i64_e32 vcc, s[12:13], v[0:1]
	s_or_b64 s[20:21], s[18:19], vcc
	s_and_saveexec_b64 s[22:23], s[20:21]
	s_xor_b64 s[20:21], exec, s[22:23]
; %bb.4:                                ;   in Loop: Header=BB112_3 Depth=1
	ds_write_b32 v44, v25
; %bb.5:                                ;   in Loop: Header=BB112_3 Depth=1
	s_or_saveexec_b64 s[20:21], s[20:21]
	v_mov_b32_e32 v2, 0
	v_mov_b32_e32 v0, 0
	s_xor_b64 exec, exec, s[20:21]
	s_cbranch_execz .LBB112_7
; %bb.6:                                ;   in Loop: Header=BB112_3 Depth=1
	global_load_dwordx2 v[4:5], v[30:31], off offset:-4
	s_waitcnt vmcnt(0)
	v_xor_b32_e32 v0, 0x80000000, v5
	ds_write_b32 v44, v4
.LBB112_7:                              ;   in Loop: Header=BB112_3 Depth=1
	s_or_b64 exec, exec, s[20:21]
	ds_write_b32 v44, v0 offset:4
	v_lshl_add_u64 v[0:1], v[26:27], 0, s[16:17]
	v_cmp_gt_i64_e32 vcc, s[12:13], v[0:1]
	s_and_b64 s[22:23], vcc, s[2:3]
	v_mov_b32_e32 v3, 0
	s_and_saveexec_b64 s[20:21], s[22:23]
	s_cbranch_execz .LBB112_2
; %bb.8:                                ;   in Loop: Header=BB112_3 Depth=1
	global_load_dwordx2 v[2:3], v[28:29], off
	s_branch .LBB112_2
.LBB112_9:
	s_load_dwordx4 s[24:27], s[0:1], 0x78
	s_load_dwordx8 s[16:23], s[0:1], 0x58
	v_lshl_add_u64 v[0:1], s[6:7], 0, v[22:23]
	s_waitcnt lgkmcnt(0)
	s_mul_i32 s1, s27, s4
	s_mul_hi_u32 s2, s26, s4
	s_mul_i32 s0, s26, s4
	s_add_i32 s1, s2, s1
	s_lshl_b64 s[0:1], s[0:1], 3
	s_add_u32 s12, s22, s0
	s_addc_u32 s13, s23, s1
	s_or_b32 s0, s28, s29
	s_bitset0_b32 s0, 31
	s_cmp_lg_u32 s0, 0
	v_cmp_gt_i64_e64 s[0:1], s[10:11], v[0:1]
	s_mov_b64 s[2:3], -1
	s_cbranch_scc1 .LBB112_21
; %bb.10:
	s_and_saveexec_b64 s[22:23], s[0:1]
	s_cbranch_execz .LBB112_20
; %bb.11:
	v_mul_lo_u32 v6, v1, s24
	v_mul_lo_u32 v7, v0, s25
	v_mad_u64_u32 v[4:5], s[2:3], v0, s24, 0
	v_add3_u32 v5, v5, v7, v6
	v_lshl_add_u64 v[2:3], s[30:31], 0, v[12:13]
	v_lshl_add_u64 v[4:5], v[4:5], 3, s[12:13]
	v_cmp_gt_i64_e32 vcc, s[8:9], v[2:3]
	s_mov_b32 s26, s14
	s_mov_b32 s27, s14
	;; [unrolled: 1-line block ×4, first 2 shown]
	v_lshl_add_u64 v[6:7], v[2:3], 3, v[4:5]
	s_and_saveexec_b64 s[2:3], vcc
	s_cbranch_execz .LBB112_13
; %bb.12:
	v_pk_mul_f32 v[8:9], v[20:21], s[34:35]
	s_nop 0
	v_pk_fma_f32 v[10:11], v[20:21], s[26:27], v[8:9] op_sel:[0,0,1] op_sel_hi:[1,1,0] neg_lo:[0,0,1] neg_hi:[0,0,1]
	v_pk_fma_f32 v[8:9], v[20:21], s[26:27], v[8:9] op_sel:[0,0,1] op_sel_hi:[1,1,0]
	s_nop 0
	v_mov_b32_e32 v11, v9
	global_store_dwordx2 v[6:7], v[10:11], off
.LBB112_13:
	s_or_b64 exec, exec, s[2:3]
	v_lshl_add_u64 v[8:9], v[2:3], 0, 16
	v_cmp_gt_i64_e64 s[2:3], s[8:9], v[8:9]
	s_and_saveexec_b64 s[6:7], s[2:3]
	s_cbranch_execz .LBB112_15
; %bb.14:
	v_pk_mul_f32 v[8:9], v[18:19], s[34:35]
	s_nop 0
	v_pk_fma_f32 v[10:11], v[18:19], s[26:27], v[8:9] op_sel:[0,0,1] op_sel_hi:[1,1,0] neg_lo:[0,0,1] neg_hi:[0,0,1]
	v_pk_fma_f32 v[8:9], v[18:19], s[26:27], v[8:9] op_sel:[0,0,1] op_sel_hi:[1,1,0]
	s_nop 0
	v_mov_b32_e32 v11, v9
	global_store_dwordx2 v[6:7], v[10:11], off offset:128
.LBB112_15:
	s_or_b64 exec, exec, s[6:7]
	v_lshl_add_u64 v[6:7], v[0:1], 0, 16
	v_cmp_gt_i64_e64 s[6:7], s[10:11], v[6:7]
	s_and_b64 exec, exec, s[6:7]
	s_cbranch_execz .LBB112_20
; %bb.16:
	s_lshl_b64 s[6:7], s[24:25], 7
	v_lshl_add_u64 v[4:5], v[4:5], 0, s[6:7]
	v_lshl_add_u64 v[2:3], v[2:3], 3, v[4:5]
	s_and_saveexec_b64 s[6:7], vcc
	s_cbranch_execz .LBB112_18
; %bb.17:
	v_pk_mul_f32 v[4:5], v[16:17], s[34:35]
	s_nop 0
	v_pk_fma_f32 v[6:7], v[16:17], s[26:27], v[4:5] op_sel:[0,0,1] op_sel_hi:[1,1,0] neg_lo:[0,0,1] neg_hi:[0,0,1]
	v_pk_fma_f32 v[4:5], v[16:17], s[26:27], v[4:5] op_sel:[0,0,1] op_sel_hi:[1,1,0]
	s_nop 0
	v_mov_b32_e32 v7, v5
	global_store_dwordx2 v[2:3], v[6:7], off
.LBB112_18:
	s_or_b64 exec, exec, s[6:7]
	s_and_b64 exec, exec, s[2:3]
	s_cbranch_execz .LBB112_20
; %bb.19:
	v_pk_mul_f32 v[4:5], v[14:15], s[34:35]
	s_nop 0
	v_pk_fma_f32 v[6:7], v[14:15], s[26:27], v[4:5] op_sel:[0,0,1] op_sel_hi:[1,1,0] neg_lo:[0,0,1] neg_hi:[0,0,1]
	v_pk_fma_f32 v[4:5], v[14:15], s[26:27], v[4:5] op_sel:[0,0,1] op_sel_hi:[1,1,0]
	s_nop 0
	v_mov_b32_e32 v7, v5
	global_store_dwordx2 v[2:3], v[6:7], off offset:128
.LBB112_20:
	s_or_b64 exec, exec, s[22:23]
	s_mov_b64 s[2:3], 0
.LBB112_21:
	s_andn2_b64 vcc, exec, s[2:3]
	s_cbranch_vccnz .LBB112_32
; %bb.22:
	s_and_saveexec_b64 s[2:3], s[0:1]
	s_cbranch_execz .LBB112_32
; %bb.23:
	s_mul_i32 s0, s21, s4
	s_mul_hi_u32 s1, s20, s4
	s_add_i32 s1, s1, s0
	s_mul_i32 s0, s20, s4
	s_lshl_b64 s[0:1], s[0:1], 3
	v_mul_lo_u32 v4, v1, s18
	v_mul_lo_u32 v5, v0, s19
	v_mad_u64_u32 v[2:3], s[2:3], v0, s18, 0
	s_add_u32 s0, s16, s0
	v_add3_u32 v3, v3, v5, v4
	v_mul_lo_u32 v6, v1, s24
	v_mul_lo_u32 v7, v0, s25
	v_mad_u64_u32 v[4:5], s[2:3], v0, s24, 0
	s_addc_u32 s1, s17, s1
	v_lshl_add_u64 v[8:9], s[30:31], 0, v[12:13]
	v_add3_u32 v5, v5, v7, v6
	v_cmp_gt_i64_e32 vcc, s[8:9], v[8:9]
	s_mov_b32 s4, s14
	s_mov_b32 s5, s14
	;; [unrolled: 1-line block ×6, first 2 shown]
	v_lshl_add_u64 v[6:7], v[2:3], 3, s[0:1]
	v_lshl_add_u64 v[4:5], v[4:5], 3, s[12:13]
	v_lshlrev_b64 v[2:3], 3, v[8:9]
	s_and_saveexec_b64 s[0:1], vcc
	s_cbranch_execz .LBB112_25
; %bb.24:
	v_lshl_add_u64 v[10:11], v[6:7], 0, v[2:3]
	global_load_dwordx2 v[10:11], v[10:11], off
	v_pk_mul_f32 v[22:23], v[20:21], s[14:15]
	v_lshl_add_u64 v[12:13], v[4:5], 0, v[2:3]
	v_pk_fma_f32 v[24:25], v[20:21], s[4:5], v[22:23] op_sel:[0,0,1] op_sel_hi:[1,1,0] neg_lo:[0,0,1] neg_hi:[0,0,1]
	v_pk_fma_f32 v[20:21], v[20:21], s[4:5], v[22:23] op_sel:[0,0,1] op_sel_hi:[1,1,0]
	s_nop 0
	v_mov_b32_e32 v25, v21
	s_waitcnt vmcnt(0)
	v_pk_mul_f32 v[20:21], v[10:11], s[28:29]
	s_nop 0
	v_pk_fma_f32 v[22:23], v[10:11], s[6:7], v[20:21] op_sel:[0,0,1] op_sel_hi:[1,1,0] neg_lo:[0,0,1] neg_hi:[0,0,1]
	v_pk_fma_f32 v[10:11], v[10:11], s[6:7], v[20:21] op_sel:[0,0,1] op_sel_hi:[1,1,0]
	s_nop 0
	v_mov_b32_e32 v23, v11
	v_pk_add_f32 v[10:11], v[24:25], v[22:23]
	global_store_dwordx2 v[12:13], v[10:11], off
.LBB112_25:
	s_or_b64 exec, exec, s[0:1]
	v_lshl_add_u64 v[8:9], v[8:9], 0, 16
	v_cmp_gt_i64_e64 s[0:1], s[8:9], v[8:9]
	s_and_saveexec_b64 s[2:3], s[0:1]
	s_cbranch_execz .LBB112_27
; %bb.26:
	v_lshl_add_u64 v[8:9], v[6:7], 0, v[2:3]
	global_load_dwordx2 v[8:9], v[8:9], off offset:128
	v_pk_mul_f32 v[12:13], v[18:19], s[14:15]
	v_lshl_add_u64 v[10:11], v[4:5], 0, v[2:3]
	v_pk_fma_f32 v[20:21], v[18:19], s[4:5], v[12:13] op_sel:[0,0,1] op_sel_hi:[1,1,0] neg_lo:[0,0,1] neg_hi:[0,0,1]
	v_pk_fma_f32 v[12:13], v[18:19], s[4:5], v[12:13] op_sel:[0,0,1] op_sel_hi:[1,1,0]
	s_nop 0
	v_mov_b32_e32 v21, v13
	s_waitcnt vmcnt(0)
	v_pk_mul_f32 v[12:13], v[8:9], s[28:29]
	s_nop 0
	v_pk_fma_f32 v[18:19], v[8:9], s[6:7], v[12:13] op_sel:[0,0,1] op_sel_hi:[1,1,0] neg_lo:[0,0,1] neg_hi:[0,0,1]
	v_pk_fma_f32 v[8:9], v[8:9], s[6:7], v[12:13] op_sel:[0,0,1] op_sel_hi:[1,1,0]
	s_nop 0
	v_mov_b32_e32 v19, v9
	v_pk_add_f32 v[8:9], v[20:21], v[18:19]
	global_store_dwordx2 v[10:11], v[8:9], off offset:128
.LBB112_27:
	s_or_b64 exec, exec, s[2:3]
	v_lshl_add_u64 v[0:1], v[0:1], 0, 16
	v_cmp_gt_i64_e64 s[2:3], s[10:11], v[0:1]
	s_and_b64 exec, exec, s[2:3]
	s_cbranch_execz .LBB112_32
; %bb.28:
	s_lshl_b64 s[2:3], s[18:19], 7
	v_lshl_add_u64 v[0:1], v[6:7], 0, s[2:3]
	s_lshl_b64 s[2:3], s[24:25], 7
	v_lshl_add_u64 v[6:7], v[4:5], 0, s[2:3]
	v_lshl_add_u64 v[4:5], v[0:1], 0, v[2:3]
	;; [unrolled: 1-line block ×3, first 2 shown]
	s_and_saveexec_b64 s[2:3], vcc
	s_cbranch_execz .LBB112_30
; %bb.29:
	global_load_dwordx2 v[2:3], v[4:5], off
	v_pk_mul_f32 v[6:7], v[16:17], s[14:15]
	s_nop 0
	v_pk_fma_f32 v[8:9], v[16:17], s[4:5], v[6:7] op_sel:[0,0,1] op_sel_hi:[1,1,0] neg_lo:[0,0,1] neg_hi:[0,0,1]
	v_pk_fma_f32 v[6:7], v[16:17], s[4:5], v[6:7] op_sel:[0,0,1] op_sel_hi:[1,1,0]
	s_nop 0
	v_mov_b32_e32 v9, v7
	s_waitcnt vmcnt(0)
	v_pk_mul_f32 v[6:7], v[2:3], s[28:29]
	s_nop 0
	v_pk_fma_f32 v[10:11], v[2:3], s[6:7], v[6:7] op_sel:[0,0,1] op_sel_hi:[1,1,0] neg_lo:[0,0,1] neg_hi:[0,0,1]
	v_pk_fma_f32 v[2:3], v[2:3], s[6:7], v[6:7] op_sel:[0,0,1] op_sel_hi:[1,1,0]
	s_nop 0
	v_mov_b32_e32 v11, v3
	v_pk_add_f32 v[2:3], v[8:9], v[10:11]
	global_store_dwordx2 v[0:1], v[2:3], off
.LBB112_30:
	s_or_b64 exec, exec, s[2:3]
	s_and_b64 exec, exec, s[0:1]
	s_cbranch_execz .LBB112_32
; %bb.31:
	global_load_dwordx2 v[2:3], v[4:5], off offset:128
	v_pk_mul_f32 v[4:5], v[14:15], s[14:15]
	s_nop 0
	v_pk_fma_f32 v[6:7], v[14:15], s[4:5], v[4:5] op_sel:[0,0,1] op_sel_hi:[1,1,0] neg_lo:[0,0,1] neg_hi:[0,0,1]
	v_pk_fma_f32 v[4:5], v[14:15], s[4:5], v[4:5] op_sel:[0,0,1] op_sel_hi:[1,1,0]
	s_nop 0
	v_mov_b32_e32 v7, v5
	s_waitcnt vmcnt(0)
	v_pk_mul_f32 v[4:5], v[2:3], s[28:29]
	s_nop 0
	v_pk_fma_f32 v[8:9], v[2:3], s[6:7], v[4:5] op_sel:[0,0,1] op_sel_hi:[1,1,0] neg_lo:[0,0,1] neg_hi:[0,0,1]
	v_pk_fma_f32 v[2:3], v[2:3], s[6:7], v[4:5] op_sel:[0,0,1] op_sel_hi:[1,1,0]
	s_nop 0
	v_mov_b32_e32 v9, v3
	v_pk_add_f32 v[2:3], v[6:7], v[8:9]
	global_store_dwordx2 v[0:1], v[2:3], off offset:128
.LBB112_32:
	s_endpgm
	.section	.rodata,"a",@progbits
	.p2align	6, 0x0
	.amdhsa_kernel _ZN12_GLOBAL__N_135rocblas_gemm_batched_general_kernelI19rocblas_complex_numIfELi16ELi16ELi32ELi32ELi8ELi32ELi8ELi8ELi32ELc67ELc78EKS2_S3_S2_EEvlllT_PT11_llS6_llS4_PT12_llPT13_lli
		.amdhsa_group_segment_fixed_size 4096
		.amdhsa_private_segment_fixed_size 0
		.amdhsa_kernarg_size 140
		.amdhsa_user_sgpr_count 2
		.amdhsa_user_sgpr_dispatch_ptr 0
		.amdhsa_user_sgpr_queue_ptr 0
		.amdhsa_user_sgpr_kernarg_segment_ptr 1
		.amdhsa_user_sgpr_dispatch_id 0
		.amdhsa_user_sgpr_kernarg_preload_length 0
		.amdhsa_user_sgpr_kernarg_preload_offset 0
		.amdhsa_user_sgpr_private_segment_size 0
		.amdhsa_uses_dynamic_stack 0
		.amdhsa_enable_private_segment 0
		.amdhsa_system_sgpr_workgroup_id_x 1
		.amdhsa_system_sgpr_workgroup_id_y 1
		.amdhsa_system_sgpr_workgroup_id_z 1
		.amdhsa_system_sgpr_workgroup_info 0
		.amdhsa_system_vgpr_workitem_id 1
		.amdhsa_next_free_vgpr 136
		.amdhsa_next_free_sgpr 36
		.amdhsa_accum_offset 136
		.amdhsa_reserve_vcc 1
		.amdhsa_float_round_mode_32 0
		.amdhsa_float_round_mode_16_64 0
		.amdhsa_float_denorm_mode_32 3
		.amdhsa_float_denorm_mode_16_64 3
		.amdhsa_dx10_clamp 1
		.amdhsa_ieee_mode 1
		.amdhsa_fp16_overflow 0
		.amdhsa_tg_split 0
		.amdhsa_exception_fp_ieee_invalid_op 0
		.amdhsa_exception_fp_denorm_src 0
		.amdhsa_exception_fp_ieee_div_zero 0
		.amdhsa_exception_fp_ieee_overflow 0
		.amdhsa_exception_fp_ieee_underflow 0
		.amdhsa_exception_fp_ieee_inexact 0
		.amdhsa_exception_int_div_zero 0
	.end_amdhsa_kernel
	.section	.text._ZN12_GLOBAL__N_135rocblas_gemm_batched_general_kernelI19rocblas_complex_numIfELi16ELi16ELi32ELi32ELi8ELi32ELi8ELi8ELi32ELc67ELc78EKS2_S3_S2_EEvlllT_PT11_llS6_llS4_PT12_llPT13_lli,"axG",@progbits,_ZN12_GLOBAL__N_135rocblas_gemm_batched_general_kernelI19rocblas_complex_numIfELi16ELi16ELi32ELi32ELi8ELi32ELi8ELi8ELi32ELc67ELc78EKS2_S3_S2_EEvlllT_PT11_llS6_llS4_PT12_llPT13_lli,comdat
.Lfunc_end112:
	.size	_ZN12_GLOBAL__N_135rocblas_gemm_batched_general_kernelI19rocblas_complex_numIfELi16ELi16ELi32ELi32ELi8ELi32ELi8ELi8ELi32ELc67ELc78EKS2_S3_S2_EEvlllT_PT11_llS6_llS4_PT12_llPT13_lli, .Lfunc_end112-_ZN12_GLOBAL__N_135rocblas_gemm_batched_general_kernelI19rocblas_complex_numIfELi16ELi16ELi32ELi32ELi8ELi32ELi8ELi8ELi32ELc67ELc78EKS2_S3_S2_EEvlllT_PT11_llS6_llS4_PT12_llPT13_lli
                                        ; -- End function
	.set _ZN12_GLOBAL__N_135rocblas_gemm_batched_general_kernelI19rocblas_complex_numIfELi16ELi16ELi32ELi32ELi8ELi32ELi8ELi8ELi32ELc67ELc78EKS2_S3_S2_EEvlllT_PT11_llS6_llS4_PT12_llPT13_lli.num_vgpr, 136
	.set _ZN12_GLOBAL__N_135rocblas_gemm_batched_general_kernelI19rocblas_complex_numIfELi16ELi16ELi32ELi32ELi8ELi32ELi8ELi8ELi32ELc67ELc78EKS2_S3_S2_EEvlllT_PT11_llS6_llS4_PT12_llPT13_lli.num_agpr, 0
	.set _ZN12_GLOBAL__N_135rocblas_gemm_batched_general_kernelI19rocblas_complex_numIfELi16ELi16ELi32ELi32ELi8ELi32ELi8ELi8ELi32ELc67ELc78EKS2_S3_S2_EEvlllT_PT11_llS6_llS4_PT12_llPT13_lli.numbered_sgpr, 36
	.set _ZN12_GLOBAL__N_135rocblas_gemm_batched_general_kernelI19rocblas_complex_numIfELi16ELi16ELi32ELi32ELi8ELi32ELi8ELi8ELi32ELc67ELc78EKS2_S3_S2_EEvlllT_PT11_llS6_llS4_PT12_llPT13_lli.num_named_barrier, 0
	.set _ZN12_GLOBAL__N_135rocblas_gemm_batched_general_kernelI19rocblas_complex_numIfELi16ELi16ELi32ELi32ELi8ELi32ELi8ELi8ELi32ELc67ELc78EKS2_S3_S2_EEvlllT_PT11_llS6_llS4_PT12_llPT13_lli.private_seg_size, 0
	.set _ZN12_GLOBAL__N_135rocblas_gemm_batched_general_kernelI19rocblas_complex_numIfELi16ELi16ELi32ELi32ELi8ELi32ELi8ELi8ELi32ELc67ELc78EKS2_S3_S2_EEvlllT_PT11_llS6_llS4_PT12_llPT13_lli.uses_vcc, 1
	.set _ZN12_GLOBAL__N_135rocblas_gemm_batched_general_kernelI19rocblas_complex_numIfELi16ELi16ELi32ELi32ELi8ELi32ELi8ELi8ELi32ELc67ELc78EKS2_S3_S2_EEvlllT_PT11_llS6_llS4_PT12_llPT13_lli.uses_flat_scratch, 0
	.set _ZN12_GLOBAL__N_135rocblas_gemm_batched_general_kernelI19rocblas_complex_numIfELi16ELi16ELi32ELi32ELi8ELi32ELi8ELi8ELi32ELc67ELc78EKS2_S3_S2_EEvlllT_PT11_llS6_llS4_PT12_llPT13_lli.has_dyn_sized_stack, 0
	.set _ZN12_GLOBAL__N_135rocblas_gemm_batched_general_kernelI19rocblas_complex_numIfELi16ELi16ELi32ELi32ELi8ELi32ELi8ELi8ELi32ELc67ELc78EKS2_S3_S2_EEvlllT_PT11_llS6_llS4_PT12_llPT13_lli.has_recursion, 0
	.set _ZN12_GLOBAL__N_135rocblas_gemm_batched_general_kernelI19rocblas_complex_numIfELi16ELi16ELi32ELi32ELi8ELi32ELi8ELi8ELi32ELc67ELc78EKS2_S3_S2_EEvlllT_PT11_llS6_llS4_PT12_llPT13_lli.has_indirect_call, 0
	.section	.AMDGPU.csdata,"",@progbits
; Kernel info:
; codeLenInByte = 3156
; TotalNumSgprs: 42
; NumVgprs: 136
; NumAgprs: 0
; TotalNumVgprs: 136
; ScratchSize: 0
; MemoryBound: 0
; FloatMode: 240
; IeeeMode: 1
; LDSByteSize: 4096 bytes/workgroup (compile time only)
; SGPRBlocks: 5
; VGPRBlocks: 16
; NumSGPRsForWavesPerEU: 42
; NumVGPRsForWavesPerEU: 136
; AccumOffset: 136
; Occupancy: 3
; WaveLimiterHint : 1
; COMPUTE_PGM_RSRC2:SCRATCH_EN: 0
; COMPUTE_PGM_RSRC2:USER_SGPR: 2
; COMPUTE_PGM_RSRC2:TRAP_HANDLER: 0
; COMPUTE_PGM_RSRC2:TGID_X_EN: 1
; COMPUTE_PGM_RSRC2:TGID_Y_EN: 1
; COMPUTE_PGM_RSRC2:TGID_Z_EN: 1
; COMPUTE_PGM_RSRC2:TIDIG_COMP_CNT: 1
; COMPUTE_PGM_RSRC3_GFX90A:ACCUM_OFFSET: 33
; COMPUTE_PGM_RSRC3_GFX90A:TG_SPLIT: 0
	.section	.text._ZN12_GLOBAL__N_135rocblas_gemm_batched_general_kernelI19rocblas_complex_numIfELi16ELi16ELi32ELi32ELi8ELi32ELi8ELi8ELi32ELc67ELc84EKS2_S3_S2_EEvlllT_PT11_llS6_llS4_PT12_llPT13_lli,"axG",@progbits,_ZN12_GLOBAL__N_135rocblas_gemm_batched_general_kernelI19rocblas_complex_numIfELi16ELi16ELi32ELi32ELi8ELi32ELi8ELi8ELi32ELc67ELc84EKS2_S3_S2_EEvlllT_PT11_llS6_llS4_PT12_llPT13_lli,comdat
	.globl	_ZN12_GLOBAL__N_135rocblas_gemm_batched_general_kernelI19rocblas_complex_numIfELi16ELi16ELi32ELi32ELi8ELi32ELi8ELi8ELi32ELc67ELc84EKS2_S3_S2_EEvlllT_PT11_llS6_llS4_PT12_llPT13_lli ; -- Begin function _ZN12_GLOBAL__N_135rocblas_gemm_batched_general_kernelI19rocblas_complex_numIfELi16ELi16ELi32ELi32ELi8ELi32ELi8ELi8ELi32ELc67ELc84EKS2_S3_S2_EEvlllT_PT11_llS6_llS4_PT12_llPT13_lli
	.p2align	8
	.type	_ZN12_GLOBAL__N_135rocblas_gemm_batched_general_kernelI19rocblas_complex_numIfELi16ELi16ELi32ELi32ELi8ELi32ELi8ELi8ELi32ELc67ELc84EKS2_S3_S2_EEvlllT_PT11_llS6_llS4_PT12_llPT13_lli,@function
_ZN12_GLOBAL__N_135rocblas_gemm_batched_general_kernelI19rocblas_complex_numIfELi16ELi16ELi32ELi32ELi8ELi32ELi8ELi8ELi32ELc67ELc84EKS2_S3_S2_EEvlllT_PT11_llS6_llS4_PT12_llPT13_lli: ; @_ZN12_GLOBAL__N_135rocblas_gemm_batched_general_kernelI19rocblas_complex_numIfELi16ELi16ELi32ELi32ELi8ELi32ELi8ELi8ELi32ELc67ELc84EKS2_S3_S2_EEvlllT_PT11_llS6_llS4_PT12_llPT13_lli
; %bb.0:
	s_load_dwordx16 s[8:23], s[0:1], 0x0
	s_load_dwordx2 s[28:29], s[0:1], 0x50
	s_mov_b32 s34, s3
	s_ashr_i32 s3, s2, 31
	v_mov_b32_e32 v23, 0
	s_lshl_b64 s[30:31], s[2:3], 5
	s_ashr_i32 s35, s34, 31
	s_waitcnt lgkmcnt(0)
	v_cmp_lt_i64_e64 s[2:3], s[12:13], 1
	v_and_b32_e32 v12, 0x3ff, v0
	v_bfe_u32 v22, v0, 10, 10
	v_mov_b32_e32 v13, v23
	s_lshl_b64 s[6:7], s[34:35], 5
	s_and_b64 vcc, exec, s[2:3]
	v_mov_b32_e32 v21, v23
	v_mov_b32_e32 v20, v23
	;; [unrolled: 1-line block ×8, first 2 shown]
	s_cbranch_vccnz .LBB113_9
; %bb.1:
	s_load_dwordx4 s[24:27], s[0:1], 0x40
	v_lshl_add_u32 v8, v22, 4, v12
	v_mov_b32_e32 v25, 0
	v_lshrrev_b32_e32 v0, 3, v8
	v_mov_b32_e32 v1, v25
	v_and_b32_e32 v4, 31, v8
	v_lshrrev_b32_e32 v24, 5, v8
	v_and_b32_e32 v26, 7, v12
	v_lshl_add_u64 v[2:3], v[0:1], 0, s[6:7]
	v_lshlrev_b32_e32 v1, 3, v4
	v_lshl_or_b32 v44, v24, 8, v1
	v_lshlrev_b32_e32 v1, 3, v26
	v_lshl_or_b32 v0, v0, 6, v1
	v_add_u32_e32 v45, 0x800, v0
	v_mov_b32_e32 v0, 0x800
	s_waitcnt lgkmcnt(0)
	s_mul_i32 s5, s27, s4
	s_mul_hi_u32 s27, s26, s4
	v_lshl_add_u32 v47, v22, 6, v0
	s_add_i32 s27, s27, s5
	s_mul_i32 s26, s26, s4
	v_mad_u64_u32 v[0:1], s[36:37], s24, v26, 0
	v_cmp_gt_i64_e64 s[2:3], s[10:11], v[2:3]
	s_lshl_b64 s[26:27], s[26:27], 3
	v_mov_b32_e32 v2, v1
	s_lshl_b64 s[34:35], s[34:35], 8
	v_mad_u64_u32 v[2:3], s[36:37], s25, v26, v[2:3]
	s_add_u32 s26, s34, s26
	v_mov_b32_e32 v1, v2
	s_addc_u32 s27, s35, s27
	v_lshl_add_u64 v[0:1], v[0:1], 3, s[26:27]
	v_and_b32_e32 v2, 0x7ff8, v8
	v_mov_b32_e32 v3, v25
	v_mov_b32_e32 v5, v25
	v_lshl_add_u64 v[0:1], v[0:1], 0, v[2:3]
	v_lshl_add_u64 v[28:29], s[22:23], 0, v[0:1]
	;; [unrolled: 1-line block ×3, first 2 shown]
	v_mul_lo_u32 v2, s19, v0
	v_mul_lo_u32 v3, s18, v1
	v_mad_u64_u32 v[0:1], s[18:19], s18, v0, 0
	s_mul_i32 s5, s21, s4
	s_mul_hi_u32 s18, s20, s4
	s_add_i32 s19, s18, s5
	s_mul_i32 s18, s20, s4
	v_add3_u32 v1, v1, v3, v2
	s_lshl_b64 s[18:19], s[18:19], 3
	v_lshl_add_u64 v[0:1], v[0:1], 3, s[18:19]
	v_lshlrev_b32_e32 v2, 3, v24
	v_mov_b32_e32 v3, v25
	v_or_b32_e32 v6, s30, v4
	v_mov_b32_e32 v7, s31
	v_lshl_add_u64 v[0:1], v[0:1], 0, v[2:3]
	v_cmp_gt_i64_e32 vcc, s[8:9], v[6:7]
	v_lshl_add_u64 v[0:1], s[16:17], 0, v[0:1]
	v_mov_b32_e32 v27, v25
	v_lshlrev_b32_e32 v46, 3, v12
	s_lshl_b64 s[22:23], s[24:25], 6
	v_lshl_add_u64 v[30:31], v[0:1], 0, 4
	s_mov_b64 s[16:17], 0
	s_xor_b64 s[18:19], vcc, -1
	v_mov_b64_e32 v[32:33], s[12:13]
	v_mov_b32_e32 v14, v25
	v_mov_b32_e32 v15, v25
	;; [unrolled: 1-line block ×8, first 2 shown]
	s_branch .LBB113_3
.LBB113_2:                              ;   in Loop: Header=BB113_3 Depth=1
	s_or_b64 exec, exec, s[20:21]
	s_waitcnt vmcnt(0)
	ds_write_b64 v45, v[2:3]
	s_waitcnt lgkmcnt(0)
	s_barrier
	ds_read2_b64 v[4:7], v46 offset1:16
	ds_read_b128 v[48:51], v47
	ds_read2_b64 v[8:11], v46 offset0:32 offset1:48
	ds_read_b128 v[0:3], v47 offset:16
	ds_read_b128 v[52:55], v47 offset:1024
	s_add_u32 s16, s16, 8
	s_waitcnt lgkmcnt(3)
	v_pk_mul_f32 v[36:37], v[48:49], v[4:5] op_sel:[0,1]
	v_pk_mul_f32 v[56:57], v[48:49], v[6:7] op_sel:[0,1]
	v_pk_fma_f32 v[34:35], v[48:49], v[4:5], v[36:37] op_sel:[0,0,1] op_sel_hi:[1,1,0] neg_lo:[0,0,1] neg_hi:[0,0,1]
	v_pk_fma_f32 v[36:37], v[48:49], v[4:5], v[36:37] op_sel:[0,0,1] op_sel_hi:[1,0,0]
	s_waitcnt lgkmcnt(2)
	v_pk_mul_f32 v[40:41], v[50:51], v[8:9] op_sel:[0,1]
	v_pk_fma_f32 v[42:43], v[48:49], v[6:7], v[56:57] op_sel:[0,0,1] op_sel_hi:[1,1,0] neg_lo:[0,0,1] neg_hi:[0,0,1]
	v_pk_fma_f32 v[72:73], v[48:49], v[6:7], v[56:57] op_sel:[0,0,1] op_sel_hi:[1,0,0]
	v_pk_mul_f32 v[48:49], v[50:51], v[10:11] op_sel:[0,1]
	v_pk_fma_f32 v[38:39], v[50:51], v[8:9], v[40:41] op_sel:[0,0,1] op_sel_hi:[1,1,0] neg_lo:[0,0,1] neg_hi:[0,0,1]
	v_pk_fma_f32 v[40:41], v[50:51], v[8:9], v[40:41] op_sel:[0,0,1] op_sel_hi:[1,0,0]
	v_pk_fma_f32 v[74:75], v[50:51], v[10:11], v[48:49] op_sel:[0,0,1] op_sel_hi:[1,1,0] neg_lo:[0,0,1] neg_hi:[0,0,1]
	v_pk_fma_f32 v[76:77], v[50:51], v[10:11], v[48:49] op_sel:[0,0,1] op_sel_hi:[1,0,0]
	ds_read_b128 v[48:51], v47 offset:1040
	s_waitcnt lgkmcnt(1)
	v_pk_mul_f32 v[56:57], v[52:53], v[4:5] op_sel:[0,1]
	v_mov_b32_e32 v35, v37
	v_pk_fma_f32 v[78:79], v[52:53], v[4:5], v[56:57] op_sel:[0,0,1] op_sel_hi:[1,1,0] neg_lo:[0,0,1] neg_hi:[0,0,1]
	v_pk_fma_f32 v[80:81], v[52:53], v[4:5], v[56:57] op_sel:[0,0,1] op_sel_hi:[1,0,0]
	v_pk_mul_f32 v[4:5], v[52:53], v[6:7] op_sel:[0,1]
	ds_read2_b64 v[56:59], v46 offset0:96 offset1:112
	v_pk_fma_f32 v[82:83], v[52:53], v[6:7], v[4:5] op_sel:[0,0,1] op_sel_hi:[1,1,0] neg_lo:[0,0,1] neg_hi:[0,0,1]
	v_pk_fma_f32 v[84:85], v[52:53], v[6:7], v[4:5] op_sel:[0,0,1] op_sel_hi:[1,0,0]
	v_pk_mul_f32 v[4:5], v[54:55], v[8:9] op_sel:[0,1]
	v_pk_add_f32 v[20:21], v[20:21], v[34:35]
	v_pk_fma_f32 v[86:87], v[54:55], v[8:9], v[4:5] op_sel:[0,0,1] op_sel_hi:[1,1,0] neg_lo:[0,0,1] neg_hi:[0,0,1]
	v_pk_fma_f32 v[88:89], v[54:55], v[8:9], v[4:5] op_sel:[0,0,1] op_sel_hi:[1,0,0]
	ds_read2_b64 v[4:7], v46 offset0:64 offset1:80
	v_pk_mul_f32 v[8:9], v[54:55], v[10:11] op_sel:[0,1]
	v_mov_b32_e32 v79, v81
	v_pk_fma_f32 v[90:91], v[54:55], v[10:11], v[8:9] op_sel:[0,0,1] op_sel_hi:[1,1,0] neg_lo:[0,0,1] neg_hi:[0,0,1]
	v_pk_fma_f32 v[92:93], v[54:55], v[10:11], v[8:9] op_sel:[0,0,1] op_sel_hi:[1,0,0]
	s_waitcnt lgkmcnt(0)
	v_pk_mul_f32 v[8:9], v[0:1], v[4:5] op_sel:[0,1]
	v_pk_mul_f32 v[60:61], v[0:1], v[6:7] op_sel:[0,1]
	v_pk_fma_f32 v[94:95], v[0:1], v[4:5], v[8:9] op_sel:[0,0,1] op_sel_hi:[1,1,0] neg_lo:[0,0,1] neg_hi:[0,0,1]
	v_pk_fma_f32 v[96:97], v[0:1], v[4:5], v[8:9] op_sel:[0,0,1] op_sel_hi:[1,0,0]
	v_pk_mul_f32 v[8:9], v[2:3], v[56:57] op_sel:[0,1]
	v_pk_mul_f32 v[34:35], v[48:49], v[4:5] op_sel:[0,1]
	v_pk_fma_f32 v[98:99], v[2:3], v[56:57], v[8:9] op_sel:[0,0,1] op_sel_hi:[1,1,0] neg_lo:[0,0,1] neg_hi:[0,0,1]
	v_pk_fma_f32 v[100:101], v[2:3], v[56:57], v[8:9] op_sel:[0,0,1] op_sel_hi:[1,0,0]
	ds_read2_b64 v[8:11], v46 offset0:128 offset1:144
	ds_read_b128 v[52:55], v47 offset:32
	v_pk_fma_f32 v[102:103], v[0:1], v[6:7], v[60:61] op_sel:[0,0,1] op_sel_hi:[1,1,0] neg_lo:[0,0,1] neg_hi:[0,0,1]
	v_pk_fma_f32 v[104:105], v[0:1], v[6:7], v[60:61] op_sel:[0,0,1] op_sel_hi:[1,0,0]
	v_pk_mul_f32 v[0:1], v[2:3], v[58:59] op_sel:[0,1]
	v_pk_add_f32 v[16:17], v[16:17], v[78:79]
	v_mov_b32_e32 v87, v89
	v_pk_fma_f32 v[36:37], v[48:49], v[4:5], v[34:35] op_sel:[0,0,1] op_sel_hi:[1,1,0] neg_lo:[0,0,1] neg_hi:[0,0,1]
	v_pk_fma_f32 v[4:5], v[48:49], v[4:5], v[34:35] op_sel:[0,0,1] op_sel_hi:[1,0,0]
	v_pk_fma_f32 v[106:107], v[2:3], v[58:59], v[0:1] op_sel:[0,0,1] op_sel_hi:[1,1,0] neg_lo:[0,0,1] neg_hi:[0,0,1]
	v_pk_fma_f32 v[108:109], v[2:3], v[58:59], v[0:1] op_sel:[0,0,1] op_sel_hi:[1,0,0]
	ds_read2_b64 v[0:3], v46 offset0:160 offset1:176
	ds_read_b128 v[60:63], v47 offset:48
	v_pk_add_f32 v[16:17], v[16:17], v[86:87]
	v_mov_b32_e32 v37, v5
	v_pk_add_f32 v[4:5], v[16:17], v[36:37]
	ds_read_b128 v[34:37], v47 offset:1056
	s_waitcnt lgkmcnt(3)
	v_pk_mul_f32 v[64:65], v[52:53], v[8:9] op_sel:[0,1]
	v_mov_b32_e32 v39, v41
	v_pk_mul_f32 v[16:17], v[50:51], v[56:57] op_sel:[0,1]
	v_pk_fma_f32 v[110:111], v[52:53], v[8:9], v[64:65] op_sel:[0,0,1] op_sel_hi:[1,1,0] neg_lo:[0,0,1] neg_hi:[0,0,1]
	v_pk_fma_f32 v[112:113], v[52:53], v[8:9], v[64:65] op_sel:[0,0,1] op_sel_hi:[1,0,0]
	s_waitcnt lgkmcnt(2)
	v_pk_mul_f32 v[64:65], v[54:55], v[0:1] op_sel:[0,1]
	v_pk_add_f32 v[20:21], v[20:21], v[38:39]
	v_pk_fma_f32 v[38:39], v[50:51], v[56:57], v[16:17] op_sel:[0,0,1] op_sel_hi:[1,1,0] neg_lo:[0,0,1] neg_hi:[0,0,1]
	v_pk_fma_f32 v[16:17], v[50:51], v[56:57], v[16:17] op_sel:[0,0,1] op_sel_hi:[1,0,0]
	v_pk_fma_f32 v[114:115], v[54:55], v[0:1], v[64:65] op_sel:[0,0,1] op_sel_hi:[1,1,0] neg_lo:[0,0,1] neg_hi:[0,0,1]
	v_pk_fma_f32 v[116:117], v[54:55], v[0:1], v[64:65] op_sel:[0,0,1] op_sel_hi:[1,0,0]
	v_pk_mul_f32 v[64:65], v[52:53], v[10:11] op_sel:[0,1]
	v_mov_b32_e32 v39, v17
	v_pk_fma_f32 v[118:119], v[52:53], v[10:11], v[64:65] op_sel:[0,0,1] op_sel_hi:[1,1,0] neg_lo:[0,0,1] neg_hi:[0,0,1]
	v_pk_fma_f32 v[52:53], v[52:53], v[10:11], v[64:65] op_sel:[0,0,1] op_sel_hi:[1,0,0]
	ds_read2_b64 v[64:67], v46 offset0:192 offset1:208
	v_mov_b32_e32 v43, v73
	v_pk_add_f32 v[4:5], v[4:5], v[38:39]
	ds_read_b128 v[38:41], v47 offset:1072
	s_waitcnt lgkmcnt(2)
	v_pk_mul_f32 v[16:17], v[34:35], v[8:9] op_sel:[0,1]
	v_pk_add_f32 v[18:19], v[18:19], v[42:43]
	v_pk_fma_f32 v[42:43], v[34:35], v[8:9], v[16:17] op_sel:[0,0,1] op_sel_hi:[1,1,0] neg_lo:[0,0,1] neg_hi:[0,0,1]
	v_pk_fma_f32 v[8:9], v[34:35], v[8:9], v[16:17] op_sel:[0,0,1] op_sel_hi:[1,0,0]
	ds_read2_b64 v[68:71], v46 offset0:224 offset1:240
	v_mov_b32_e32 v43, v9
	v_pk_mul_f32 v[8:9], v[36:37], v[0:1] op_sel:[0,1]
	v_pk_add_f32 v[4:5], v[4:5], v[42:43]
	v_pk_fma_f32 v[16:17], v[36:37], v[0:1], v[8:9] op_sel:[0,0,1] op_sel_hi:[1,1,0] neg_lo:[0,0,1] neg_hi:[0,0,1]
	v_pk_fma_f32 v[0:1], v[36:37], v[0:1], v[8:9] op_sel:[0,0,1] op_sel_hi:[1,0,0]
	v_mov_b32_e32 v83, v85
	v_mov_b32_e32 v17, v1
	v_pk_add_f32 v[0:1], v[4:5], v[16:17]
	s_waitcnt lgkmcnt(1)
	v_pk_mul_f32 v[4:5], v[38:39], v[64:65] op_sel:[0,1]
	v_mov_b32_e32 v91, v93
	v_pk_fma_f32 v[8:9], v[38:39], v[64:65], v[4:5] op_sel:[0,0,1] op_sel_hi:[1,1,0] neg_lo:[0,0,1] neg_hi:[0,0,1]
	v_pk_fma_f32 v[4:5], v[38:39], v[64:65], v[4:5] op_sel:[0,0,1] op_sel_hi:[1,0,0]
	v_pk_mul_f32 v[120:121], v[54:55], v[2:3] op_sel:[0,1]
	v_mov_b32_e32 v9, v5
	s_waitcnt lgkmcnt(0)
	v_pk_mul_f32 v[4:5], v[40:41], v[68:69] op_sel:[0,1]
	v_pk_add_f32 v[0:1], v[0:1], v[8:9]
	v_pk_fma_f32 v[8:9], v[40:41], v[68:69], v[4:5] op_sel:[0,0,1] op_sel_hi:[1,1,0] neg_lo:[0,0,1] neg_hi:[0,0,1]
	v_pk_fma_f32 v[4:5], v[40:41], v[68:69], v[4:5] op_sel:[0,0,1] op_sel_hi:[1,0,0]
	v_mov_b32_e32 v75, v77
	v_mov_b32_e32 v9, v5
	v_pk_mul_f32 v[4:5], v[48:49], v[6:7] op_sel:[0,1]
	v_pk_add_f32 v[16:17], v[0:1], v[8:9]
	v_pk_fma_f32 v[8:9], v[48:49], v[6:7], v[4:5] op_sel:[0,0,1] op_sel_hi:[1,1,0] neg_lo:[0,0,1] neg_hi:[0,0,1]
	v_pk_fma_f32 v[4:5], v[48:49], v[6:7], v[4:5] op_sel:[0,0,1] op_sel_hi:[1,0,0]
	v_pk_add_f32 v[0:1], v[14:15], v[82:83]
	v_mov_b32_e32 v9, v5
	v_pk_mul_f32 v[4:5], v[50:51], v[58:59] op_sel:[0,1]
	v_pk_add_f32 v[0:1], v[0:1], v[90:91]
	v_pk_fma_f32 v[6:7], v[50:51], v[58:59], v[4:5] op_sel:[0,0,1] op_sel_hi:[1,1,0] neg_lo:[0,0,1] neg_hi:[0,0,1]
	v_pk_fma_f32 v[4:5], v[50:51], v[58:59], v[4:5] op_sel:[0,0,1] op_sel_hi:[1,0,0]
	v_pk_add_f32 v[0:1], v[0:1], v[8:9]
	v_mov_b32_e32 v7, v5
	v_pk_mul_f32 v[4:5], v[34:35], v[10:11] op_sel:[0,1]
	v_pk_add_f32 v[0:1], v[0:1], v[6:7]
	v_pk_fma_f32 v[6:7], v[34:35], v[10:11], v[4:5] op_sel:[0,0,1] op_sel_hi:[1,1,0] neg_lo:[0,0,1] neg_hi:[0,0,1]
	v_pk_fma_f32 v[4:5], v[34:35], v[10:11], v[4:5] op_sel:[0,0,1] op_sel_hi:[1,0,0]
	v_pk_fma_f32 v[122:123], v[54:55], v[2:3], v[120:121] op_sel:[0,0,1] op_sel_hi:[1,1,0] neg_lo:[0,0,1] neg_hi:[0,0,1]
	v_mov_b32_e32 v7, v5
	v_pk_mul_f32 v[4:5], v[36:37], v[2:3] op_sel:[0,1]
	v_pk_fma_f32 v[54:55], v[54:55], v[2:3], v[120:121] op_sel:[0,0,1] op_sel_hi:[1,0,0]
	v_mov_b32_e32 v95, v97
	v_pk_add_f32 v[18:19], v[18:19], v[74:75]
	v_mov_b32_e32 v103, v105
	v_pk_add_f32 v[0:1], v[0:1], v[6:7]
	v_pk_fma_f32 v[6:7], v[36:37], v[2:3], v[4:5] op_sel:[0,0,1] op_sel_hi:[1,1,0] neg_lo:[0,0,1] neg_hi:[0,0,1]
	v_pk_fma_f32 v[2:3], v[36:37], v[2:3], v[4:5] op_sel:[0,0,1] op_sel_hi:[1,0,0]
	v_pk_add_f32 v[20:21], v[20:21], v[94:95]
	v_mov_b32_e32 v99, v101
	v_pk_add_f32 v[18:19], v[18:19], v[102:103]
	v_mov_b32_e32 v107, v109
	v_mov_b32_e32 v7, v3
	v_pk_mul_f32 v[2:3], v[38:39], v[66:67] op_sel:[0,1]
	v_pk_mul_f32 v[120:121], v[60:61], v[64:65] op_sel:[0,1]
	;; [unrolled: 1-line block ×3, first 2 shown]
	v_pk_add_f32 v[20:21], v[20:21], v[98:99]
	v_mov_b32_e32 v111, v113
	v_pk_add_f32 v[18:19], v[18:19], v[106:107]
	v_mov_b32_e32 v119, v53
	v_pk_fma_f32 v[4:5], v[38:39], v[66:67], v[2:3] op_sel:[0,0,1] op_sel_hi:[1,1,0] neg_lo:[0,0,1] neg_hi:[0,0,1]
	v_pk_fma_f32 v[2:3], v[38:39], v[66:67], v[2:3] op_sel:[0,0,1] op_sel_hi:[1,0,0]
	v_pk_fma_f32 v[124:125], v[60:61], v[64:65], v[120:121] op_sel:[0,0,1] op_sel_hi:[1,1,0] neg_lo:[0,0,1] neg_hi:[0,0,1]
	v_pk_fma_f32 v[120:121], v[60:61], v[64:65], v[120:121] op_sel:[0,0,1] op_sel_hi:[1,0,0]
	v_pk_mul_f32 v[126:127], v[62:63], v[68:69] op_sel:[0,1]
	v_pk_fma_f32 v[132:133], v[60:61], v[66:67], v[130:131] op_sel:[0,0,1] op_sel_hi:[1,1,0] neg_lo:[0,0,1] neg_hi:[0,0,1]
	v_pk_fma_f32 v[60:61], v[60:61], v[66:67], v[130:131] op_sel:[0,0,1] op_sel_hi:[1,0,0]
	v_pk_mul_f32 v[130:131], v[62:63], v[70:71] op_sel:[0,1]
	v_pk_add_f32 v[20:21], v[20:21], v[110:111]
	v_mov_b32_e32 v115, v117
	v_pk_add_f32 v[18:19], v[18:19], v[118:119]
	v_mov_b32_e32 v123, v55
	;; [unrolled: 2-line block ×3, first 2 shown]
	v_pk_mul_f32 v[2:3], v[40:41], v[70:71] op_sel:[0,1]
	v_pk_fma_f32 v[128:129], v[62:63], v[68:69], v[126:127] op_sel:[0,0,1] op_sel_hi:[1,1,0] neg_lo:[0,0,1] neg_hi:[0,0,1]
	v_pk_fma_f32 v[126:127], v[62:63], v[68:69], v[126:127] op_sel:[0,0,1] op_sel_hi:[1,0,0]
	v_pk_fma_f32 v[134:135], v[62:63], v[70:71], v[130:131] op_sel:[0,0,1] op_sel_hi:[1,1,0] neg_lo:[0,0,1] neg_hi:[0,0,1]
	v_pk_fma_f32 v[62:63], v[62:63], v[70:71], v[130:131] op_sel:[0,0,1] op_sel_hi:[1,0,0]
	v_pk_add_f32 v[20:21], v[20:21], v[114:115]
	v_mov_b32_e32 v125, v121
	v_pk_add_f32 v[18:19], v[18:19], v[122:123]
	v_mov_b32_e32 v133, v61
	v_pk_add_f32 v[0:1], v[0:1], v[4:5]
	v_pk_fma_f32 v[4:5], v[40:41], v[70:71], v[2:3] op_sel:[0,0,1] op_sel_hi:[1,1,0] neg_lo:[0,0,1] neg_hi:[0,0,1]
	v_pk_fma_f32 v[2:3], v[40:41], v[70:71], v[2:3] op_sel:[0,0,1] op_sel_hi:[1,0,0]
	s_addc_u32 s17, s17, 0
	v_pk_add_f32 v[20:21], v[20:21], v[124:125]
	v_mov_b32_e32 v129, v127
	v_pk_add_f32 v[18:19], v[18:19], v[132:133]
	v_mov_b32_e32 v135, v63
	v_mov_b32_e32 v5, v3
	v_cmp_lt_i64_e32 vcc, s[16:17], v[32:33]
	v_pk_add_f32 v[20:21], v[20:21], v[128:129]
	v_pk_add_f32 v[18:19], v[18:19], v[134:135]
	v_pk_add_f32 v[14:15], v[0:1], v[4:5]
	v_lshl_add_u64 v[28:29], v[28:29], 0, s[22:23]
	v_lshl_add_u64 v[30:31], v[30:31], 0, 64
	s_barrier
	s_cbranch_vccz .LBB113_9
.LBB113_3:                              ; =>This Inner Loop Header: Depth=1
	v_lshl_add_u64 v[0:1], v[24:25], 0, s[16:17]
	v_cmp_le_i64_e32 vcc, s[12:13], v[0:1]
	s_or_b64 s[20:21], s[18:19], vcc
	s_and_saveexec_b64 s[24:25], s[20:21]
	s_xor_b64 s[20:21], exec, s[24:25]
; %bb.4:                                ;   in Loop: Header=BB113_3 Depth=1
	ds_write_b32 v44, v25
; %bb.5:                                ;   in Loop: Header=BB113_3 Depth=1
	s_or_saveexec_b64 s[20:21], s[20:21]
	v_mov_b32_e32 v2, 0
	v_mov_b32_e32 v0, 0
	s_xor_b64 exec, exec, s[20:21]
	s_cbranch_execz .LBB113_7
; %bb.6:                                ;   in Loop: Header=BB113_3 Depth=1
	global_load_dwordx2 v[4:5], v[30:31], off offset:-4
	s_waitcnt vmcnt(0)
	v_xor_b32_e32 v0, 0x80000000, v5
	ds_write_b32 v44, v4
.LBB113_7:                              ;   in Loop: Header=BB113_3 Depth=1
	s_or_b64 exec, exec, s[20:21]
	ds_write_b32 v44, v0 offset:4
	v_lshl_add_u64 v[0:1], v[26:27], 0, s[16:17]
	v_cmp_gt_i64_e32 vcc, s[12:13], v[0:1]
	s_and_b64 s[24:25], vcc, s[2:3]
	v_mov_b32_e32 v3, 0
	s_and_saveexec_b64 s[20:21], s[24:25]
	s_cbranch_execz .LBB113_2
; %bb.8:                                ;   in Loop: Header=BB113_3 Depth=1
	global_load_dwordx2 v[2:3], v[28:29], off
	s_branch .LBB113_2
.LBB113_9:
	s_load_dwordx4 s[24:27], s[0:1], 0x78
	s_load_dwordx8 s[16:23], s[0:1], 0x58
	v_lshl_add_u64 v[0:1], s[6:7], 0, v[22:23]
	s_waitcnt lgkmcnt(0)
	s_mul_i32 s1, s27, s4
	s_mul_hi_u32 s2, s26, s4
	s_mul_i32 s0, s26, s4
	s_add_i32 s1, s2, s1
	s_lshl_b64 s[0:1], s[0:1], 3
	s_add_u32 s12, s22, s0
	s_addc_u32 s13, s23, s1
	s_or_b32 s0, s28, s29
	s_bitset0_b32 s0, 31
	s_cmp_lg_u32 s0, 0
	v_cmp_gt_i64_e64 s[0:1], s[10:11], v[0:1]
	s_mov_b64 s[2:3], -1
	s_cbranch_scc1 .LBB113_21
; %bb.10:
	s_and_saveexec_b64 s[22:23], s[0:1]
	s_cbranch_execz .LBB113_20
; %bb.11:
	v_mul_lo_u32 v6, v1, s24
	v_mul_lo_u32 v7, v0, s25
	v_mad_u64_u32 v[4:5], s[2:3], v0, s24, 0
	v_add3_u32 v5, v5, v7, v6
	v_lshl_add_u64 v[2:3], s[30:31], 0, v[12:13]
	v_lshl_add_u64 v[4:5], v[4:5], 3, s[12:13]
	v_cmp_gt_i64_e32 vcc, s[8:9], v[2:3]
	s_mov_b32 s26, s14
	s_mov_b32 s27, s14
	;; [unrolled: 1-line block ×4, first 2 shown]
	v_lshl_add_u64 v[6:7], v[2:3], 3, v[4:5]
	s_and_saveexec_b64 s[2:3], vcc
	s_cbranch_execz .LBB113_13
; %bb.12:
	v_pk_mul_f32 v[8:9], v[20:21], s[34:35]
	s_nop 0
	v_pk_fma_f32 v[10:11], v[20:21], s[26:27], v[8:9] op_sel:[0,0,1] op_sel_hi:[1,1,0] neg_lo:[0,0,1] neg_hi:[0,0,1]
	v_pk_fma_f32 v[8:9], v[20:21], s[26:27], v[8:9] op_sel:[0,0,1] op_sel_hi:[1,1,0]
	s_nop 0
	v_mov_b32_e32 v11, v9
	global_store_dwordx2 v[6:7], v[10:11], off
.LBB113_13:
	s_or_b64 exec, exec, s[2:3]
	v_lshl_add_u64 v[8:9], v[2:3], 0, 16
	v_cmp_gt_i64_e64 s[2:3], s[8:9], v[8:9]
	s_and_saveexec_b64 s[6:7], s[2:3]
	s_cbranch_execz .LBB113_15
; %bb.14:
	v_pk_mul_f32 v[8:9], v[18:19], s[34:35]
	s_nop 0
	v_pk_fma_f32 v[10:11], v[18:19], s[26:27], v[8:9] op_sel:[0,0,1] op_sel_hi:[1,1,0] neg_lo:[0,0,1] neg_hi:[0,0,1]
	v_pk_fma_f32 v[8:9], v[18:19], s[26:27], v[8:9] op_sel:[0,0,1] op_sel_hi:[1,1,0]
	s_nop 0
	v_mov_b32_e32 v11, v9
	global_store_dwordx2 v[6:7], v[10:11], off offset:128
.LBB113_15:
	s_or_b64 exec, exec, s[6:7]
	v_lshl_add_u64 v[6:7], v[0:1], 0, 16
	v_cmp_gt_i64_e64 s[6:7], s[10:11], v[6:7]
	s_and_b64 exec, exec, s[6:7]
	s_cbranch_execz .LBB113_20
; %bb.16:
	s_lshl_b64 s[6:7], s[24:25], 7
	v_lshl_add_u64 v[4:5], v[4:5], 0, s[6:7]
	v_lshl_add_u64 v[2:3], v[2:3], 3, v[4:5]
	s_and_saveexec_b64 s[6:7], vcc
	s_cbranch_execz .LBB113_18
; %bb.17:
	v_pk_mul_f32 v[4:5], v[16:17], s[34:35]
	s_nop 0
	v_pk_fma_f32 v[6:7], v[16:17], s[26:27], v[4:5] op_sel:[0,0,1] op_sel_hi:[1,1,0] neg_lo:[0,0,1] neg_hi:[0,0,1]
	v_pk_fma_f32 v[4:5], v[16:17], s[26:27], v[4:5] op_sel:[0,0,1] op_sel_hi:[1,1,0]
	s_nop 0
	v_mov_b32_e32 v7, v5
	global_store_dwordx2 v[2:3], v[6:7], off
.LBB113_18:
	s_or_b64 exec, exec, s[6:7]
	s_and_b64 exec, exec, s[2:3]
	s_cbranch_execz .LBB113_20
; %bb.19:
	v_pk_mul_f32 v[4:5], v[14:15], s[34:35]
	s_nop 0
	v_pk_fma_f32 v[6:7], v[14:15], s[26:27], v[4:5] op_sel:[0,0,1] op_sel_hi:[1,1,0] neg_lo:[0,0,1] neg_hi:[0,0,1]
	v_pk_fma_f32 v[4:5], v[14:15], s[26:27], v[4:5] op_sel:[0,0,1] op_sel_hi:[1,1,0]
	s_nop 0
	v_mov_b32_e32 v7, v5
	global_store_dwordx2 v[2:3], v[6:7], off offset:128
.LBB113_20:
	s_or_b64 exec, exec, s[22:23]
	s_mov_b64 s[2:3], 0
.LBB113_21:
	s_andn2_b64 vcc, exec, s[2:3]
	s_cbranch_vccnz .LBB113_32
; %bb.22:
	s_and_saveexec_b64 s[2:3], s[0:1]
	s_cbranch_execz .LBB113_32
; %bb.23:
	s_mul_i32 s0, s21, s4
	s_mul_hi_u32 s1, s20, s4
	s_add_i32 s1, s1, s0
	s_mul_i32 s0, s20, s4
	s_lshl_b64 s[0:1], s[0:1], 3
	v_mul_lo_u32 v4, v1, s18
	v_mul_lo_u32 v5, v0, s19
	v_mad_u64_u32 v[2:3], s[2:3], v0, s18, 0
	s_add_u32 s0, s16, s0
	v_add3_u32 v3, v3, v5, v4
	v_mul_lo_u32 v6, v1, s24
	v_mul_lo_u32 v7, v0, s25
	v_mad_u64_u32 v[4:5], s[2:3], v0, s24, 0
	s_addc_u32 s1, s17, s1
	v_lshl_add_u64 v[8:9], s[30:31], 0, v[12:13]
	v_add3_u32 v5, v5, v7, v6
	v_cmp_gt_i64_e32 vcc, s[8:9], v[8:9]
	s_mov_b32 s4, s14
	s_mov_b32 s5, s14
	;; [unrolled: 1-line block ×6, first 2 shown]
	v_lshl_add_u64 v[6:7], v[2:3], 3, s[0:1]
	v_lshl_add_u64 v[4:5], v[4:5], 3, s[12:13]
	v_lshlrev_b64 v[2:3], 3, v[8:9]
	s_and_saveexec_b64 s[0:1], vcc
	s_cbranch_execz .LBB113_25
; %bb.24:
	v_lshl_add_u64 v[10:11], v[6:7], 0, v[2:3]
	global_load_dwordx2 v[10:11], v[10:11], off
	v_pk_mul_f32 v[22:23], v[20:21], s[14:15]
	v_lshl_add_u64 v[12:13], v[4:5], 0, v[2:3]
	v_pk_fma_f32 v[24:25], v[20:21], s[4:5], v[22:23] op_sel:[0,0,1] op_sel_hi:[1,1,0] neg_lo:[0,0,1] neg_hi:[0,0,1]
	v_pk_fma_f32 v[20:21], v[20:21], s[4:5], v[22:23] op_sel:[0,0,1] op_sel_hi:[1,1,0]
	s_nop 0
	v_mov_b32_e32 v25, v21
	s_waitcnt vmcnt(0)
	v_pk_mul_f32 v[20:21], v[10:11], s[28:29]
	s_nop 0
	v_pk_fma_f32 v[22:23], v[10:11], s[6:7], v[20:21] op_sel:[0,0,1] op_sel_hi:[1,1,0] neg_lo:[0,0,1] neg_hi:[0,0,1]
	v_pk_fma_f32 v[10:11], v[10:11], s[6:7], v[20:21] op_sel:[0,0,1] op_sel_hi:[1,1,0]
	s_nop 0
	v_mov_b32_e32 v23, v11
	v_pk_add_f32 v[10:11], v[24:25], v[22:23]
	global_store_dwordx2 v[12:13], v[10:11], off
.LBB113_25:
	s_or_b64 exec, exec, s[0:1]
	v_lshl_add_u64 v[8:9], v[8:9], 0, 16
	v_cmp_gt_i64_e64 s[0:1], s[8:9], v[8:9]
	s_and_saveexec_b64 s[2:3], s[0:1]
	s_cbranch_execz .LBB113_27
; %bb.26:
	v_lshl_add_u64 v[8:9], v[6:7], 0, v[2:3]
	global_load_dwordx2 v[8:9], v[8:9], off offset:128
	v_pk_mul_f32 v[12:13], v[18:19], s[14:15]
	v_lshl_add_u64 v[10:11], v[4:5], 0, v[2:3]
	v_pk_fma_f32 v[20:21], v[18:19], s[4:5], v[12:13] op_sel:[0,0,1] op_sel_hi:[1,1,0] neg_lo:[0,0,1] neg_hi:[0,0,1]
	v_pk_fma_f32 v[12:13], v[18:19], s[4:5], v[12:13] op_sel:[0,0,1] op_sel_hi:[1,1,0]
	s_nop 0
	v_mov_b32_e32 v21, v13
	s_waitcnt vmcnt(0)
	v_pk_mul_f32 v[12:13], v[8:9], s[28:29]
	s_nop 0
	v_pk_fma_f32 v[18:19], v[8:9], s[6:7], v[12:13] op_sel:[0,0,1] op_sel_hi:[1,1,0] neg_lo:[0,0,1] neg_hi:[0,0,1]
	v_pk_fma_f32 v[8:9], v[8:9], s[6:7], v[12:13] op_sel:[0,0,1] op_sel_hi:[1,1,0]
	s_nop 0
	v_mov_b32_e32 v19, v9
	v_pk_add_f32 v[8:9], v[20:21], v[18:19]
	global_store_dwordx2 v[10:11], v[8:9], off offset:128
.LBB113_27:
	s_or_b64 exec, exec, s[2:3]
	v_lshl_add_u64 v[0:1], v[0:1], 0, 16
	v_cmp_gt_i64_e64 s[2:3], s[10:11], v[0:1]
	s_and_b64 exec, exec, s[2:3]
	s_cbranch_execz .LBB113_32
; %bb.28:
	s_lshl_b64 s[2:3], s[18:19], 7
	v_lshl_add_u64 v[0:1], v[6:7], 0, s[2:3]
	s_lshl_b64 s[2:3], s[24:25], 7
	v_lshl_add_u64 v[6:7], v[4:5], 0, s[2:3]
	v_lshl_add_u64 v[4:5], v[0:1], 0, v[2:3]
	;; [unrolled: 1-line block ×3, first 2 shown]
	s_and_saveexec_b64 s[2:3], vcc
	s_cbranch_execz .LBB113_30
; %bb.29:
	global_load_dwordx2 v[2:3], v[4:5], off
	v_pk_mul_f32 v[6:7], v[16:17], s[14:15]
	s_nop 0
	v_pk_fma_f32 v[8:9], v[16:17], s[4:5], v[6:7] op_sel:[0,0,1] op_sel_hi:[1,1,0] neg_lo:[0,0,1] neg_hi:[0,0,1]
	v_pk_fma_f32 v[6:7], v[16:17], s[4:5], v[6:7] op_sel:[0,0,1] op_sel_hi:[1,1,0]
	s_nop 0
	v_mov_b32_e32 v9, v7
	s_waitcnt vmcnt(0)
	v_pk_mul_f32 v[6:7], v[2:3], s[28:29]
	s_nop 0
	v_pk_fma_f32 v[10:11], v[2:3], s[6:7], v[6:7] op_sel:[0,0,1] op_sel_hi:[1,1,0] neg_lo:[0,0,1] neg_hi:[0,0,1]
	v_pk_fma_f32 v[2:3], v[2:3], s[6:7], v[6:7] op_sel:[0,0,1] op_sel_hi:[1,1,0]
	s_nop 0
	v_mov_b32_e32 v11, v3
	v_pk_add_f32 v[2:3], v[8:9], v[10:11]
	global_store_dwordx2 v[0:1], v[2:3], off
.LBB113_30:
	s_or_b64 exec, exec, s[2:3]
	s_and_b64 exec, exec, s[0:1]
	s_cbranch_execz .LBB113_32
; %bb.31:
	global_load_dwordx2 v[2:3], v[4:5], off offset:128
	v_pk_mul_f32 v[4:5], v[14:15], s[14:15]
	s_nop 0
	v_pk_fma_f32 v[6:7], v[14:15], s[4:5], v[4:5] op_sel:[0,0,1] op_sel_hi:[1,1,0] neg_lo:[0,0,1] neg_hi:[0,0,1]
	v_pk_fma_f32 v[4:5], v[14:15], s[4:5], v[4:5] op_sel:[0,0,1] op_sel_hi:[1,1,0]
	s_nop 0
	v_mov_b32_e32 v7, v5
	s_waitcnt vmcnt(0)
	v_pk_mul_f32 v[4:5], v[2:3], s[28:29]
	s_nop 0
	v_pk_fma_f32 v[8:9], v[2:3], s[6:7], v[4:5] op_sel:[0,0,1] op_sel_hi:[1,1,0] neg_lo:[0,0,1] neg_hi:[0,0,1]
	v_pk_fma_f32 v[2:3], v[2:3], s[6:7], v[4:5] op_sel:[0,0,1] op_sel_hi:[1,1,0]
	s_nop 0
	v_mov_b32_e32 v9, v3
	v_pk_add_f32 v[2:3], v[6:7], v[8:9]
	global_store_dwordx2 v[0:1], v[2:3], off offset:128
.LBB113_32:
	s_endpgm
	.section	.rodata,"a",@progbits
	.p2align	6, 0x0
	.amdhsa_kernel _ZN12_GLOBAL__N_135rocblas_gemm_batched_general_kernelI19rocblas_complex_numIfELi16ELi16ELi32ELi32ELi8ELi32ELi8ELi8ELi32ELc67ELc84EKS2_S3_S2_EEvlllT_PT11_llS6_llS4_PT12_llPT13_lli
		.amdhsa_group_segment_fixed_size 4096
		.amdhsa_private_segment_fixed_size 0
		.amdhsa_kernarg_size 140
		.amdhsa_user_sgpr_count 2
		.amdhsa_user_sgpr_dispatch_ptr 0
		.amdhsa_user_sgpr_queue_ptr 0
		.amdhsa_user_sgpr_kernarg_segment_ptr 1
		.amdhsa_user_sgpr_dispatch_id 0
		.amdhsa_user_sgpr_kernarg_preload_length 0
		.amdhsa_user_sgpr_kernarg_preload_offset 0
		.amdhsa_user_sgpr_private_segment_size 0
		.amdhsa_uses_dynamic_stack 0
		.amdhsa_enable_private_segment 0
		.amdhsa_system_sgpr_workgroup_id_x 1
		.amdhsa_system_sgpr_workgroup_id_y 1
		.amdhsa_system_sgpr_workgroup_id_z 1
		.amdhsa_system_sgpr_workgroup_info 0
		.amdhsa_system_vgpr_workitem_id 1
		.amdhsa_next_free_vgpr 136
		.amdhsa_next_free_sgpr 38
		.amdhsa_accum_offset 136
		.amdhsa_reserve_vcc 1
		.amdhsa_float_round_mode_32 0
		.amdhsa_float_round_mode_16_64 0
		.amdhsa_float_denorm_mode_32 3
		.amdhsa_float_denorm_mode_16_64 3
		.amdhsa_dx10_clamp 1
		.amdhsa_ieee_mode 1
		.amdhsa_fp16_overflow 0
		.amdhsa_tg_split 0
		.amdhsa_exception_fp_ieee_invalid_op 0
		.amdhsa_exception_fp_denorm_src 0
		.amdhsa_exception_fp_ieee_div_zero 0
		.amdhsa_exception_fp_ieee_overflow 0
		.amdhsa_exception_fp_ieee_underflow 0
		.amdhsa_exception_fp_ieee_inexact 0
		.amdhsa_exception_int_div_zero 0
	.end_amdhsa_kernel
	.section	.text._ZN12_GLOBAL__N_135rocblas_gemm_batched_general_kernelI19rocblas_complex_numIfELi16ELi16ELi32ELi32ELi8ELi32ELi8ELi8ELi32ELc67ELc84EKS2_S3_S2_EEvlllT_PT11_llS6_llS4_PT12_llPT13_lli,"axG",@progbits,_ZN12_GLOBAL__N_135rocblas_gemm_batched_general_kernelI19rocblas_complex_numIfELi16ELi16ELi32ELi32ELi8ELi32ELi8ELi8ELi32ELc67ELc84EKS2_S3_S2_EEvlllT_PT11_llS6_llS4_PT12_llPT13_lli,comdat
.Lfunc_end113:
	.size	_ZN12_GLOBAL__N_135rocblas_gemm_batched_general_kernelI19rocblas_complex_numIfELi16ELi16ELi32ELi32ELi8ELi32ELi8ELi8ELi32ELc67ELc84EKS2_S3_S2_EEvlllT_PT11_llS6_llS4_PT12_llPT13_lli, .Lfunc_end113-_ZN12_GLOBAL__N_135rocblas_gemm_batched_general_kernelI19rocblas_complex_numIfELi16ELi16ELi32ELi32ELi8ELi32ELi8ELi8ELi32ELc67ELc84EKS2_S3_S2_EEvlllT_PT11_llS6_llS4_PT12_llPT13_lli
                                        ; -- End function
	.set _ZN12_GLOBAL__N_135rocblas_gemm_batched_general_kernelI19rocblas_complex_numIfELi16ELi16ELi32ELi32ELi8ELi32ELi8ELi8ELi32ELc67ELc84EKS2_S3_S2_EEvlllT_PT11_llS6_llS4_PT12_llPT13_lli.num_vgpr, 136
	.set _ZN12_GLOBAL__N_135rocblas_gemm_batched_general_kernelI19rocblas_complex_numIfELi16ELi16ELi32ELi32ELi8ELi32ELi8ELi8ELi32ELc67ELc84EKS2_S3_S2_EEvlllT_PT11_llS6_llS4_PT12_llPT13_lli.num_agpr, 0
	.set _ZN12_GLOBAL__N_135rocblas_gemm_batched_general_kernelI19rocblas_complex_numIfELi16ELi16ELi32ELi32ELi8ELi32ELi8ELi8ELi32ELc67ELc84EKS2_S3_S2_EEvlllT_PT11_llS6_llS4_PT12_llPT13_lli.numbered_sgpr, 38
	.set _ZN12_GLOBAL__N_135rocblas_gemm_batched_general_kernelI19rocblas_complex_numIfELi16ELi16ELi32ELi32ELi8ELi32ELi8ELi8ELi32ELc67ELc84EKS2_S3_S2_EEvlllT_PT11_llS6_llS4_PT12_llPT13_lli.num_named_barrier, 0
	.set _ZN12_GLOBAL__N_135rocblas_gemm_batched_general_kernelI19rocblas_complex_numIfELi16ELi16ELi32ELi32ELi8ELi32ELi8ELi8ELi32ELc67ELc84EKS2_S3_S2_EEvlllT_PT11_llS6_llS4_PT12_llPT13_lli.private_seg_size, 0
	.set _ZN12_GLOBAL__N_135rocblas_gemm_batched_general_kernelI19rocblas_complex_numIfELi16ELi16ELi32ELi32ELi8ELi32ELi8ELi8ELi32ELc67ELc84EKS2_S3_S2_EEvlllT_PT11_llS6_llS4_PT12_llPT13_lli.uses_vcc, 1
	.set _ZN12_GLOBAL__N_135rocblas_gemm_batched_general_kernelI19rocblas_complex_numIfELi16ELi16ELi32ELi32ELi8ELi32ELi8ELi8ELi32ELc67ELc84EKS2_S3_S2_EEvlllT_PT11_llS6_llS4_PT12_llPT13_lli.uses_flat_scratch, 0
	.set _ZN12_GLOBAL__N_135rocblas_gemm_batched_general_kernelI19rocblas_complex_numIfELi16ELi16ELi32ELi32ELi8ELi32ELi8ELi8ELi32ELc67ELc84EKS2_S3_S2_EEvlllT_PT11_llS6_llS4_PT12_llPT13_lli.has_dyn_sized_stack, 0
	.set _ZN12_GLOBAL__N_135rocblas_gemm_batched_general_kernelI19rocblas_complex_numIfELi16ELi16ELi32ELi32ELi8ELi32ELi8ELi8ELi32ELc67ELc84EKS2_S3_S2_EEvlllT_PT11_llS6_llS4_PT12_llPT13_lli.has_recursion, 0
	.set _ZN12_GLOBAL__N_135rocblas_gemm_batched_general_kernelI19rocblas_complex_numIfELi16ELi16ELi32ELi32ELi8ELi32ELi8ELi8ELi32ELc67ELc84EKS2_S3_S2_EEvlllT_PT11_llS6_llS4_PT12_llPT13_lli.has_indirect_call, 0
	.section	.AMDGPU.csdata,"",@progbits
; Kernel info:
; codeLenInByte = 3172
; TotalNumSgprs: 44
; NumVgprs: 136
; NumAgprs: 0
; TotalNumVgprs: 136
; ScratchSize: 0
; MemoryBound: 0
; FloatMode: 240
; IeeeMode: 1
; LDSByteSize: 4096 bytes/workgroup (compile time only)
; SGPRBlocks: 5
; VGPRBlocks: 16
; NumSGPRsForWavesPerEU: 44
; NumVGPRsForWavesPerEU: 136
; AccumOffset: 136
; Occupancy: 3
; WaveLimiterHint : 1
; COMPUTE_PGM_RSRC2:SCRATCH_EN: 0
; COMPUTE_PGM_RSRC2:USER_SGPR: 2
; COMPUTE_PGM_RSRC2:TRAP_HANDLER: 0
; COMPUTE_PGM_RSRC2:TGID_X_EN: 1
; COMPUTE_PGM_RSRC2:TGID_Y_EN: 1
; COMPUTE_PGM_RSRC2:TGID_Z_EN: 1
; COMPUTE_PGM_RSRC2:TIDIG_COMP_CNT: 1
; COMPUTE_PGM_RSRC3_GFX90A:ACCUM_OFFSET: 33
; COMPUTE_PGM_RSRC3_GFX90A:TG_SPLIT: 0
	.section	.text._ZN12_GLOBAL__N_135rocblas_gemm_batched_general_kernelI19rocblas_complex_numIfELi16ELi16ELi32ELi32ELi8ELi32ELi8ELi8ELi32ELc78ELc67EKS2_S3_S2_EEvlllT_PT11_llS6_llS4_PT12_llPT13_lli,"axG",@progbits,_ZN12_GLOBAL__N_135rocblas_gemm_batched_general_kernelI19rocblas_complex_numIfELi16ELi16ELi32ELi32ELi8ELi32ELi8ELi8ELi32ELc78ELc67EKS2_S3_S2_EEvlllT_PT11_llS6_llS4_PT12_llPT13_lli,comdat
	.globl	_ZN12_GLOBAL__N_135rocblas_gemm_batched_general_kernelI19rocblas_complex_numIfELi16ELi16ELi32ELi32ELi8ELi32ELi8ELi8ELi32ELc78ELc67EKS2_S3_S2_EEvlllT_PT11_llS6_llS4_PT12_llPT13_lli ; -- Begin function _ZN12_GLOBAL__N_135rocblas_gemm_batched_general_kernelI19rocblas_complex_numIfELi16ELi16ELi32ELi32ELi8ELi32ELi8ELi8ELi32ELc78ELc67EKS2_S3_S2_EEvlllT_PT11_llS6_llS4_PT12_llPT13_lli
	.p2align	8
	.type	_ZN12_GLOBAL__N_135rocblas_gemm_batched_general_kernelI19rocblas_complex_numIfELi16ELi16ELi32ELi32ELi8ELi32ELi8ELi8ELi32ELc78ELc67EKS2_S3_S2_EEvlllT_PT11_llS6_llS4_PT12_llPT13_lli,@function
_ZN12_GLOBAL__N_135rocblas_gemm_batched_general_kernelI19rocblas_complex_numIfELi16ELi16ELi32ELi32ELi8ELi32ELi8ELi8ELi32ELc78ELc67EKS2_S3_S2_EEvlllT_PT11_llS6_llS4_PT12_llPT13_lli: ; @_ZN12_GLOBAL__N_135rocblas_gemm_batched_general_kernelI19rocblas_complex_numIfELi16ELi16ELi32ELi32ELi8ELi32ELi8ELi8ELi32ELc78ELc67EKS2_S3_S2_EEvlllT_PT11_llS6_llS4_PT12_llPT13_lli
; %bb.0:
	s_load_dwordx16 s[8:23], s[0:1], 0x0
	s_load_dwordx2 s[28:29], s[0:1], 0x50
	s_mov_b32 s36, s3
	v_mov_b32_e32 v23, 0
	s_ashr_i32 s3, s2, 31
	s_ashr_i32 s37, s36, 31
	s_waitcnt lgkmcnt(0)
	v_cmp_lt_i64_e64 s[6:7], s[12:13], 1
	v_and_b32_e32 v12, 0x3ff, v0
	v_bfe_u32 v22, v0, 10, 10
	v_mov_b32_e32 v13, v23
	s_lshl_b64 s[30:31], s[2:3], 5
	s_lshl_b64 s[34:35], s[36:37], 5
	s_and_b64 vcc, exec, s[6:7]
	v_mov_b32_e32 v21, v23
	v_mov_b32_e32 v20, v23
	v_mov_b32_e32 v19, v23
	v_mov_b32_e32 v18, v23
	v_mov_b32_e32 v17, v23
	v_mov_b32_e32 v16, v23
	v_mov_b32_e32 v15, v23
	v_mov_b32_e32 v14, v23
	s_cbranch_vccnz .LBB114_9
; %bb.1:
	v_lshl_add_u32 v6, v22, 4, v12
	v_mov_b32_e32 v25, 0
	s_load_dwordx4 s[24:27], s[0:1], 0x40
	v_lshrrev_b32_e32 v0, 3, v6
	v_mov_b32_e32 v1, v25
	v_lshl_add_u64 v[2:3], v[0:1], 0, s[34:35]
	v_and_b32_e32 v1, 31, v6
	v_and_b32_e32 v26, 7, v12
	v_or_b32_e32 v4, s30, v1
	v_mov_b32_e32 v5, s31
	v_cmp_gt_i64_e64 s[6:7], s[8:9], v[4:5]
	v_lshlrev_b32_e32 v4, 3, v1
	v_lshlrev_b32_e32 v1, 3, v26
	v_lshl_or_b32 v0, v0, 6, v1
	v_add_u32_e32 v45, 0x800, v0
	v_mov_b32_e32 v0, 0x800
	s_waitcnt lgkmcnt(0)
	s_mul_i32 s5, s27, s4
	s_mul_hi_u32 s27, s26, s4
	v_lshl_add_u32 v47, v22, 6, v0
	s_add_i32 s27, s27, s5
	s_mul_i32 s26, s26, s4
	v_mad_u64_u32 v[0:1], s[38:39], s24, v26, 0
	v_cmp_gt_i64_e32 vcc, s[10:11], v[2:3]
	s_lshl_b64 s[26:27], s[26:27], 3
	v_mov_b32_e32 v2, v1
	s_lshl_b64 s[36:37], s[36:37], 8
	v_mad_u64_u32 v[2:3], s[38:39], s25, v26, v[2:3]
	s_add_u32 s26, s36, s26
	v_mov_b32_e32 v1, v2
	s_addc_u32 s27, s37, s27
	v_lshl_add_u64 v[0:1], v[0:1], 3, s[26:27]
	v_and_b32_e32 v2, 0x7ff8, v6
	v_mov_b32_e32 v3, v25
	v_lshl_add_u64 v[0:1], v[0:1], 0, v[2:3]
	v_lshrrev_b32_e32 v24, 5, v6
	v_lshl_add_u64 v[0:1], s[22:23], 0, v[0:1]
	s_mul_i32 s5, s21, s4
	s_mul_hi_u32 s21, s20, s4
	v_lshl_add_u64 v[28:29], v[0:1], 0, 4
	s_lshl_b64 s[22:23], s[24:25], 6
	v_mad_u64_u32 v[0:1], s[24:25], s18, v24, 0
	s_add_i32 s21, s21, s5
	s_mul_i32 s20, s20, s4
	v_mov_b32_e32 v2, v1
	s_lshl_b64 s[20:21], s[20:21], 3
	s_lshl_b64 s[2:3], s[2:3], 8
	v_mad_u64_u32 v[2:3], s[24:25], s19, v24, v[2:3]
	s_add_u32 s2, s2, s20
	v_mov_b32_e32 v1, v2
	s_addc_u32 s3, s3, s21
	v_lshl_add_u64 v[0:1], v[0:1], 3, s[2:3]
	v_mov_b32_e32 v5, v25
	v_lshl_add_u64 v[0:1], v[0:1], 0, v[4:5]
	v_mov_b32_e32 v27, v25
	v_lshl_or_b32 v44, v24, 8, v4
	v_lshlrev_b32_e32 v46, 3, v12
	v_lshl_add_u64 v[30:31], s[16:17], 0, v[0:1]
	s_lshl_b64 s[2:3], s[18:19], 6
	s_mov_b64 s[16:17], 0
	s_xor_b64 s[18:19], vcc, -1
	v_mov_b64_e32 v[32:33], s[12:13]
	v_mov_b32_e32 v14, v25
	v_mov_b32_e32 v15, v25
	v_mov_b32_e32 v16, v25
	v_mov_b32_e32 v17, v25
	v_mov_b32_e32 v18, v25
	v_mov_b32_e32 v19, v25
	v_mov_b32_e32 v20, v25
	v_mov_b32_e32 v21, v25
	s_branch .LBB114_3
.LBB114_2:                              ;   in Loop: Header=BB114_3 Depth=1
	s_or_b64 exec, exec, s[20:21]
	ds_write_b32 v45, v0 offset:4
	s_waitcnt lgkmcnt(0)
	s_barrier
	ds_read2_b64 v[4:7], v46 offset1:16
	ds_read_b128 v[48:51], v47
	ds_read2_b64 v[8:11], v46 offset0:32 offset1:48
	ds_read_b128 v[0:3], v47 offset:16
	ds_read_b128 v[52:55], v47 offset:1024
	s_add_u32 s16, s16, 8
	s_waitcnt lgkmcnt(3)
	v_pk_mul_f32 v[36:37], v[48:49], v[4:5] op_sel:[0,1]
	v_pk_mul_f32 v[56:57], v[48:49], v[6:7] op_sel:[0,1]
	v_pk_fma_f32 v[34:35], v[48:49], v[4:5], v[36:37] op_sel:[0,0,1] op_sel_hi:[1,1,0] neg_lo:[0,0,1] neg_hi:[0,0,1]
	v_pk_fma_f32 v[36:37], v[48:49], v[4:5], v[36:37] op_sel:[0,0,1] op_sel_hi:[1,0,0]
	s_waitcnt lgkmcnt(2)
	v_pk_mul_f32 v[40:41], v[50:51], v[8:9] op_sel:[0,1]
	v_pk_fma_f32 v[42:43], v[48:49], v[6:7], v[56:57] op_sel:[0,0,1] op_sel_hi:[1,1,0] neg_lo:[0,0,1] neg_hi:[0,0,1]
	v_pk_fma_f32 v[68:69], v[48:49], v[6:7], v[56:57] op_sel:[0,0,1] op_sel_hi:[1,0,0]
	v_pk_mul_f32 v[48:49], v[50:51], v[10:11] op_sel:[0,1]
	v_pk_fma_f32 v[38:39], v[50:51], v[8:9], v[40:41] op_sel:[0,0,1] op_sel_hi:[1,1,0] neg_lo:[0,0,1] neg_hi:[0,0,1]
	v_pk_fma_f32 v[40:41], v[50:51], v[8:9], v[40:41] op_sel:[0,0,1] op_sel_hi:[1,0,0]
	v_pk_fma_f32 v[70:71], v[50:51], v[10:11], v[48:49] op_sel:[0,0,1] op_sel_hi:[1,1,0] neg_lo:[0,0,1] neg_hi:[0,0,1]
	v_pk_fma_f32 v[72:73], v[50:51], v[10:11], v[48:49] op_sel:[0,0,1] op_sel_hi:[1,0,0]
	ds_read_b128 v[48:51], v47 offset:1040
	s_waitcnt lgkmcnt(1)
	v_pk_mul_f32 v[56:57], v[52:53], v[4:5] op_sel:[0,1]
	v_mov_b32_e32 v43, v69
	v_pk_fma_f32 v[74:75], v[52:53], v[4:5], v[56:57] op_sel:[0,0,1] op_sel_hi:[1,1,0] neg_lo:[0,0,1] neg_hi:[0,0,1]
	v_pk_fma_f32 v[76:77], v[52:53], v[4:5], v[56:57] op_sel:[0,0,1] op_sel_hi:[1,0,0]
	v_pk_mul_f32 v[4:5], v[52:53], v[6:7] op_sel:[0,1]
	ds_read2_b64 v[56:59], v46 offset0:96 offset1:112
	v_pk_fma_f32 v[78:79], v[52:53], v[6:7], v[4:5] op_sel:[0,0,1] op_sel_hi:[1,1,0] neg_lo:[0,0,1] neg_hi:[0,0,1]
	v_pk_fma_f32 v[80:81], v[52:53], v[6:7], v[4:5] op_sel:[0,0,1] op_sel_hi:[1,0,0]
	v_pk_mul_f32 v[4:5], v[54:55], v[8:9] op_sel:[0,1]
	v_pk_add_f32 v[18:19], v[18:19], v[42:43]
	v_pk_fma_f32 v[82:83], v[54:55], v[8:9], v[4:5] op_sel:[0,0,1] op_sel_hi:[1,1,0] neg_lo:[0,0,1] neg_hi:[0,0,1]
	v_pk_fma_f32 v[84:85], v[54:55], v[8:9], v[4:5] op_sel:[0,0,1] op_sel_hi:[1,0,0]
	ds_read2_b64 v[4:7], v46 offset0:64 offset1:80
	v_pk_mul_f32 v[8:9], v[54:55], v[10:11] op_sel:[0,1]
	v_mov_b32_e32 v71, v73
	v_pk_fma_f32 v[86:87], v[54:55], v[10:11], v[8:9] op_sel:[0,0,1] op_sel_hi:[1,1,0] neg_lo:[0,0,1] neg_hi:[0,0,1]
	v_pk_fma_f32 v[88:89], v[54:55], v[10:11], v[8:9] op_sel:[0,0,1] op_sel_hi:[1,0,0]
	s_waitcnt lgkmcnt(0)
	v_pk_mul_f32 v[8:9], v[0:1], v[4:5] op_sel:[0,1]
	v_pk_mul_f32 v[60:61], v[0:1], v[6:7] op_sel:[0,1]
	v_pk_fma_f32 v[90:91], v[0:1], v[4:5], v[8:9] op_sel:[0,0,1] op_sel_hi:[1,1,0] neg_lo:[0,0,1] neg_hi:[0,0,1]
	v_pk_fma_f32 v[92:93], v[0:1], v[4:5], v[8:9] op_sel:[0,0,1] op_sel_hi:[1,0,0]
	v_pk_mul_f32 v[8:9], v[2:3], v[56:57] op_sel:[0,1]
	v_pk_fma_f32 v[98:99], v[0:1], v[6:7], v[60:61] op_sel:[0,0,1] op_sel_hi:[1,1,0] neg_lo:[0,0,1] neg_hi:[0,0,1]
	v_pk_fma_f32 v[94:95], v[2:3], v[56:57], v[8:9] op_sel:[0,0,1] op_sel_hi:[1,1,0] neg_lo:[0,0,1] neg_hi:[0,0,1]
	v_pk_fma_f32 v[96:97], v[2:3], v[56:57], v[8:9] op_sel:[0,0,1] op_sel_hi:[1,0,0]
	ds_read2_b64 v[8:11], v46 offset0:128 offset1:144
	ds_read_b128 v[52:55], v47 offset:32
	v_pk_fma_f32 v[100:101], v[0:1], v[6:7], v[60:61] op_sel:[0,0,1] op_sel_hi:[1,0,0]
	v_pk_mul_f32 v[0:1], v[2:3], v[58:59] op_sel:[0,1]
	v_pk_add_f32 v[18:19], v[18:19], v[70:71]
	v_pk_fma_f32 v[102:103], v[2:3], v[58:59], v[0:1] op_sel:[0,0,1] op_sel_hi:[1,1,0] neg_lo:[0,0,1] neg_hi:[0,0,1]
	s_waitcnt lgkmcnt(0)
	v_pk_mul_f32 v[60:61], v[52:53], v[8:9] op_sel:[0,1]
	v_pk_fma_f32 v[104:105], v[2:3], v[58:59], v[0:1] op_sel:[0,0,1] op_sel_hi:[1,0,0]
	v_pk_fma_f32 v[106:107], v[52:53], v[8:9], v[60:61] op_sel:[0,0,1] op_sel_hi:[1,1,0] neg_lo:[0,0,1] neg_hi:[0,0,1]
	v_pk_fma_f32 v[108:109], v[52:53], v[8:9], v[60:61] op_sel:[0,0,1] op_sel_hi:[1,0,0]
	ds_read2_b64 v[60:63], v46 offset0:160 offset1:176
	ds_read_b128 v[0:3], v47 offset:48
	v_mov_b32_e32 v99, v101
	v_pk_add_f32 v[18:19], v[18:19], v[98:99]
	v_mov_b32_e32 v103, v105
	s_waitcnt lgkmcnt(1)
	v_pk_mul_f32 v[64:65], v[54:55], v[60:61] op_sel:[0,1]
	v_pk_add_f32 v[18:19], v[18:19], v[102:103]
	v_pk_fma_f32 v[110:111], v[54:55], v[60:61], v[64:65] op_sel:[0,0,1] op_sel_hi:[1,1,0] neg_lo:[0,0,1] neg_hi:[0,0,1]
	v_pk_fma_f32 v[112:113], v[54:55], v[60:61], v[64:65] op_sel:[0,0,1] op_sel_hi:[1,0,0]
	v_pk_mul_f32 v[64:65], v[52:53], v[10:11] op_sel:[0,1]
	v_mov_b32_e32 v75, v77
	v_pk_fma_f32 v[114:115], v[52:53], v[10:11], v[64:65] op_sel:[0,0,1] op_sel_hi:[1,1,0] neg_lo:[0,0,1] neg_hi:[0,0,1]
	v_pk_fma_f32 v[116:117], v[52:53], v[10:11], v[64:65] op_sel:[0,0,1] op_sel_hi:[1,0,0]
	v_pk_mul_f32 v[52:53], v[54:55], v[62:63] op_sel:[0,1]
	v_mov_b32_e32 v115, v117
	v_pk_fma_f32 v[118:119], v[54:55], v[62:63], v[52:53] op_sel:[0,0,1] op_sel_hi:[1,1,0] neg_lo:[0,0,1] neg_hi:[0,0,1]
	v_pk_fma_f32 v[120:121], v[54:55], v[62:63], v[52:53] op_sel:[0,0,1] op_sel_hi:[1,0,0]
	ds_read2_b64 v[52:55], v46 offset0:192 offset1:208
	v_pk_add_f32 v[18:19], v[18:19], v[114:115]
	v_mov_b32_e32 v119, v121
	v_pk_add_f32 v[18:19], v[18:19], v[118:119]
	v_mov_b32_e32 v83, v85
	s_waitcnt lgkmcnt(0)
	v_pk_mul_f32 v[64:65], v[0:1], v[52:53] op_sel:[0,1]
	v_pk_mul_f32 v[130:131], v[0:1], v[54:55] op_sel:[0,1]
	v_pk_fma_f32 v[122:123], v[0:1], v[52:53], v[64:65] op_sel:[0,0,1] op_sel_hi:[1,1,0] neg_lo:[0,0,1] neg_hi:[0,0,1]
	v_pk_fma_f32 v[124:125], v[0:1], v[52:53], v[64:65] op_sel:[0,0,1] op_sel_hi:[1,0,0]
	ds_read2_b64 v[64:67], v46 offset0:224 offset1:240
	v_pk_fma_f32 v[132:133], v[0:1], v[54:55], v[130:131] op_sel:[0,0,1] op_sel_hi:[1,1,0] neg_lo:[0,0,1] neg_hi:[0,0,1]
	v_pk_fma_f32 v[0:1], v[0:1], v[54:55], v[130:131] op_sel:[0,0,1] op_sel_hi:[1,0,0]
	v_mov_b32_e32 v35, v37
	v_mov_b32_e32 v133, v1
	s_waitcnt lgkmcnt(0)
	v_pk_mul_f32 v[126:127], v[2:3], v[64:65] op_sel:[0,1]
	v_pk_mul_f32 v[130:131], v[2:3], v[66:67] op_sel:[0,1]
	v_pk_fma_f32 v[128:129], v[2:3], v[64:65], v[126:127] op_sel:[0,0,1] op_sel_hi:[1,1,0] neg_lo:[0,0,1] neg_hi:[0,0,1]
	v_pk_fma_f32 v[126:127], v[2:3], v[64:65], v[126:127] op_sel:[0,0,1] op_sel_hi:[1,0,0]
	v_pk_fma_f32 v[134:135], v[2:3], v[66:67], v[130:131] op_sel:[0,0,1] op_sel_hi:[1,1,0] neg_lo:[0,0,1] neg_hi:[0,0,1]
	v_pk_fma_f32 v[2:3], v[2:3], v[66:67], v[130:131] op_sel:[0,0,1] op_sel_hi:[1,0,0]
	v_pk_add_f32 v[0:1], v[18:19], v[132:133]
	v_mov_b32_e32 v135, v3
	v_pk_mul_f32 v[2:3], v[48:49], v[4:5] op_sel:[0,1]
	v_pk_add_f32 v[18:19], v[0:1], v[134:135]
	v_pk_add_f32 v[0:1], v[16:17], v[74:75]
	v_pk_fma_f32 v[16:17], v[48:49], v[4:5], v[2:3] op_sel:[0,0,1] op_sel_hi:[1,1,0] neg_lo:[0,0,1] neg_hi:[0,0,1]
	v_pk_fma_f32 v[2:3], v[48:49], v[4:5], v[2:3] op_sel:[0,0,1] op_sel_hi:[1,0,0]
	v_pk_add_f32 v[0:1], v[0:1], v[82:83]
	v_mov_b32_e32 v17, v3
	v_pk_add_f32 v[4:5], v[0:1], v[16:17]
	ds_read_b128 v[0:3], v47 offset:1056
	v_pk_mul_f32 v[16:17], v[50:51], v[56:57] op_sel:[0,1]
	v_pk_add_f32 v[20:21], v[20:21], v[34:35]
	v_pk_fma_f32 v[34:35], v[50:51], v[56:57], v[16:17] op_sel:[0,0,1] op_sel_hi:[1,1,0] neg_lo:[0,0,1] neg_hi:[0,0,1]
	v_pk_fma_f32 v[16:17], v[50:51], v[56:57], v[16:17] op_sel:[0,0,1] op_sel_hi:[1,0,0]
	v_mov_b32_e32 v39, v41
	v_mov_b32_e32 v35, v17
	v_pk_add_f32 v[4:5], v[4:5], v[34:35]
	ds_read_b128 v[34:37], v47 offset:1072
	s_waitcnt lgkmcnt(1)
	v_pk_mul_f32 v[16:17], v[0:1], v[8:9] op_sel:[0,1]
	v_pk_add_f32 v[20:21], v[20:21], v[38:39]
	v_pk_fma_f32 v[38:39], v[0:1], v[8:9], v[16:17] op_sel:[0,0,1] op_sel_hi:[1,1,0] neg_lo:[0,0,1] neg_hi:[0,0,1]
	v_pk_fma_f32 v[8:9], v[0:1], v[8:9], v[16:17] op_sel:[0,0,1] op_sel_hi:[1,0,0]
	v_mov_b32_e32 v79, v81
	v_mov_b32_e32 v39, v9
	v_pk_mul_f32 v[8:9], v[2:3], v[60:61] op_sel:[0,1]
	v_pk_add_f32 v[4:5], v[4:5], v[38:39]
	v_pk_fma_f32 v[16:17], v[2:3], v[60:61], v[8:9] op_sel:[0,0,1] op_sel_hi:[1,1,0] neg_lo:[0,0,1] neg_hi:[0,0,1]
	v_pk_fma_f32 v[8:9], v[2:3], v[60:61], v[8:9] op_sel:[0,0,1] op_sel_hi:[1,0,0]
	v_mov_b32_e32 v87, v89
	v_mov_b32_e32 v17, v9
	s_waitcnt lgkmcnt(0)
	v_pk_mul_f32 v[8:9], v[34:35], v[52:53] op_sel:[0,1]
	v_pk_add_f32 v[4:5], v[4:5], v[16:17]
	v_pk_fma_f32 v[16:17], v[34:35], v[52:53], v[8:9] op_sel:[0,0,1] op_sel_hi:[1,1,0] neg_lo:[0,0,1] neg_hi:[0,0,1]
	v_pk_fma_f32 v[8:9], v[34:35], v[52:53], v[8:9] op_sel:[0,0,1] op_sel_hi:[1,0,0]
	v_mov_b32_e32 v91, v93
	v_mov_b32_e32 v17, v9
	v_pk_mul_f32 v[8:9], v[36:37], v[64:65] op_sel:[0,1]
	v_pk_add_f32 v[4:5], v[4:5], v[16:17]
	v_pk_fma_f32 v[16:17], v[36:37], v[64:65], v[8:9] op_sel:[0,0,1] op_sel_hi:[1,1,0] neg_lo:[0,0,1] neg_hi:[0,0,1]
	v_pk_fma_f32 v[8:9], v[36:37], v[64:65], v[8:9] op_sel:[0,0,1] op_sel_hi:[1,0,0]
	v_pk_add_f32 v[20:21], v[20:21], v[90:91]
	v_mov_b32_e32 v17, v9
	v_pk_mul_f32 v[8:9], v[48:49], v[6:7] op_sel:[0,1]
	v_pk_add_f32 v[16:17], v[4:5], v[16:17]
	v_pk_add_f32 v[4:5], v[14:15], v[78:79]
	v_pk_fma_f32 v[14:15], v[48:49], v[6:7], v[8:9] op_sel:[0,0,1] op_sel_hi:[1,1,0] neg_lo:[0,0,1] neg_hi:[0,0,1]
	v_pk_fma_f32 v[6:7], v[48:49], v[6:7], v[8:9] op_sel:[0,0,1] op_sel_hi:[1,0,0]
	v_pk_add_f32 v[4:5], v[4:5], v[86:87]
	v_mov_b32_e32 v15, v7
	v_pk_mul_f32 v[6:7], v[50:51], v[58:59] op_sel:[0,1]
	v_pk_add_f32 v[4:5], v[4:5], v[14:15]
	v_pk_fma_f32 v[8:9], v[50:51], v[58:59], v[6:7] op_sel:[0,0,1] op_sel_hi:[1,1,0] neg_lo:[0,0,1] neg_hi:[0,0,1]
	v_pk_fma_f32 v[6:7], v[50:51], v[58:59], v[6:7] op_sel:[0,0,1] op_sel_hi:[1,0,0]
	v_mov_b32_e32 v95, v97
	v_mov_b32_e32 v9, v7
	v_pk_mul_f32 v[6:7], v[0:1], v[10:11] op_sel:[0,1]
	v_pk_add_f32 v[4:5], v[4:5], v[8:9]
	v_pk_fma_f32 v[8:9], v[0:1], v[10:11], v[6:7] op_sel:[0,0,1] op_sel_hi:[1,1,0] neg_lo:[0,0,1] neg_hi:[0,0,1]
	v_pk_fma_f32 v[0:1], v[0:1], v[10:11], v[6:7] op_sel:[0,0,1] op_sel_hi:[1,0,0]
	v_pk_add_f32 v[20:21], v[20:21], v[94:95]
	v_mov_b32_e32 v9, v1
	v_pk_add_f32 v[0:1], v[4:5], v[8:9]
	v_pk_mul_f32 v[4:5], v[2:3], v[62:63] op_sel:[0,1]
	v_mov_b32_e32 v107, v109
	v_pk_fma_f32 v[6:7], v[2:3], v[62:63], v[4:5] op_sel:[0,0,1] op_sel_hi:[1,1,0] neg_lo:[0,0,1] neg_hi:[0,0,1]
	v_pk_fma_f32 v[2:3], v[2:3], v[62:63], v[4:5] op_sel:[0,0,1] op_sel_hi:[1,0,0]
	v_pk_add_f32 v[20:21], v[20:21], v[106:107]
	v_mov_b32_e32 v7, v3
	v_pk_mul_f32 v[2:3], v[34:35], v[54:55] op_sel:[0,1]
	v_mov_b32_e32 v111, v113
	v_pk_fma_f32 v[4:5], v[34:35], v[54:55], v[2:3] op_sel:[0,0,1] op_sel_hi:[1,1,0] neg_lo:[0,0,1] neg_hi:[0,0,1]
	v_pk_fma_f32 v[2:3], v[34:35], v[54:55], v[2:3] op_sel:[0,0,1] op_sel_hi:[1,0,0]
	v_pk_add_f32 v[0:1], v[0:1], v[6:7]
	v_mov_b32_e32 v5, v3
	v_pk_mul_f32 v[2:3], v[36:37], v[66:67] op_sel:[0,1]
	v_pk_add_f32 v[20:21], v[20:21], v[110:111]
	v_mov_b32_e32 v123, v125
	v_pk_add_f32 v[0:1], v[0:1], v[4:5]
	v_pk_fma_f32 v[4:5], v[36:37], v[66:67], v[2:3] op_sel:[0,0,1] op_sel_hi:[1,1,0] neg_lo:[0,0,1] neg_hi:[0,0,1]
	v_pk_fma_f32 v[2:3], v[36:37], v[66:67], v[2:3] op_sel:[0,0,1] op_sel_hi:[1,0,0]
	s_addc_u32 s17, s17, 0
	v_pk_add_f32 v[20:21], v[20:21], v[122:123]
	v_mov_b32_e32 v129, v127
	v_mov_b32_e32 v5, v3
	v_cmp_lt_i64_e32 vcc, s[16:17], v[32:33]
	v_pk_add_f32 v[20:21], v[20:21], v[128:129]
	v_pk_add_f32 v[14:15], v[0:1], v[4:5]
	v_lshl_add_u64 v[28:29], v[28:29], 0, s[22:23]
	v_lshl_add_u64 v[30:31], v[30:31], 0, s[2:3]
	s_barrier
	s_cbranch_vccz .LBB114_9
.LBB114_3:                              ; =>This Inner Loop Header: Depth=1
	v_lshl_add_u64 v[0:1], v[24:25], 0, s[16:17]
	v_cmp_gt_i64_e32 vcc, s[12:13], v[0:1]
	s_and_b64 s[24:25], s[6:7], vcc
	v_mov_b32_e32 v0, 0
	v_mov_b32_e32 v1, 0
	s_and_saveexec_b64 s[20:21], s[24:25]
	s_cbranch_execz .LBB114_5
; %bb.4:                                ;   in Loop: Header=BB114_3 Depth=1
	global_load_dwordx2 v[0:1], v[30:31], off
.LBB114_5:                              ;   in Loop: Header=BB114_3 Depth=1
	s_or_b64 exec, exec, s[20:21]
	s_waitcnt vmcnt(0)
	ds_write_b64 v44, v[0:1]
	v_lshl_add_u64 v[0:1], v[26:27], 0, s[16:17]
	v_cmp_le_i64_e32 vcc, s[12:13], v[0:1]
	s_or_b64 s[20:21], vcc, s[18:19]
	s_and_saveexec_b64 s[24:25], s[20:21]
	s_xor_b64 s[20:21], exec, s[24:25]
; %bb.6:                                ;   in Loop: Header=BB114_3 Depth=1
	ds_write_b32 v45, v25
; %bb.7:                                ;   in Loop: Header=BB114_3 Depth=1
	s_or_saveexec_b64 s[20:21], s[20:21]
	v_mov_b32_e32 v0, 0
	s_xor_b64 exec, exec, s[20:21]
	s_cbranch_execz .LBB114_2
; %bb.8:                                ;   in Loop: Header=BB114_3 Depth=1
	global_load_dwordx2 v[2:3], v[28:29], off offset:-4
	s_waitcnt vmcnt(0)
	v_xor_b32_e32 v0, 0x80000000, v3
	ds_write_b32 v45, v2
	s_branch .LBB114_2
.LBB114_9:
	s_load_dwordx4 s[24:27], s[0:1], 0x78
	s_load_dwordx8 s[16:23], s[0:1], 0x58
	v_lshl_add_u64 v[0:1], s[34:35], 0, v[22:23]
	s_waitcnt lgkmcnt(0)
	s_mul_i32 s1, s27, s4
	s_mul_hi_u32 s2, s26, s4
	s_mul_i32 s0, s26, s4
	s_add_i32 s1, s2, s1
	s_lshl_b64 s[0:1], s[0:1], 3
	s_add_u32 s12, s22, s0
	s_addc_u32 s13, s23, s1
	s_or_b32 s0, s28, s29
	s_bitset0_b32 s0, 31
	s_cmp_lg_u32 s0, 0
	v_cmp_gt_i64_e64 s[0:1], s[10:11], v[0:1]
	s_mov_b64 s[2:3], -1
	s_cbranch_scc1 .LBB114_21
; %bb.10:
	s_and_saveexec_b64 s[22:23], s[0:1]
	s_cbranch_execz .LBB114_20
; %bb.11:
	v_mul_lo_u32 v6, v1, s24
	v_mul_lo_u32 v7, v0, s25
	v_mad_u64_u32 v[4:5], s[2:3], v0, s24, 0
	v_add3_u32 v5, v5, v7, v6
	v_lshl_add_u64 v[2:3], s[30:31], 0, v[12:13]
	v_lshl_add_u64 v[4:5], v[4:5], 3, s[12:13]
	v_cmp_gt_i64_e32 vcc, s[8:9], v[2:3]
	s_mov_b32 s26, s14
	s_mov_b32 s27, s14
	;; [unrolled: 1-line block ×4, first 2 shown]
	v_lshl_add_u64 v[6:7], v[2:3], 3, v[4:5]
	s_and_saveexec_b64 s[2:3], vcc
	s_cbranch_execz .LBB114_13
; %bb.12:
	v_pk_mul_f32 v[8:9], v[20:21], s[34:35]
	s_nop 0
	v_pk_fma_f32 v[10:11], v[20:21], s[26:27], v[8:9] op_sel:[0,0,1] op_sel_hi:[1,1,0] neg_lo:[0,0,1] neg_hi:[0,0,1]
	v_pk_fma_f32 v[8:9], v[20:21], s[26:27], v[8:9] op_sel:[0,0,1] op_sel_hi:[1,1,0]
	s_nop 0
	v_mov_b32_e32 v11, v9
	global_store_dwordx2 v[6:7], v[10:11], off
.LBB114_13:
	s_or_b64 exec, exec, s[2:3]
	v_lshl_add_u64 v[8:9], v[2:3], 0, 16
	v_cmp_gt_i64_e64 s[2:3], s[8:9], v[8:9]
	s_and_saveexec_b64 s[6:7], s[2:3]
	s_cbranch_execz .LBB114_15
; %bb.14:
	v_pk_mul_f32 v[8:9], v[18:19], s[34:35]
	s_nop 0
	v_pk_fma_f32 v[10:11], v[18:19], s[26:27], v[8:9] op_sel:[0,0,1] op_sel_hi:[1,1,0] neg_lo:[0,0,1] neg_hi:[0,0,1]
	v_pk_fma_f32 v[8:9], v[18:19], s[26:27], v[8:9] op_sel:[0,0,1] op_sel_hi:[1,1,0]
	s_nop 0
	v_mov_b32_e32 v11, v9
	global_store_dwordx2 v[6:7], v[10:11], off offset:128
.LBB114_15:
	s_or_b64 exec, exec, s[6:7]
	v_lshl_add_u64 v[6:7], v[0:1], 0, 16
	v_cmp_gt_i64_e64 s[6:7], s[10:11], v[6:7]
	s_and_b64 exec, exec, s[6:7]
	s_cbranch_execz .LBB114_20
; %bb.16:
	s_lshl_b64 s[6:7], s[24:25], 7
	v_lshl_add_u64 v[4:5], v[4:5], 0, s[6:7]
	v_lshl_add_u64 v[2:3], v[2:3], 3, v[4:5]
	s_and_saveexec_b64 s[6:7], vcc
	s_cbranch_execz .LBB114_18
; %bb.17:
	v_pk_mul_f32 v[4:5], v[16:17], s[34:35]
	s_nop 0
	v_pk_fma_f32 v[6:7], v[16:17], s[26:27], v[4:5] op_sel:[0,0,1] op_sel_hi:[1,1,0] neg_lo:[0,0,1] neg_hi:[0,0,1]
	v_pk_fma_f32 v[4:5], v[16:17], s[26:27], v[4:5] op_sel:[0,0,1] op_sel_hi:[1,1,0]
	s_nop 0
	v_mov_b32_e32 v7, v5
	global_store_dwordx2 v[2:3], v[6:7], off
.LBB114_18:
	s_or_b64 exec, exec, s[6:7]
	s_and_b64 exec, exec, s[2:3]
	s_cbranch_execz .LBB114_20
; %bb.19:
	v_pk_mul_f32 v[4:5], v[14:15], s[34:35]
	s_nop 0
	v_pk_fma_f32 v[6:7], v[14:15], s[26:27], v[4:5] op_sel:[0,0,1] op_sel_hi:[1,1,0] neg_lo:[0,0,1] neg_hi:[0,0,1]
	v_pk_fma_f32 v[4:5], v[14:15], s[26:27], v[4:5] op_sel:[0,0,1] op_sel_hi:[1,1,0]
	s_nop 0
	v_mov_b32_e32 v7, v5
	global_store_dwordx2 v[2:3], v[6:7], off offset:128
.LBB114_20:
	s_or_b64 exec, exec, s[22:23]
	s_mov_b64 s[2:3], 0
.LBB114_21:
	s_andn2_b64 vcc, exec, s[2:3]
	s_cbranch_vccnz .LBB114_32
; %bb.22:
	s_and_saveexec_b64 s[2:3], s[0:1]
	s_cbranch_execz .LBB114_32
; %bb.23:
	s_mul_i32 s0, s21, s4
	s_mul_hi_u32 s1, s20, s4
	s_add_i32 s1, s1, s0
	s_mul_i32 s0, s20, s4
	s_lshl_b64 s[0:1], s[0:1], 3
	v_mul_lo_u32 v4, v1, s18
	v_mul_lo_u32 v5, v0, s19
	v_mad_u64_u32 v[2:3], s[2:3], v0, s18, 0
	s_add_u32 s0, s16, s0
	v_add3_u32 v3, v3, v5, v4
	v_mul_lo_u32 v6, v1, s24
	v_mul_lo_u32 v7, v0, s25
	v_mad_u64_u32 v[4:5], s[2:3], v0, s24, 0
	s_addc_u32 s1, s17, s1
	v_lshl_add_u64 v[8:9], s[30:31], 0, v[12:13]
	v_add3_u32 v5, v5, v7, v6
	v_cmp_gt_i64_e32 vcc, s[8:9], v[8:9]
	s_mov_b32 s4, s14
	s_mov_b32 s5, s14
	;; [unrolled: 1-line block ×6, first 2 shown]
	v_lshl_add_u64 v[6:7], v[2:3], 3, s[0:1]
	v_lshl_add_u64 v[4:5], v[4:5], 3, s[12:13]
	v_lshlrev_b64 v[2:3], 3, v[8:9]
	s_and_saveexec_b64 s[0:1], vcc
	s_cbranch_execz .LBB114_25
; %bb.24:
	v_lshl_add_u64 v[10:11], v[6:7], 0, v[2:3]
	global_load_dwordx2 v[10:11], v[10:11], off
	v_pk_mul_f32 v[22:23], v[20:21], s[14:15]
	v_lshl_add_u64 v[12:13], v[4:5], 0, v[2:3]
	v_pk_fma_f32 v[24:25], v[20:21], s[4:5], v[22:23] op_sel:[0,0,1] op_sel_hi:[1,1,0] neg_lo:[0,0,1] neg_hi:[0,0,1]
	v_pk_fma_f32 v[20:21], v[20:21], s[4:5], v[22:23] op_sel:[0,0,1] op_sel_hi:[1,1,0]
	s_nop 0
	v_mov_b32_e32 v25, v21
	s_waitcnt vmcnt(0)
	v_pk_mul_f32 v[20:21], v[10:11], s[28:29]
	s_nop 0
	v_pk_fma_f32 v[22:23], v[10:11], s[6:7], v[20:21] op_sel:[0,0,1] op_sel_hi:[1,1,0] neg_lo:[0,0,1] neg_hi:[0,0,1]
	v_pk_fma_f32 v[10:11], v[10:11], s[6:7], v[20:21] op_sel:[0,0,1] op_sel_hi:[1,1,0]
	s_nop 0
	v_mov_b32_e32 v23, v11
	v_pk_add_f32 v[10:11], v[24:25], v[22:23]
	global_store_dwordx2 v[12:13], v[10:11], off
.LBB114_25:
	s_or_b64 exec, exec, s[0:1]
	v_lshl_add_u64 v[8:9], v[8:9], 0, 16
	v_cmp_gt_i64_e64 s[0:1], s[8:9], v[8:9]
	s_and_saveexec_b64 s[2:3], s[0:1]
	s_cbranch_execz .LBB114_27
; %bb.26:
	v_lshl_add_u64 v[8:9], v[6:7], 0, v[2:3]
	global_load_dwordx2 v[8:9], v[8:9], off offset:128
	v_pk_mul_f32 v[12:13], v[18:19], s[14:15]
	v_lshl_add_u64 v[10:11], v[4:5], 0, v[2:3]
	v_pk_fma_f32 v[20:21], v[18:19], s[4:5], v[12:13] op_sel:[0,0,1] op_sel_hi:[1,1,0] neg_lo:[0,0,1] neg_hi:[0,0,1]
	v_pk_fma_f32 v[12:13], v[18:19], s[4:5], v[12:13] op_sel:[0,0,1] op_sel_hi:[1,1,0]
	s_nop 0
	v_mov_b32_e32 v21, v13
	s_waitcnt vmcnt(0)
	v_pk_mul_f32 v[12:13], v[8:9], s[28:29]
	s_nop 0
	v_pk_fma_f32 v[18:19], v[8:9], s[6:7], v[12:13] op_sel:[0,0,1] op_sel_hi:[1,1,0] neg_lo:[0,0,1] neg_hi:[0,0,1]
	v_pk_fma_f32 v[8:9], v[8:9], s[6:7], v[12:13] op_sel:[0,0,1] op_sel_hi:[1,1,0]
	s_nop 0
	v_mov_b32_e32 v19, v9
	v_pk_add_f32 v[8:9], v[20:21], v[18:19]
	global_store_dwordx2 v[10:11], v[8:9], off offset:128
.LBB114_27:
	s_or_b64 exec, exec, s[2:3]
	v_lshl_add_u64 v[0:1], v[0:1], 0, 16
	v_cmp_gt_i64_e64 s[2:3], s[10:11], v[0:1]
	s_and_b64 exec, exec, s[2:3]
	s_cbranch_execz .LBB114_32
; %bb.28:
	s_lshl_b64 s[2:3], s[18:19], 7
	v_lshl_add_u64 v[0:1], v[6:7], 0, s[2:3]
	s_lshl_b64 s[2:3], s[24:25], 7
	v_lshl_add_u64 v[6:7], v[4:5], 0, s[2:3]
	v_lshl_add_u64 v[4:5], v[0:1], 0, v[2:3]
	;; [unrolled: 1-line block ×3, first 2 shown]
	s_and_saveexec_b64 s[2:3], vcc
	s_cbranch_execz .LBB114_30
; %bb.29:
	global_load_dwordx2 v[2:3], v[4:5], off
	v_pk_mul_f32 v[6:7], v[16:17], s[14:15]
	s_nop 0
	v_pk_fma_f32 v[8:9], v[16:17], s[4:5], v[6:7] op_sel:[0,0,1] op_sel_hi:[1,1,0] neg_lo:[0,0,1] neg_hi:[0,0,1]
	v_pk_fma_f32 v[6:7], v[16:17], s[4:5], v[6:7] op_sel:[0,0,1] op_sel_hi:[1,1,0]
	s_nop 0
	v_mov_b32_e32 v9, v7
	s_waitcnt vmcnt(0)
	v_pk_mul_f32 v[6:7], v[2:3], s[28:29]
	s_nop 0
	v_pk_fma_f32 v[10:11], v[2:3], s[6:7], v[6:7] op_sel:[0,0,1] op_sel_hi:[1,1,0] neg_lo:[0,0,1] neg_hi:[0,0,1]
	v_pk_fma_f32 v[2:3], v[2:3], s[6:7], v[6:7] op_sel:[0,0,1] op_sel_hi:[1,1,0]
	s_nop 0
	v_mov_b32_e32 v11, v3
	v_pk_add_f32 v[2:3], v[8:9], v[10:11]
	global_store_dwordx2 v[0:1], v[2:3], off
.LBB114_30:
	s_or_b64 exec, exec, s[2:3]
	s_and_b64 exec, exec, s[0:1]
	s_cbranch_execz .LBB114_32
; %bb.31:
	global_load_dwordx2 v[2:3], v[4:5], off offset:128
	v_pk_mul_f32 v[4:5], v[14:15], s[14:15]
	s_nop 0
	v_pk_fma_f32 v[6:7], v[14:15], s[4:5], v[4:5] op_sel:[0,0,1] op_sel_hi:[1,1,0] neg_lo:[0,0,1] neg_hi:[0,0,1]
	v_pk_fma_f32 v[4:5], v[14:15], s[4:5], v[4:5] op_sel:[0,0,1] op_sel_hi:[1,1,0]
	s_nop 0
	v_mov_b32_e32 v7, v5
	s_waitcnt vmcnt(0)
	v_pk_mul_f32 v[4:5], v[2:3], s[28:29]
	s_nop 0
	v_pk_fma_f32 v[8:9], v[2:3], s[6:7], v[4:5] op_sel:[0,0,1] op_sel_hi:[1,1,0] neg_lo:[0,0,1] neg_hi:[0,0,1]
	v_pk_fma_f32 v[2:3], v[2:3], s[6:7], v[4:5] op_sel:[0,0,1] op_sel_hi:[1,1,0]
	s_nop 0
	v_mov_b32_e32 v9, v3
	v_pk_add_f32 v[2:3], v[6:7], v[8:9]
	global_store_dwordx2 v[0:1], v[2:3], off offset:128
.LBB114_32:
	s_endpgm
	.section	.rodata,"a",@progbits
	.p2align	6, 0x0
	.amdhsa_kernel _ZN12_GLOBAL__N_135rocblas_gemm_batched_general_kernelI19rocblas_complex_numIfELi16ELi16ELi32ELi32ELi8ELi32ELi8ELi8ELi32ELc78ELc67EKS2_S3_S2_EEvlllT_PT11_llS6_llS4_PT12_llPT13_lli
		.amdhsa_group_segment_fixed_size 4096
		.amdhsa_private_segment_fixed_size 0
		.amdhsa_kernarg_size 140
		.amdhsa_user_sgpr_count 2
		.amdhsa_user_sgpr_dispatch_ptr 0
		.amdhsa_user_sgpr_queue_ptr 0
		.amdhsa_user_sgpr_kernarg_segment_ptr 1
		.amdhsa_user_sgpr_dispatch_id 0
		.amdhsa_user_sgpr_kernarg_preload_length 0
		.amdhsa_user_sgpr_kernarg_preload_offset 0
		.amdhsa_user_sgpr_private_segment_size 0
		.amdhsa_uses_dynamic_stack 0
		.amdhsa_enable_private_segment 0
		.amdhsa_system_sgpr_workgroup_id_x 1
		.amdhsa_system_sgpr_workgroup_id_y 1
		.amdhsa_system_sgpr_workgroup_id_z 1
		.amdhsa_system_sgpr_workgroup_info 0
		.amdhsa_system_vgpr_workitem_id 1
		.amdhsa_next_free_vgpr 136
		.amdhsa_next_free_sgpr 40
		.amdhsa_accum_offset 136
		.amdhsa_reserve_vcc 1
		.amdhsa_float_round_mode_32 0
		.amdhsa_float_round_mode_16_64 0
		.amdhsa_float_denorm_mode_32 3
		.amdhsa_float_denorm_mode_16_64 3
		.amdhsa_dx10_clamp 1
		.amdhsa_ieee_mode 1
		.amdhsa_fp16_overflow 0
		.amdhsa_tg_split 0
		.amdhsa_exception_fp_ieee_invalid_op 0
		.amdhsa_exception_fp_denorm_src 0
		.amdhsa_exception_fp_ieee_div_zero 0
		.amdhsa_exception_fp_ieee_overflow 0
		.amdhsa_exception_fp_ieee_underflow 0
		.amdhsa_exception_fp_ieee_inexact 0
		.amdhsa_exception_int_div_zero 0
	.end_amdhsa_kernel
	.section	.text._ZN12_GLOBAL__N_135rocblas_gemm_batched_general_kernelI19rocblas_complex_numIfELi16ELi16ELi32ELi32ELi8ELi32ELi8ELi8ELi32ELc78ELc67EKS2_S3_S2_EEvlllT_PT11_llS6_llS4_PT12_llPT13_lli,"axG",@progbits,_ZN12_GLOBAL__N_135rocblas_gemm_batched_general_kernelI19rocblas_complex_numIfELi16ELi16ELi32ELi32ELi8ELi32ELi8ELi8ELi32ELc78ELc67EKS2_S3_S2_EEvlllT_PT11_llS6_llS4_PT12_llPT13_lli,comdat
.Lfunc_end114:
	.size	_ZN12_GLOBAL__N_135rocblas_gemm_batched_general_kernelI19rocblas_complex_numIfELi16ELi16ELi32ELi32ELi8ELi32ELi8ELi8ELi32ELc78ELc67EKS2_S3_S2_EEvlllT_PT11_llS6_llS4_PT12_llPT13_lli, .Lfunc_end114-_ZN12_GLOBAL__N_135rocblas_gemm_batched_general_kernelI19rocblas_complex_numIfELi16ELi16ELi32ELi32ELi8ELi32ELi8ELi8ELi32ELc78ELc67EKS2_S3_S2_EEvlllT_PT11_llS6_llS4_PT12_llPT13_lli
                                        ; -- End function
	.set _ZN12_GLOBAL__N_135rocblas_gemm_batched_general_kernelI19rocblas_complex_numIfELi16ELi16ELi32ELi32ELi8ELi32ELi8ELi8ELi32ELc78ELc67EKS2_S3_S2_EEvlllT_PT11_llS6_llS4_PT12_llPT13_lli.num_vgpr, 136
	.set _ZN12_GLOBAL__N_135rocblas_gemm_batched_general_kernelI19rocblas_complex_numIfELi16ELi16ELi32ELi32ELi8ELi32ELi8ELi8ELi32ELc78ELc67EKS2_S3_S2_EEvlllT_PT11_llS6_llS4_PT12_llPT13_lli.num_agpr, 0
	.set _ZN12_GLOBAL__N_135rocblas_gemm_batched_general_kernelI19rocblas_complex_numIfELi16ELi16ELi32ELi32ELi8ELi32ELi8ELi8ELi32ELc78ELc67EKS2_S3_S2_EEvlllT_PT11_llS6_llS4_PT12_llPT13_lli.numbered_sgpr, 40
	.set _ZN12_GLOBAL__N_135rocblas_gemm_batched_general_kernelI19rocblas_complex_numIfELi16ELi16ELi32ELi32ELi8ELi32ELi8ELi8ELi32ELc78ELc67EKS2_S3_S2_EEvlllT_PT11_llS6_llS4_PT12_llPT13_lli.num_named_barrier, 0
	.set _ZN12_GLOBAL__N_135rocblas_gemm_batched_general_kernelI19rocblas_complex_numIfELi16ELi16ELi32ELi32ELi8ELi32ELi8ELi8ELi32ELc78ELc67EKS2_S3_S2_EEvlllT_PT11_llS6_llS4_PT12_llPT13_lli.private_seg_size, 0
	.set _ZN12_GLOBAL__N_135rocblas_gemm_batched_general_kernelI19rocblas_complex_numIfELi16ELi16ELi32ELi32ELi8ELi32ELi8ELi8ELi32ELc78ELc67EKS2_S3_S2_EEvlllT_PT11_llS6_llS4_PT12_llPT13_lli.uses_vcc, 1
	.set _ZN12_GLOBAL__N_135rocblas_gemm_batched_general_kernelI19rocblas_complex_numIfELi16ELi16ELi32ELi32ELi8ELi32ELi8ELi8ELi32ELc78ELc67EKS2_S3_S2_EEvlllT_PT11_llS6_llS4_PT12_llPT13_lli.uses_flat_scratch, 0
	.set _ZN12_GLOBAL__N_135rocblas_gemm_batched_general_kernelI19rocblas_complex_numIfELi16ELi16ELi32ELi32ELi8ELi32ELi8ELi8ELi32ELc78ELc67EKS2_S3_S2_EEvlllT_PT11_llS6_llS4_PT12_llPT13_lli.has_dyn_sized_stack, 0
	.set _ZN12_GLOBAL__N_135rocblas_gemm_batched_general_kernelI19rocblas_complex_numIfELi16ELi16ELi32ELi32ELi8ELi32ELi8ELi8ELi32ELc78ELc67EKS2_S3_S2_EEvlllT_PT11_llS6_llS4_PT12_llPT13_lli.has_recursion, 0
	.set _ZN12_GLOBAL__N_135rocblas_gemm_batched_general_kernelI19rocblas_complex_numIfELi16ELi16ELi32ELi32ELi8ELi32ELi8ELi8ELi32ELc78ELc67EKS2_S3_S2_EEvlllT_PT11_llS6_llS4_PT12_llPT13_lli.has_indirect_call, 0
	.section	.AMDGPU.csdata,"",@progbits
; Kernel info:
; codeLenInByte = 3168
; TotalNumSgprs: 46
; NumVgprs: 136
; NumAgprs: 0
; TotalNumVgprs: 136
; ScratchSize: 0
; MemoryBound: 0
; FloatMode: 240
; IeeeMode: 1
; LDSByteSize: 4096 bytes/workgroup (compile time only)
; SGPRBlocks: 5
; VGPRBlocks: 16
; NumSGPRsForWavesPerEU: 46
; NumVGPRsForWavesPerEU: 136
; AccumOffset: 136
; Occupancy: 3
; WaveLimiterHint : 1
; COMPUTE_PGM_RSRC2:SCRATCH_EN: 0
; COMPUTE_PGM_RSRC2:USER_SGPR: 2
; COMPUTE_PGM_RSRC2:TRAP_HANDLER: 0
; COMPUTE_PGM_RSRC2:TGID_X_EN: 1
; COMPUTE_PGM_RSRC2:TGID_Y_EN: 1
; COMPUTE_PGM_RSRC2:TGID_Z_EN: 1
; COMPUTE_PGM_RSRC2:TIDIG_COMP_CNT: 1
; COMPUTE_PGM_RSRC3_GFX90A:ACCUM_OFFSET: 33
; COMPUTE_PGM_RSRC3_GFX90A:TG_SPLIT: 0
	.section	.text._ZN12_GLOBAL__N_135rocblas_gemm_batched_general_kernelI19rocblas_complex_numIfELi16ELi16ELi32ELi32ELi8ELi32ELi8ELi8ELi32ELc84ELc67EKS2_S3_S2_EEvlllT_PT11_llS6_llS4_PT12_llPT13_lli,"axG",@progbits,_ZN12_GLOBAL__N_135rocblas_gemm_batched_general_kernelI19rocblas_complex_numIfELi16ELi16ELi32ELi32ELi8ELi32ELi8ELi8ELi32ELc84ELc67EKS2_S3_S2_EEvlllT_PT11_llS6_llS4_PT12_llPT13_lli,comdat
	.globl	_ZN12_GLOBAL__N_135rocblas_gemm_batched_general_kernelI19rocblas_complex_numIfELi16ELi16ELi32ELi32ELi8ELi32ELi8ELi8ELi32ELc84ELc67EKS2_S3_S2_EEvlllT_PT11_llS6_llS4_PT12_llPT13_lli ; -- Begin function _ZN12_GLOBAL__N_135rocblas_gemm_batched_general_kernelI19rocblas_complex_numIfELi16ELi16ELi32ELi32ELi8ELi32ELi8ELi8ELi32ELc84ELc67EKS2_S3_S2_EEvlllT_PT11_llS6_llS4_PT12_llPT13_lli
	.p2align	8
	.type	_ZN12_GLOBAL__N_135rocblas_gemm_batched_general_kernelI19rocblas_complex_numIfELi16ELi16ELi32ELi32ELi8ELi32ELi8ELi8ELi32ELc84ELc67EKS2_S3_S2_EEvlllT_PT11_llS6_llS4_PT12_llPT13_lli,@function
_ZN12_GLOBAL__N_135rocblas_gemm_batched_general_kernelI19rocblas_complex_numIfELi16ELi16ELi32ELi32ELi8ELi32ELi8ELi8ELi32ELc84ELc67EKS2_S3_S2_EEvlllT_PT11_llS6_llS4_PT12_llPT13_lli: ; @_ZN12_GLOBAL__N_135rocblas_gemm_batched_general_kernelI19rocblas_complex_numIfELi16ELi16ELi32ELi32ELi8ELi32ELi8ELi8ELi32ELc84ELc67EKS2_S3_S2_EEvlllT_PT11_llS6_llS4_PT12_llPT13_lli
; %bb.0:
	s_load_dwordx16 s[8:23], s[0:1], 0x0
	s_load_dwordx2 s[28:29], s[0:1], 0x50
	s_mov_b32 s34, s3
	s_ashr_i32 s3, s2, 31
	v_mov_b32_e32 v23, 0
	s_lshl_b64 s[30:31], s[2:3], 5
	s_ashr_i32 s35, s34, 31
	s_waitcnt lgkmcnt(0)
	v_cmp_lt_i64_e64 s[2:3], s[12:13], 1
	v_and_b32_e32 v12, 0x3ff, v0
	v_bfe_u32 v22, v0, 10, 10
	v_mov_b32_e32 v13, v23
	s_lshl_b64 s[6:7], s[34:35], 5
	s_and_b64 vcc, exec, s[2:3]
	v_mov_b32_e32 v21, v23
	v_mov_b32_e32 v20, v23
	;; [unrolled: 1-line block ×8, first 2 shown]
	s_cbranch_vccnz .LBB115_9
; %bb.1:
	s_load_dwordx4 s[24:27], s[0:1], 0x40
	v_lshl_add_u32 v8, v22, 4, v12
	v_mov_b32_e32 v25, 0
	v_lshrrev_b32_e32 v0, 3, v8
	v_mov_b32_e32 v1, v25
	v_and_b32_e32 v4, 31, v8
	v_lshrrev_b32_e32 v24, 5, v8
	v_and_b32_e32 v26, 7, v12
	v_lshl_add_u64 v[2:3], v[0:1], 0, s[6:7]
	v_lshlrev_b32_e32 v1, 3, v4
	v_lshl_or_b32 v44, v24, 8, v1
	v_lshlrev_b32_e32 v1, 3, v26
	v_lshl_or_b32 v0, v0, 6, v1
	v_add_u32_e32 v45, 0x800, v0
	v_mov_b32_e32 v0, 0x800
	s_waitcnt lgkmcnt(0)
	s_mul_i32 s5, s27, s4
	s_mul_hi_u32 s27, s26, s4
	v_lshl_add_u32 v47, v22, 6, v0
	s_add_i32 s27, s27, s5
	s_mul_i32 s26, s26, s4
	v_mad_u64_u32 v[0:1], s[36:37], s24, v26, 0
	v_cmp_gt_i64_e32 vcc, s[10:11], v[2:3]
	s_lshl_b64 s[26:27], s[26:27], 3
	v_mov_b32_e32 v2, v1
	s_lshl_b64 s[34:35], s[34:35], 8
	v_mad_u64_u32 v[2:3], s[36:37], s25, v26, v[2:3]
	s_add_u32 s26, s34, s26
	v_mov_b32_e32 v1, v2
	s_addc_u32 s27, s35, s27
	v_lshl_add_u64 v[0:1], v[0:1], 3, s[26:27]
	v_and_b32_e32 v2, 0x7ff8, v8
	v_mov_b32_e32 v3, v25
	v_lshl_add_u64 v[0:1], v[0:1], 0, v[2:3]
	v_mov_b32_e32 v5, v25
	v_lshl_add_u64 v[0:1], s[22:23], 0, v[0:1]
	v_lshl_add_u64 v[28:29], v[0:1], 0, 4
	v_lshl_add_u64 v[0:1], s[30:31], 0, v[4:5]
	v_mul_lo_u32 v2, s19, v0
	v_mul_lo_u32 v3, s18, v1
	v_mad_u64_u32 v[0:1], s[18:19], s18, v0, 0
	s_mul_i32 s5, s21, s4
	s_mul_hi_u32 s18, s20, s4
	s_add_i32 s19, s18, s5
	s_mul_i32 s18, s20, s4
	v_add3_u32 v1, v1, v3, v2
	s_lshl_b64 s[18:19], s[18:19], 3
	v_lshl_add_u64 v[0:1], v[0:1], 3, s[18:19]
	v_lshlrev_b32_e32 v2, 3, v24
	v_mov_b32_e32 v3, v25
	v_or_b32_e32 v6, s30, v4
	v_mov_b32_e32 v7, s31
	v_lshl_add_u64 v[0:1], v[0:1], 0, v[2:3]
	v_mov_b32_e32 v27, v25
	v_cmp_gt_i64_e64 s[2:3], s[8:9], v[6:7]
	v_lshlrev_b32_e32 v46, 3, v12
	s_lshl_b64 s[22:23], s[24:25], 6
	v_lshl_add_u64 v[30:31], s[16:17], 0, v[0:1]
	s_mov_b64 s[16:17], 0
	s_xor_b64 s[18:19], vcc, -1
	v_mov_b64_e32 v[32:33], s[12:13]
	v_mov_b32_e32 v14, v25
	v_mov_b32_e32 v15, v25
	;; [unrolled: 1-line block ×8, first 2 shown]
	s_branch .LBB115_3
.LBB115_2:                              ;   in Loop: Header=BB115_3 Depth=1
	s_or_b64 exec, exec, s[20:21]
	ds_write_b32 v45, v0 offset:4
	s_waitcnt lgkmcnt(0)
	s_barrier
	ds_read2_b64 v[4:7], v46 offset1:16
	ds_read_b128 v[48:51], v47
	ds_read2_b64 v[8:11], v46 offset0:32 offset1:48
	ds_read_b128 v[0:3], v47 offset:16
	ds_read_b128 v[52:55], v47 offset:1024
	s_add_u32 s16, s16, 8
	s_waitcnt lgkmcnt(3)
	v_pk_mul_f32 v[36:37], v[48:49], v[4:5] op_sel:[0,1]
	v_pk_mul_f32 v[56:57], v[48:49], v[6:7] op_sel:[0,1]
	v_pk_fma_f32 v[34:35], v[48:49], v[4:5], v[36:37] op_sel:[0,0,1] op_sel_hi:[1,1,0] neg_lo:[0,0,1] neg_hi:[0,0,1]
	v_pk_fma_f32 v[36:37], v[48:49], v[4:5], v[36:37] op_sel:[0,0,1] op_sel_hi:[1,0,0]
	s_waitcnt lgkmcnt(2)
	v_pk_mul_f32 v[40:41], v[50:51], v[8:9] op_sel:[0,1]
	v_pk_fma_f32 v[42:43], v[48:49], v[6:7], v[56:57] op_sel:[0,0,1] op_sel_hi:[1,1,0] neg_lo:[0,0,1] neg_hi:[0,0,1]
	v_pk_fma_f32 v[68:69], v[48:49], v[6:7], v[56:57] op_sel:[0,0,1] op_sel_hi:[1,0,0]
	v_pk_mul_f32 v[48:49], v[50:51], v[10:11] op_sel:[0,1]
	v_pk_fma_f32 v[38:39], v[50:51], v[8:9], v[40:41] op_sel:[0,0,1] op_sel_hi:[1,1,0] neg_lo:[0,0,1] neg_hi:[0,0,1]
	v_pk_fma_f32 v[40:41], v[50:51], v[8:9], v[40:41] op_sel:[0,0,1] op_sel_hi:[1,0,0]
	v_pk_fma_f32 v[70:71], v[50:51], v[10:11], v[48:49] op_sel:[0,0,1] op_sel_hi:[1,1,0] neg_lo:[0,0,1] neg_hi:[0,0,1]
	v_pk_fma_f32 v[72:73], v[50:51], v[10:11], v[48:49] op_sel:[0,0,1] op_sel_hi:[1,0,0]
	ds_read_b128 v[48:51], v47 offset:1040
	s_waitcnt lgkmcnt(1)
	v_pk_mul_f32 v[56:57], v[52:53], v[4:5] op_sel:[0,1]
	v_mov_b32_e32 v43, v69
	v_pk_fma_f32 v[74:75], v[52:53], v[4:5], v[56:57] op_sel:[0,0,1] op_sel_hi:[1,1,0] neg_lo:[0,0,1] neg_hi:[0,0,1]
	v_pk_fma_f32 v[76:77], v[52:53], v[4:5], v[56:57] op_sel:[0,0,1] op_sel_hi:[1,0,0]
	v_pk_mul_f32 v[4:5], v[52:53], v[6:7] op_sel:[0,1]
	ds_read2_b64 v[56:59], v46 offset0:96 offset1:112
	v_pk_fma_f32 v[78:79], v[52:53], v[6:7], v[4:5] op_sel:[0,0,1] op_sel_hi:[1,1,0] neg_lo:[0,0,1] neg_hi:[0,0,1]
	v_pk_fma_f32 v[80:81], v[52:53], v[6:7], v[4:5] op_sel:[0,0,1] op_sel_hi:[1,0,0]
	v_pk_mul_f32 v[4:5], v[54:55], v[8:9] op_sel:[0,1]
	v_pk_add_f32 v[18:19], v[18:19], v[42:43]
	v_pk_fma_f32 v[82:83], v[54:55], v[8:9], v[4:5] op_sel:[0,0,1] op_sel_hi:[1,1,0] neg_lo:[0,0,1] neg_hi:[0,0,1]
	v_pk_fma_f32 v[84:85], v[54:55], v[8:9], v[4:5] op_sel:[0,0,1] op_sel_hi:[1,0,0]
	ds_read2_b64 v[4:7], v46 offset0:64 offset1:80
	v_pk_mul_f32 v[8:9], v[54:55], v[10:11] op_sel:[0,1]
	v_mov_b32_e32 v71, v73
	v_pk_fma_f32 v[86:87], v[54:55], v[10:11], v[8:9] op_sel:[0,0,1] op_sel_hi:[1,1,0] neg_lo:[0,0,1] neg_hi:[0,0,1]
	v_pk_fma_f32 v[88:89], v[54:55], v[10:11], v[8:9] op_sel:[0,0,1] op_sel_hi:[1,0,0]
	s_waitcnt lgkmcnt(0)
	v_pk_mul_f32 v[8:9], v[0:1], v[4:5] op_sel:[0,1]
	v_pk_mul_f32 v[60:61], v[0:1], v[6:7] op_sel:[0,1]
	v_pk_fma_f32 v[90:91], v[0:1], v[4:5], v[8:9] op_sel:[0,0,1] op_sel_hi:[1,1,0] neg_lo:[0,0,1] neg_hi:[0,0,1]
	v_pk_fma_f32 v[92:93], v[0:1], v[4:5], v[8:9] op_sel:[0,0,1] op_sel_hi:[1,0,0]
	v_pk_mul_f32 v[8:9], v[2:3], v[56:57] op_sel:[0,1]
	v_pk_fma_f32 v[98:99], v[0:1], v[6:7], v[60:61] op_sel:[0,0,1] op_sel_hi:[1,1,0] neg_lo:[0,0,1] neg_hi:[0,0,1]
	v_pk_fma_f32 v[94:95], v[2:3], v[56:57], v[8:9] op_sel:[0,0,1] op_sel_hi:[1,1,0] neg_lo:[0,0,1] neg_hi:[0,0,1]
	v_pk_fma_f32 v[96:97], v[2:3], v[56:57], v[8:9] op_sel:[0,0,1] op_sel_hi:[1,0,0]
	ds_read2_b64 v[8:11], v46 offset0:128 offset1:144
	ds_read_b128 v[52:55], v47 offset:32
	v_pk_fma_f32 v[100:101], v[0:1], v[6:7], v[60:61] op_sel:[0,0,1] op_sel_hi:[1,0,0]
	v_pk_mul_f32 v[0:1], v[2:3], v[58:59] op_sel:[0,1]
	v_pk_add_f32 v[18:19], v[18:19], v[70:71]
	v_pk_fma_f32 v[102:103], v[2:3], v[58:59], v[0:1] op_sel:[0,0,1] op_sel_hi:[1,1,0] neg_lo:[0,0,1] neg_hi:[0,0,1]
	s_waitcnt lgkmcnt(0)
	v_pk_mul_f32 v[60:61], v[52:53], v[8:9] op_sel:[0,1]
	v_pk_fma_f32 v[104:105], v[2:3], v[58:59], v[0:1] op_sel:[0,0,1] op_sel_hi:[1,0,0]
	v_pk_fma_f32 v[106:107], v[52:53], v[8:9], v[60:61] op_sel:[0,0,1] op_sel_hi:[1,1,0] neg_lo:[0,0,1] neg_hi:[0,0,1]
	v_pk_fma_f32 v[108:109], v[52:53], v[8:9], v[60:61] op_sel:[0,0,1] op_sel_hi:[1,0,0]
	ds_read2_b64 v[60:63], v46 offset0:160 offset1:176
	ds_read_b128 v[0:3], v47 offset:48
	v_mov_b32_e32 v99, v101
	v_pk_add_f32 v[18:19], v[18:19], v[98:99]
	v_mov_b32_e32 v103, v105
	s_waitcnt lgkmcnt(1)
	v_pk_mul_f32 v[64:65], v[54:55], v[60:61] op_sel:[0,1]
	v_pk_add_f32 v[18:19], v[18:19], v[102:103]
	v_pk_fma_f32 v[110:111], v[54:55], v[60:61], v[64:65] op_sel:[0,0,1] op_sel_hi:[1,1,0] neg_lo:[0,0,1] neg_hi:[0,0,1]
	v_pk_fma_f32 v[112:113], v[54:55], v[60:61], v[64:65] op_sel:[0,0,1] op_sel_hi:[1,0,0]
	v_pk_mul_f32 v[64:65], v[52:53], v[10:11] op_sel:[0,1]
	v_mov_b32_e32 v75, v77
	v_pk_fma_f32 v[114:115], v[52:53], v[10:11], v[64:65] op_sel:[0,0,1] op_sel_hi:[1,1,0] neg_lo:[0,0,1] neg_hi:[0,0,1]
	v_pk_fma_f32 v[116:117], v[52:53], v[10:11], v[64:65] op_sel:[0,0,1] op_sel_hi:[1,0,0]
	v_pk_mul_f32 v[52:53], v[54:55], v[62:63] op_sel:[0,1]
	v_mov_b32_e32 v115, v117
	v_pk_fma_f32 v[118:119], v[54:55], v[62:63], v[52:53] op_sel:[0,0,1] op_sel_hi:[1,1,0] neg_lo:[0,0,1] neg_hi:[0,0,1]
	v_pk_fma_f32 v[120:121], v[54:55], v[62:63], v[52:53] op_sel:[0,0,1] op_sel_hi:[1,0,0]
	ds_read2_b64 v[52:55], v46 offset0:192 offset1:208
	v_pk_add_f32 v[18:19], v[18:19], v[114:115]
	v_mov_b32_e32 v119, v121
	v_pk_add_f32 v[18:19], v[18:19], v[118:119]
	v_mov_b32_e32 v83, v85
	s_waitcnt lgkmcnt(0)
	v_pk_mul_f32 v[64:65], v[0:1], v[52:53] op_sel:[0,1]
	v_pk_mul_f32 v[130:131], v[0:1], v[54:55] op_sel:[0,1]
	v_pk_fma_f32 v[122:123], v[0:1], v[52:53], v[64:65] op_sel:[0,0,1] op_sel_hi:[1,1,0] neg_lo:[0,0,1] neg_hi:[0,0,1]
	v_pk_fma_f32 v[124:125], v[0:1], v[52:53], v[64:65] op_sel:[0,0,1] op_sel_hi:[1,0,0]
	ds_read2_b64 v[64:67], v46 offset0:224 offset1:240
	v_pk_fma_f32 v[132:133], v[0:1], v[54:55], v[130:131] op_sel:[0,0,1] op_sel_hi:[1,1,0] neg_lo:[0,0,1] neg_hi:[0,0,1]
	v_pk_fma_f32 v[0:1], v[0:1], v[54:55], v[130:131] op_sel:[0,0,1] op_sel_hi:[1,0,0]
	v_mov_b32_e32 v35, v37
	v_mov_b32_e32 v133, v1
	s_waitcnt lgkmcnt(0)
	v_pk_mul_f32 v[126:127], v[2:3], v[64:65] op_sel:[0,1]
	v_pk_mul_f32 v[130:131], v[2:3], v[66:67] op_sel:[0,1]
	v_pk_fma_f32 v[128:129], v[2:3], v[64:65], v[126:127] op_sel:[0,0,1] op_sel_hi:[1,1,0] neg_lo:[0,0,1] neg_hi:[0,0,1]
	v_pk_fma_f32 v[126:127], v[2:3], v[64:65], v[126:127] op_sel:[0,0,1] op_sel_hi:[1,0,0]
	v_pk_fma_f32 v[134:135], v[2:3], v[66:67], v[130:131] op_sel:[0,0,1] op_sel_hi:[1,1,0] neg_lo:[0,0,1] neg_hi:[0,0,1]
	v_pk_fma_f32 v[2:3], v[2:3], v[66:67], v[130:131] op_sel:[0,0,1] op_sel_hi:[1,0,0]
	v_pk_add_f32 v[0:1], v[18:19], v[132:133]
	v_mov_b32_e32 v135, v3
	v_pk_mul_f32 v[2:3], v[48:49], v[4:5] op_sel:[0,1]
	v_pk_add_f32 v[18:19], v[0:1], v[134:135]
	v_pk_add_f32 v[0:1], v[16:17], v[74:75]
	v_pk_fma_f32 v[16:17], v[48:49], v[4:5], v[2:3] op_sel:[0,0,1] op_sel_hi:[1,1,0] neg_lo:[0,0,1] neg_hi:[0,0,1]
	v_pk_fma_f32 v[2:3], v[48:49], v[4:5], v[2:3] op_sel:[0,0,1] op_sel_hi:[1,0,0]
	v_pk_add_f32 v[0:1], v[0:1], v[82:83]
	v_mov_b32_e32 v17, v3
	v_pk_add_f32 v[4:5], v[0:1], v[16:17]
	ds_read_b128 v[0:3], v47 offset:1056
	v_pk_mul_f32 v[16:17], v[50:51], v[56:57] op_sel:[0,1]
	v_pk_add_f32 v[20:21], v[20:21], v[34:35]
	v_pk_fma_f32 v[34:35], v[50:51], v[56:57], v[16:17] op_sel:[0,0,1] op_sel_hi:[1,1,0] neg_lo:[0,0,1] neg_hi:[0,0,1]
	v_pk_fma_f32 v[16:17], v[50:51], v[56:57], v[16:17] op_sel:[0,0,1] op_sel_hi:[1,0,0]
	v_mov_b32_e32 v39, v41
	v_mov_b32_e32 v35, v17
	v_pk_add_f32 v[4:5], v[4:5], v[34:35]
	ds_read_b128 v[34:37], v47 offset:1072
	s_waitcnt lgkmcnt(1)
	v_pk_mul_f32 v[16:17], v[0:1], v[8:9] op_sel:[0,1]
	v_pk_add_f32 v[20:21], v[20:21], v[38:39]
	v_pk_fma_f32 v[38:39], v[0:1], v[8:9], v[16:17] op_sel:[0,0,1] op_sel_hi:[1,1,0] neg_lo:[0,0,1] neg_hi:[0,0,1]
	v_pk_fma_f32 v[8:9], v[0:1], v[8:9], v[16:17] op_sel:[0,0,1] op_sel_hi:[1,0,0]
	v_mov_b32_e32 v79, v81
	v_mov_b32_e32 v39, v9
	v_pk_mul_f32 v[8:9], v[2:3], v[60:61] op_sel:[0,1]
	v_pk_add_f32 v[4:5], v[4:5], v[38:39]
	v_pk_fma_f32 v[16:17], v[2:3], v[60:61], v[8:9] op_sel:[0,0,1] op_sel_hi:[1,1,0] neg_lo:[0,0,1] neg_hi:[0,0,1]
	v_pk_fma_f32 v[8:9], v[2:3], v[60:61], v[8:9] op_sel:[0,0,1] op_sel_hi:[1,0,0]
	v_mov_b32_e32 v87, v89
	v_mov_b32_e32 v17, v9
	s_waitcnt lgkmcnt(0)
	v_pk_mul_f32 v[8:9], v[34:35], v[52:53] op_sel:[0,1]
	v_pk_add_f32 v[4:5], v[4:5], v[16:17]
	v_pk_fma_f32 v[16:17], v[34:35], v[52:53], v[8:9] op_sel:[0,0,1] op_sel_hi:[1,1,0] neg_lo:[0,0,1] neg_hi:[0,0,1]
	v_pk_fma_f32 v[8:9], v[34:35], v[52:53], v[8:9] op_sel:[0,0,1] op_sel_hi:[1,0,0]
	v_mov_b32_e32 v91, v93
	v_mov_b32_e32 v17, v9
	v_pk_mul_f32 v[8:9], v[36:37], v[64:65] op_sel:[0,1]
	v_pk_add_f32 v[4:5], v[4:5], v[16:17]
	v_pk_fma_f32 v[16:17], v[36:37], v[64:65], v[8:9] op_sel:[0,0,1] op_sel_hi:[1,1,0] neg_lo:[0,0,1] neg_hi:[0,0,1]
	v_pk_fma_f32 v[8:9], v[36:37], v[64:65], v[8:9] op_sel:[0,0,1] op_sel_hi:[1,0,0]
	v_pk_add_f32 v[20:21], v[20:21], v[90:91]
	v_mov_b32_e32 v17, v9
	v_pk_mul_f32 v[8:9], v[48:49], v[6:7] op_sel:[0,1]
	v_pk_add_f32 v[16:17], v[4:5], v[16:17]
	v_pk_add_f32 v[4:5], v[14:15], v[78:79]
	v_pk_fma_f32 v[14:15], v[48:49], v[6:7], v[8:9] op_sel:[0,0,1] op_sel_hi:[1,1,0] neg_lo:[0,0,1] neg_hi:[0,0,1]
	v_pk_fma_f32 v[6:7], v[48:49], v[6:7], v[8:9] op_sel:[0,0,1] op_sel_hi:[1,0,0]
	v_pk_add_f32 v[4:5], v[4:5], v[86:87]
	v_mov_b32_e32 v15, v7
	v_pk_mul_f32 v[6:7], v[50:51], v[58:59] op_sel:[0,1]
	v_pk_add_f32 v[4:5], v[4:5], v[14:15]
	v_pk_fma_f32 v[8:9], v[50:51], v[58:59], v[6:7] op_sel:[0,0,1] op_sel_hi:[1,1,0] neg_lo:[0,0,1] neg_hi:[0,0,1]
	v_pk_fma_f32 v[6:7], v[50:51], v[58:59], v[6:7] op_sel:[0,0,1] op_sel_hi:[1,0,0]
	v_mov_b32_e32 v95, v97
	v_mov_b32_e32 v9, v7
	v_pk_mul_f32 v[6:7], v[0:1], v[10:11] op_sel:[0,1]
	v_pk_add_f32 v[4:5], v[4:5], v[8:9]
	v_pk_fma_f32 v[8:9], v[0:1], v[10:11], v[6:7] op_sel:[0,0,1] op_sel_hi:[1,1,0] neg_lo:[0,0,1] neg_hi:[0,0,1]
	v_pk_fma_f32 v[0:1], v[0:1], v[10:11], v[6:7] op_sel:[0,0,1] op_sel_hi:[1,0,0]
	v_pk_add_f32 v[20:21], v[20:21], v[94:95]
	v_mov_b32_e32 v9, v1
	v_pk_add_f32 v[0:1], v[4:5], v[8:9]
	v_pk_mul_f32 v[4:5], v[2:3], v[62:63] op_sel:[0,1]
	v_mov_b32_e32 v107, v109
	v_pk_fma_f32 v[6:7], v[2:3], v[62:63], v[4:5] op_sel:[0,0,1] op_sel_hi:[1,1,0] neg_lo:[0,0,1] neg_hi:[0,0,1]
	v_pk_fma_f32 v[2:3], v[2:3], v[62:63], v[4:5] op_sel:[0,0,1] op_sel_hi:[1,0,0]
	v_pk_add_f32 v[20:21], v[20:21], v[106:107]
	v_mov_b32_e32 v7, v3
	v_pk_mul_f32 v[2:3], v[34:35], v[54:55] op_sel:[0,1]
	v_mov_b32_e32 v111, v113
	v_pk_fma_f32 v[4:5], v[34:35], v[54:55], v[2:3] op_sel:[0,0,1] op_sel_hi:[1,1,0] neg_lo:[0,0,1] neg_hi:[0,0,1]
	v_pk_fma_f32 v[2:3], v[34:35], v[54:55], v[2:3] op_sel:[0,0,1] op_sel_hi:[1,0,0]
	v_pk_add_f32 v[0:1], v[0:1], v[6:7]
	v_mov_b32_e32 v5, v3
	v_pk_mul_f32 v[2:3], v[36:37], v[66:67] op_sel:[0,1]
	v_pk_add_f32 v[20:21], v[20:21], v[110:111]
	v_mov_b32_e32 v123, v125
	v_pk_add_f32 v[0:1], v[0:1], v[4:5]
	v_pk_fma_f32 v[4:5], v[36:37], v[66:67], v[2:3] op_sel:[0,0,1] op_sel_hi:[1,1,0] neg_lo:[0,0,1] neg_hi:[0,0,1]
	v_pk_fma_f32 v[2:3], v[36:37], v[66:67], v[2:3] op_sel:[0,0,1] op_sel_hi:[1,0,0]
	s_addc_u32 s17, s17, 0
	v_pk_add_f32 v[20:21], v[20:21], v[122:123]
	v_mov_b32_e32 v129, v127
	v_mov_b32_e32 v5, v3
	v_cmp_lt_i64_e32 vcc, s[16:17], v[32:33]
	v_pk_add_f32 v[20:21], v[20:21], v[128:129]
	v_pk_add_f32 v[14:15], v[0:1], v[4:5]
	v_lshl_add_u64 v[28:29], v[28:29], 0, s[22:23]
	v_lshl_add_u64 v[30:31], v[30:31], 0, 64
	s_barrier
	s_cbranch_vccz .LBB115_9
.LBB115_3:                              ; =>This Inner Loop Header: Depth=1
	v_lshl_add_u64 v[0:1], v[24:25], 0, s[16:17]
	v_cmp_gt_i64_e32 vcc, s[12:13], v[0:1]
	s_and_b64 s[24:25], s[2:3], vcc
	v_mov_b32_e32 v0, 0
	v_mov_b32_e32 v1, 0
	s_and_saveexec_b64 s[20:21], s[24:25]
	s_cbranch_execz .LBB115_5
; %bb.4:                                ;   in Loop: Header=BB115_3 Depth=1
	global_load_dwordx2 v[0:1], v[30:31], off
.LBB115_5:                              ;   in Loop: Header=BB115_3 Depth=1
	s_or_b64 exec, exec, s[20:21]
	s_waitcnt vmcnt(0)
	ds_write_b64 v44, v[0:1]
	v_lshl_add_u64 v[0:1], v[26:27], 0, s[16:17]
	v_cmp_le_i64_e32 vcc, s[12:13], v[0:1]
	s_or_b64 s[20:21], vcc, s[18:19]
	s_and_saveexec_b64 s[24:25], s[20:21]
	s_xor_b64 s[20:21], exec, s[24:25]
; %bb.6:                                ;   in Loop: Header=BB115_3 Depth=1
	ds_write_b32 v45, v25
; %bb.7:                                ;   in Loop: Header=BB115_3 Depth=1
	s_or_saveexec_b64 s[20:21], s[20:21]
	v_mov_b32_e32 v0, 0
	s_xor_b64 exec, exec, s[20:21]
	s_cbranch_execz .LBB115_2
; %bb.8:                                ;   in Loop: Header=BB115_3 Depth=1
	global_load_dwordx2 v[2:3], v[28:29], off offset:-4
	s_waitcnt vmcnt(0)
	v_xor_b32_e32 v0, 0x80000000, v3
	ds_write_b32 v45, v2
	s_branch .LBB115_2
.LBB115_9:
	s_load_dwordx4 s[24:27], s[0:1], 0x78
	s_load_dwordx8 s[16:23], s[0:1], 0x58
	v_lshl_add_u64 v[0:1], s[6:7], 0, v[22:23]
	s_waitcnt lgkmcnt(0)
	s_mul_i32 s1, s27, s4
	s_mul_hi_u32 s2, s26, s4
	s_mul_i32 s0, s26, s4
	s_add_i32 s1, s2, s1
	s_lshl_b64 s[0:1], s[0:1], 3
	s_add_u32 s12, s22, s0
	s_addc_u32 s13, s23, s1
	s_or_b32 s0, s28, s29
	s_bitset0_b32 s0, 31
	s_cmp_lg_u32 s0, 0
	v_cmp_gt_i64_e64 s[0:1], s[10:11], v[0:1]
	s_mov_b64 s[2:3], -1
	s_cbranch_scc1 .LBB115_21
; %bb.10:
	s_and_saveexec_b64 s[22:23], s[0:1]
	s_cbranch_execz .LBB115_20
; %bb.11:
	v_mul_lo_u32 v6, v1, s24
	v_mul_lo_u32 v7, v0, s25
	v_mad_u64_u32 v[4:5], s[2:3], v0, s24, 0
	v_add3_u32 v5, v5, v7, v6
	v_lshl_add_u64 v[2:3], s[30:31], 0, v[12:13]
	v_lshl_add_u64 v[4:5], v[4:5], 3, s[12:13]
	v_cmp_gt_i64_e32 vcc, s[8:9], v[2:3]
	s_mov_b32 s26, s14
	s_mov_b32 s27, s14
	;; [unrolled: 1-line block ×4, first 2 shown]
	v_lshl_add_u64 v[6:7], v[2:3], 3, v[4:5]
	s_and_saveexec_b64 s[2:3], vcc
	s_cbranch_execz .LBB115_13
; %bb.12:
	v_pk_mul_f32 v[8:9], v[20:21], s[34:35]
	s_nop 0
	v_pk_fma_f32 v[10:11], v[20:21], s[26:27], v[8:9] op_sel:[0,0,1] op_sel_hi:[1,1,0] neg_lo:[0,0,1] neg_hi:[0,0,1]
	v_pk_fma_f32 v[8:9], v[20:21], s[26:27], v[8:9] op_sel:[0,0,1] op_sel_hi:[1,1,0]
	s_nop 0
	v_mov_b32_e32 v11, v9
	global_store_dwordx2 v[6:7], v[10:11], off
.LBB115_13:
	s_or_b64 exec, exec, s[2:3]
	v_lshl_add_u64 v[8:9], v[2:3], 0, 16
	v_cmp_gt_i64_e64 s[2:3], s[8:9], v[8:9]
	s_and_saveexec_b64 s[6:7], s[2:3]
	s_cbranch_execz .LBB115_15
; %bb.14:
	v_pk_mul_f32 v[8:9], v[18:19], s[34:35]
	s_nop 0
	v_pk_fma_f32 v[10:11], v[18:19], s[26:27], v[8:9] op_sel:[0,0,1] op_sel_hi:[1,1,0] neg_lo:[0,0,1] neg_hi:[0,0,1]
	v_pk_fma_f32 v[8:9], v[18:19], s[26:27], v[8:9] op_sel:[0,0,1] op_sel_hi:[1,1,0]
	s_nop 0
	v_mov_b32_e32 v11, v9
	global_store_dwordx2 v[6:7], v[10:11], off offset:128
.LBB115_15:
	s_or_b64 exec, exec, s[6:7]
	v_lshl_add_u64 v[6:7], v[0:1], 0, 16
	v_cmp_gt_i64_e64 s[6:7], s[10:11], v[6:7]
	s_and_b64 exec, exec, s[6:7]
	s_cbranch_execz .LBB115_20
; %bb.16:
	s_lshl_b64 s[6:7], s[24:25], 7
	v_lshl_add_u64 v[4:5], v[4:5], 0, s[6:7]
	v_lshl_add_u64 v[2:3], v[2:3], 3, v[4:5]
	s_and_saveexec_b64 s[6:7], vcc
	s_cbranch_execz .LBB115_18
; %bb.17:
	v_pk_mul_f32 v[4:5], v[16:17], s[34:35]
	s_nop 0
	v_pk_fma_f32 v[6:7], v[16:17], s[26:27], v[4:5] op_sel:[0,0,1] op_sel_hi:[1,1,0] neg_lo:[0,0,1] neg_hi:[0,0,1]
	v_pk_fma_f32 v[4:5], v[16:17], s[26:27], v[4:5] op_sel:[0,0,1] op_sel_hi:[1,1,0]
	s_nop 0
	v_mov_b32_e32 v7, v5
	global_store_dwordx2 v[2:3], v[6:7], off
.LBB115_18:
	s_or_b64 exec, exec, s[6:7]
	s_and_b64 exec, exec, s[2:3]
	s_cbranch_execz .LBB115_20
; %bb.19:
	v_pk_mul_f32 v[4:5], v[14:15], s[34:35]
	s_nop 0
	v_pk_fma_f32 v[6:7], v[14:15], s[26:27], v[4:5] op_sel:[0,0,1] op_sel_hi:[1,1,0] neg_lo:[0,0,1] neg_hi:[0,0,1]
	v_pk_fma_f32 v[4:5], v[14:15], s[26:27], v[4:5] op_sel:[0,0,1] op_sel_hi:[1,1,0]
	s_nop 0
	v_mov_b32_e32 v7, v5
	global_store_dwordx2 v[2:3], v[6:7], off offset:128
.LBB115_20:
	s_or_b64 exec, exec, s[22:23]
	s_mov_b64 s[2:3], 0
.LBB115_21:
	s_andn2_b64 vcc, exec, s[2:3]
	s_cbranch_vccnz .LBB115_32
; %bb.22:
	s_and_saveexec_b64 s[2:3], s[0:1]
	s_cbranch_execz .LBB115_32
; %bb.23:
	s_mul_i32 s0, s21, s4
	s_mul_hi_u32 s1, s20, s4
	s_add_i32 s1, s1, s0
	s_mul_i32 s0, s20, s4
	s_lshl_b64 s[0:1], s[0:1], 3
	v_mul_lo_u32 v4, v1, s18
	v_mul_lo_u32 v5, v0, s19
	v_mad_u64_u32 v[2:3], s[2:3], v0, s18, 0
	s_add_u32 s0, s16, s0
	v_add3_u32 v3, v3, v5, v4
	v_mul_lo_u32 v6, v1, s24
	v_mul_lo_u32 v7, v0, s25
	v_mad_u64_u32 v[4:5], s[2:3], v0, s24, 0
	s_addc_u32 s1, s17, s1
	v_lshl_add_u64 v[8:9], s[30:31], 0, v[12:13]
	v_add3_u32 v5, v5, v7, v6
	v_cmp_gt_i64_e32 vcc, s[8:9], v[8:9]
	s_mov_b32 s4, s14
	s_mov_b32 s5, s14
	;; [unrolled: 1-line block ×6, first 2 shown]
	v_lshl_add_u64 v[6:7], v[2:3], 3, s[0:1]
	v_lshl_add_u64 v[4:5], v[4:5], 3, s[12:13]
	v_lshlrev_b64 v[2:3], 3, v[8:9]
	s_and_saveexec_b64 s[0:1], vcc
	s_cbranch_execz .LBB115_25
; %bb.24:
	v_lshl_add_u64 v[10:11], v[6:7], 0, v[2:3]
	global_load_dwordx2 v[10:11], v[10:11], off
	v_pk_mul_f32 v[22:23], v[20:21], s[14:15]
	v_lshl_add_u64 v[12:13], v[4:5], 0, v[2:3]
	v_pk_fma_f32 v[24:25], v[20:21], s[4:5], v[22:23] op_sel:[0,0,1] op_sel_hi:[1,1,0] neg_lo:[0,0,1] neg_hi:[0,0,1]
	v_pk_fma_f32 v[20:21], v[20:21], s[4:5], v[22:23] op_sel:[0,0,1] op_sel_hi:[1,1,0]
	s_nop 0
	v_mov_b32_e32 v25, v21
	s_waitcnt vmcnt(0)
	v_pk_mul_f32 v[20:21], v[10:11], s[28:29]
	s_nop 0
	v_pk_fma_f32 v[22:23], v[10:11], s[6:7], v[20:21] op_sel:[0,0,1] op_sel_hi:[1,1,0] neg_lo:[0,0,1] neg_hi:[0,0,1]
	v_pk_fma_f32 v[10:11], v[10:11], s[6:7], v[20:21] op_sel:[0,0,1] op_sel_hi:[1,1,0]
	s_nop 0
	v_mov_b32_e32 v23, v11
	v_pk_add_f32 v[10:11], v[24:25], v[22:23]
	global_store_dwordx2 v[12:13], v[10:11], off
.LBB115_25:
	s_or_b64 exec, exec, s[0:1]
	v_lshl_add_u64 v[8:9], v[8:9], 0, 16
	v_cmp_gt_i64_e64 s[0:1], s[8:9], v[8:9]
	s_and_saveexec_b64 s[2:3], s[0:1]
	s_cbranch_execz .LBB115_27
; %bb.26:
	v_lshl_add_u64 v[8:9], v[6:7], 0, v[2:3]
	global_load_dwordx2 v[8:9], v[8:9], off offset:128
	v_pk_mul_f32 v[12:13], v[18:19], s[14:15]
	v_lshl_add_u64 v[10:11], v[4:5], 0, v[2:3]
	v_pk_fma_f32 v[20:21], v[18:19], s[4:5], v[12:13] op_sel:[0,0,1] op_sel_hi:[1,1,0] neg_lo:[0,0,1] neg_hi:[0,0,1]
	v_pk_fma_f32 v[12:13], v[18:19], s[4:5], v[12:13] op_sel:[0,0,1] op_sel_hi:[1,1,0]
	s_nop 0
	v_mov_b32_e32 v21, v13
	s_waitcnt vmcnt(0)
	v_pk_mul_f32 v[12:13], v[8:9], s[28:29]
	s_nop 0
	v_pk_fma_f32 v[18:19], v[8:9], s[6:7], v[12:13] op_sel:[0,0,1] op_sel_hi:[1,1,0] neg_lo:[0,0,1] neg_hi:[0,0,1]
	v_pk_fma_f32 v[8:9], v[8:9], s[6:7], v[12:13] op_sel:[0,0,1] op_sel_hi:[1,1,0]
	s_nop 0
	v_mov_b32_e32 v19, v9
	v_pk_add_f32 v[8:9], v[20:21], v[18:19]
	global_store_dwordx2 v[10:11], v[8:9], off offset:128
.LBB115_27:
	s_or_b64 exec, exec, s[2:3]
	v_lshl_add_u64 v[0:1], v[0:1], 0, 16
	v_cmp_gt_i64_e64 s[2:3], s[10:11], v[0:1]
	s_and_b64 exec, exec, s[2:3]
	s_cbranch_execz .LBB115_32
; %bb.28:
	s_lshl_b64 s[2:3], s[18:19], 7
	v_lshl_add_u64 v[0:1], v[6:7], 0, s[2:3]
	s_lshl_b64 s[2:3], s[24:25], 7
	v_lshl_add_u64 v[6:7], v[4:5], 0, s[2:3]
	v_lshl_add_u64 v[4:5], v[0:1], 0, v[2:3]
	;; [unrolled: 1-line block ×3, first 2 shown]
	s_and_saveexec_b64 s[2:3], vcc
	s_cbranch_execz .LBB115_30
; %bb.29:
	global_load_dwordx2 v[2:3], v[4:5], off
	v_pk_mul_f32 v[6:7], v[16:17], s[14:15]
	s_nop 0
	v_pk_fma_f32 v[8:9], v[16:17], s[4:5], v[6:7] op_sel:[0,0,1] op_sel_hi:[1,1,0] neg_lo:[0,0,1] neg_hi:[0,0,1]
	v_pk_fma_f32 v[6:7], v[16:17], s[4:5], v[6:7] op_sel:[0,0,1] op_sel_hi:[1,1,0]
	s_nop 0
	v_mov_b32_e32 v9, v7
	s_waitcnt vmcnt(0)
	v_pk_mul_f32 v[6:7], v[2:3], s[28:29]
	s_nop 0
	v_pk_fma_f32 v[10:11], v[2:3], s[6:7], v[6:7] op_sel:[0,0,1] op_sel_hi:[1,1,0] neg_lo:[0,0,1] neg_hi:[0,0,1]
	v_pk_fma_f32 v[2:3], v[2:3], s[6:7], v[6:7] op_sel:[0,0,1] op_sel_hi:[1,1,0]
	s_nop 0
	v_mov_b32_e32 v11, v3
	v_pk_add_f32 v[2:3], v[8:9], v[10:11]
	global_store_dwordx2 v[0:1], v[2:3], off
.LBB115_30:
	s_or_b64 exec, exec, s[2:3]
	s_and_b64 exec, exec, s[0:1]
	s_cbranch_execz .LBB115_32
; %bb.31:
	global_load_dwordx2 v[2:3], v[4:5], off offset:128
	v_pk_mul_f32 v[4:5], v[14:15], s[14:15]
	s_nop 0
	v_pk_fma_f32 v[6:7], v[14:15], s[4:5], v[4:5] op_sel:[0,0,1] op_sel_hi:[1,1,0] neg_lo:[0,0,1] neg_hi:[0,0,1]
	v_pk_fma_f32 v[4:5], v[14:15], s[4:5], v[4:5] op_sel:[0,0,1] op_sel_hi:[1,1,0]
	s_nop 0
	v_mov_b32_e32 v7, v5
	s_waitcnt vmcnt(0)
	v_pk_mul_f32 v[4:5], v[2:3], s[28:29]
	s_nop 0
	v_pk_fma_f32 v[8:9], v[2:3], s[6:7], v[4:5] op_sel:[0,0,1] op_sel_hi:[1,1,0] neg_lo:[0,0,1] neg_hi:[0,0,1]
	v_pk_fma_f32 v[2:3], v[2:3], s[6:7], v[4:5] op_sel:[0,0,1] op_sel_hi:[1,1,0]
	s_nop 0
	v_mov_b32_e32 v9, v3
	v_pk_add_f32 v[2:3], v[6:7], v[8:9]
	global_store_dwordx2 v[0:1], v[2:3], off offset:128
.LBB115_32:
	s_endpgm
	.section	.rodata,"a",@progbits
	.p2align	6, 0x0
	.amdhsa_kernel _ZN12_GLOBAL__N_135rocblas_gemm_batched_general_kernelI19rocblas_complex_numIfELi16ELi16ELi32ELi32ELi8ELi32ELi8ELi8ELi32ELc84ELc67EKS2_S3_S2_EEvlllT_PT11_llS6_llS4_PT12_llPT13_lli
		.amdhsa_group_segment_fixed_size 4096
		.amdhsa_private_segment_fixed_size 0
		.amdhsa_kernarg_size 140
		.amdhsa_user_sgpr_count 2
		.amdhsa_user_sgpr_dispatch_ptr 0
		.amdhsa_user_sgpr_queue_ptr 0
		.amdhsa_user_sgpr_kernarg_segment_ptr 1
		.amdhsa_user_sgpr_dispatch_id 0
		.amdhsa_user_sgpr_kernarg_preload_length 0
		.amdhsa_user_sgpr_kernarg_preload_offset 0
		.amdhsa_user_sgpr_private_segment_size 0
		.amdhsa_uses_dynamic_stack 0
		.amdhsa_enable_private_segment 0
		.amdhsa_system_sgpr_workgroup_id_x 1
		.amdhsa_system_sgpr_workgroup_id_y 1
		.amdhsa_system_sgpr_workgroup_id_z 1
		.amdhsa_system_sgpr_workgroup_info 0
		.amdhsa_system_vgpr_workitem_id 1
		.amdhsa_next_free_vgpr 136
		.amdhsa_next_free_sgpr 38
		.amdhsa_accum_offset 136
		.amdhsa_reserve_vcc 1
		.amdhsa_float_round_mode_32 0
		.amdhsa_float_round_mode_16_64 0
		.amdhsa_float_denorm_mode_32 3
		.amdhsa_float_denorm_mode_16_64 3
		.amdhsa_dx10_clamp 1
		.amdhsa_ieee_mode 1
		.amdhsa_fp16_overflow 0
		.amdhsa_tg_split 0
		.amdhsa_exception_fp_ieee_invalid_op 0
		.amdhsa_exception_fp_denorm_src 0
		.amdhsa_exception_fp_ieee_div_zero 0
		.amdhsa_exception_fp_ieee_overflow 0
		.amdhsa_exception_fp_ieee_underflow 0
		.amdhsa_exception_fp_ieee_inexact 0
		.amdhsa_exception_int_div_zero 0
	.end_amdhsa_kernel
	.section	.text._ZN12_GLOBAL__N_135rocblas_gemm_batched_general_kernelI19rocblas_complex_numIfELi16ELi16ELi32ELi32ELi8ELi32ELi8ELi8ELi32ELc84ELc67EKS2_S3_S2_EEvlllT_PT11_llS6_llS4_PT12_llPT13_lli,"axG",@progbits,_ZN12_GLOBAL__N_135rocblas_gemm_batched_general_kernelI19rocblas_complex_numIfELi16ELi16ELi32ELi32ELi8ELi32ELi8ELi8ELi32ELc84ELc67EKS2_S3_S2_EEvlllT_PT11_llS6_llS4_PT12_llPT13_lli,comdat
.Lfunc_end115:
	.size	_ZN12_GLOBAL__N_135rocblas_gemm_batched_general_kernelI19rocblas_complex_numIfELi16ELi16ELi32ELi32ELi8ELi32ELi8ELi8ELi32ELc84ELc67EKS2_S3_S2_EEvlllT_PT11_llS6_llS4_PT12_llPT13_lli, .Lfunc_end115-_ZN12_GLOBAL__N_135rocblas_gemm_batched_general_kernelI19rocblas_complex_numIfELi16ELi16ELi32ELi32ELi8ELi32ELi8ELi8ELi32ELc84ELc67EKS2_S3_S2_EEvlllT_PT11_llS6_llS4_PT12_llPT13_lli
                                        ; -- End function
	.set _ZN12_GLOBAL__N_135rocblas_gemm_batched_general_kernelI19rocblas_complex_numIfELi16ELi16ELi32ELi32ELi8ELi32ELi8ELi8ELi32ELc84ELc67EKS2_S3_S2_EEvlllT_PT11_llS6_llS4_PT12_llPT13_lli.num_vgpr, 136
	.set _ZN12_GLOBAL__N_135rocblas_gemm_batched_general_kernelI19rocblas_complex_numIfELi16ELi16ELi32ELi32ELi8ELi32ELi8ELi8ELi32ELc84ELc67EKS2_S3_S2_EEvlllT_PT11_llS6_llS4_PT12_llPT13_lli.num_agpr, 0
	.set _ZN12_GLOBAL__N_135rocblas_gemm_batched_general_kernelI19rocblas_complex_numIfELi16ELi16ELi32ELi32ELi8ELi32ELi8ELi8ELi32ELc84ELc67EKS2_S3_S2_EEvlllT_PT11_llS6_llS4_PT12_llPT13_lli.numbered_sgpr, 38
	.set _ZN12_GLOBAL__N_135rocblas_gemm_batched_general_kernelI19rocblas_complex_numIfELi16ELi16ELi32ELi32ELi8ELi32ELi8ELi8ELi32ELc84ELc67EKS2_S3_S2_EEvlllT_PT11_llS6_llS4_PT12_llPT13_lli.num_named_barrier, 0
	.set _ZN12_GLOBAL__N_135rocblas_gemm_batched_general_kernelI19rocblas_complex_numIfELi16ELi16ELi32ELi32ELi8ELi32ELi8ELi8ELi32ELc84ELc67EKS2_S3_S2_EEvlllT_PT11_llS6_llS4_PT12_llPT13_lli.private_seg_size, 0
	.set _ZN12_GLOBAL__N_135rocblas_gemm_batched_general_kernelI19rocblas_complex_numIfELi16ELi16ELi32ELi32ELi8ELi32ELi8ELi8ELi32ELc84ELc67EKS2_S3_S2_EEvlllT_PT11_llS6_llS4_PT12_llPT13_lli.uses_vcc, 1
	.set _ZN12_GLOBAL__N_135rocblas_gemm_batched_general_kernelI19rocblas_complex_numIfELi16ELi16ELi32ELi32ELi8ELi32ELi8ELi8ELi32ELc84ELc67EKS2_S3_S2_EEvlllT_PT11_llS6_llS4_PT12_llPT13_lli.uses_flat_scratch, 0
	.set _ZN12_GLOBAL__N_135rocblas_gemm_batched_general_kernelI19rocblas_complex_numIfELi16ELi16ELi32ELi32ELi8ELi32ELi8ELi8ELi32ELc84ELc67EKS2_S3_S2_EEvlllT_PT11_llS6_llS4_PT12_llPT13_lli.has_dyn_sized_stack, 0
	.set _ZN12_GLOBAL__N_135rocblas_gemm_batched_general_kernelI19rocblas_complex_numIfELi16ELi16ELi32ELi32ELi8ELi32ELi8ELi8ELi32ELc84ELc67EKS2_S3_S2_EEvlllT_PT11_llS6_llS4_PT12_llPT13_lli.has_recursion, 0
	.set _ZN12_GLOBAL__N_135rocblas_gemm_batched_general_kernelI19rocblas_complex_numIfELi16ELi16ELi32ELi32ELi8ELi32ELi8ELi8ELi32ELc84ELc67EKS2_S3_S2_EEvlllT_PT11_llS6_llS4_PT12_llPT13_lli.has_indirect_call, 0
	.section	.AMDGPU.csdata,"",@progbits
; Kernel info:
; codeLenInByte = 3176
; TotalNumSgprs: 44
; NumVgprs: 136
; NumAgprs: 0
; TotalNumVgprs: 136
; ScratchSize: 0
; MemoryBound: 0
; FloatMode: 240
; IeeeMode: 1
; LDSByteSize: 4096 bytes/workgroup (compile time only)
; SGPRBlocks: 5
; VGPRBlocks: 16
; NumSGPRsForWavesPerEU: 44
; NumVGPRsForWavesPerEU: 136
; AccumOffset: 136
; Occupancy: 3
; WaveLimiterHint : 1
; COMPUTE_PGM_RSRC2:SCRATCH_EN: 0
; COMPUTE_PGM_RSRC2:USER_SGPR: 2
; COMPUTE_PGM_RSRC2:TRAP_HANDLER: 0
; COMPUTE_PGM_RSRC2:TGID_X_EN: 1
; COMPUTE_PGM_RSRC2:TGID_Y_EN: 1
; COMPUTE_PGM_RSRC2:TGID_Z_EN: 1
; COMPUTE_PGM_RSRC2:TIDIG_COMP_CNT: 1
; COMPUTE_PGM_RSRC3_GFX90A:ACCUM_OFFSET: 33
; COMPUTE_PGM_RSRC3_GFX90A:TG_SPLIT: 0
	.section	.text._ZN12_GLOBAL__N_125rocblas_gemm_scale_kernelILi32ELi32E19rocblas_complex_numIdEPS2_EEviiT1_T2_llli,"axG",@progbits,_ZN12_GLOBAL__N_125rocblas_gemm_scale_kernelILi32ELi32E19rocblas_complex_numIdEPS2_EEviiT1_T2_llli,comdat
	.globl	_ZN12_GLOBAL__N_125rocblas_gemm_scale_kernelILi32ELi32E19rocblas_complex_numIdEPS2_EEviiT1_T2_llli ; -- Begin function _ZN12_GLOBAL__N_125rocblas_gemm_scale_kernelILi32ELi32E19rocblas_complex_numIdEPS2_EEviiT1_T2_llli
	.p2align	8
	.type	_ZN12_GLOBAL__N_125rocblas_gemm_scale_kernelILi32ELi32E19rocblas_complex_numIdEPS2_EEviiT1_T2_llli,@function
_ZN12_GLOBAL__N_125rocblas_gemm_scale_kernelILi32ELi32E19rocblas_complex_numIdEPS2_EEviiT1_T2_llli: ; @_ZN12_GLOBAL__N_125rocblas_gemm_scale_kernelILi32ELi32E19rocblas_complex_numIdEPS2_EEviiT1_T2_llli
; %bb.0:
	s_load_dwordx2 s[6:7], s[0:1], 0x0
	v_and_b32_e32 v1, 0x3ff, v0
	v_bfe_u32 v0, v0, 10, 10
	v_lshl_add_u32 v4, s2, 5, v1
	v_lshl_add_u32 v0, s3, 5, v0
	s_waitcnt lgkmcnt(0)
	v_cmp_gt_u32_e32 vcc, s6, v4
	v_cmp_gt_u32_e64 s[2:3], s7, v0
	s_and_b64 s[2:3], vcc, s[2:3]
	s_and_saveexec_b64 s[6:7], s[2:3]
	s_cbranch_execz .LBB116_4
; %bb.1:
	s_load_dwordx4 s[16:19], s[0:1], 0x28
	s_load_dwordx8 s[8:15], s[0:1], 0x8
	v_mov_b64_e32 v[2:3], 0
	v_mov_b32_e32 v5, 0
	s_waitcnt lgkmcnt(0)
	s_mul_i32 s1, s19, s4
	s_mul_hi_u32 s2, s18, s4
	s_mul_i32 s0, s18, s4
	s_add_i32 s1, s2, s1
	s_lshl_b64 s[0:1], s[0:1], 4
	s_add_u32 s2, s12, s0
	s_addc_u32 s3, s13, s1
	s_lshl_b64 s[0:1], s[14:15], 4
	v_mad_u64_u32 v[6:7], s[6:7], s16, v0, 0
	s_add_u32 s0, s2, s0
	v_mov_b32_e32 v8, v7
	s_addc_u32 s1, s3, s1
	v_cmp_neq_f64_e64 s[2:3], s[8:9], 0
	v_cmp_neq_f64_e64 s[4:5], s[10:11], 0
	v_mad_u64_u32 v[0:1], s[6:7], s17, v0, v[8:9]
	v_mov_b32_e32 v7, v0
	s_or_b64 s[2:3], s[2:3], s[4:5]
	s_andn2_b64 vcc, exec, s[2:3]
	v_lshl_add_u64 v[6:7], v[6:7], 4, s[0:1]
	v_mov_b64_e32 v[0:1], 0
	s_cbranch_vccnz .LBB116_3
; %bb.2:
	v_lshl_add_u64 v[0:1], v[4:5], 4, v[6:7]
	global_load_dwordx4 v[8:11], v[0:1], off
	s_waitcnt vmcnt(0)
	v_mul_f64 v[0:1], s[10:11], v[10:11]
	v_mul_f64 v[2:3], s[8:9], v[10:11]
	v_fma_f64 v[0:1], s[8:9], v[8:9], -v[0:1]
	v_fmac_f64_e32 v[2:3], s[10:11], v[8:9]
.LBB116_3:
	v_lshl_add_u64 v[4:5], v[4:5], 4, v[6:7]
	global_store_dwordx4 v[4:5], v[0:3], off
.LBB116_4:
	s_endpgm
	.section	.rodata,"a",@progbits
	.p2align	6, 0x0
	.amdhsa_kernel _ZN12_GLOBAL__N_125rocblas_gemm_scale_kernelILi32ELi32E19rocblas_complex_numIdEPS2_EEviiT1_T2_llli
		.amdhsa_group_segment_fixed_size 0
		.amdhsa_private_segment_fixed_size 0
		.amdhsa_kernarg_size 60
		.amdhsa_user_sgpr_count 2
		.amdhsa_user_sgpr_dispatch_ptr 0
		.amdhsa_user_sgpr_queue_ptr 0
		.amdhsa_user_sgpr_kernarg_segment_ptr 1
		.amdhsa_user_sgpr_dispatch_id 0
		.amdhsa_user_sgpr_kernarg_preload_length 0
		.amdhsa_user_sgpr_kernarg_preload_offset 0
		.amdhsa_user_sgpr_private_segment_size 0
		.amdhsa_uses_dynamic_stack 0
		.amdhsa_enable_private_segment 0
		.amdhsa_system_sgpr_workgroup_id_x 1
		.amdhsa_system_sgpr_workgroup_id_y 1
		.amdhsa_system_sgpr_workgroup_id_z 1
		.amdhsa_system_sgpr_workgroup_info 0
		.amdhsa_system_vgpr_workitem_id 1
		.amdhsa_next_free_vgpr 12
		.amdhsa_next_free_sgpr 20
		.amdhsa_accum_offset 12
		.amdhsa_reserve_vcc 1
		.amdhsa_float_round_mode_32 0
		.amdhsa_float_round_mode_16_64 0
		.amdhsa_float_denorm_mode_32 3
		.amdhsa_float_denorm_mode_16_64 3
		.amdhsa_dx10_clamp 1
		.amdhsa_ieee_mode 1
		.amdhsa_fp16_overflow 0
		.amdhsa_tg_split 0
		.amdhsa_exception_fp_ieee_invalid_op 0
		.amdhsa_exception_fp_denorm_src 0
		.amdhsa_exception_fp_ieee_div_zero 0
		.amdhsa_exception_fp_ieee_overflow 0
		.amdhsa_exception_fp_ieee_underflow 0
		.amdhsa_exception_fp_ieee_inexact 0
		.amdhsa_exception_int_div_zero 0
	.end_amdhsa_kernel
	.section	.text._ZN12_GLOBAL__N_125rocblas_gemm_scale_kernelILi32ELi32E19rocblas_complex_numIdEPS2_EEviiT1_T2_llli,"axG",@progbits,_ZN12_GLOBAL__N_125rocblas_gemm_scale_kernelILi32ELi32E19rocblas_complex_numIdEPS2_EEviiT1_T2_llli,comdat
.Lfunc_end116:
	.size	_ZN12_GLOBAL__N_125rocblas_gemm_scale_kernelILi32ELi32E19rocblas_complex_numIdEPS2_EEviiT1_T2_llli, .Lfunc_end116-_ZN12_GLOBAL__N_125rocblas_gemm_scale_kernelILi32ELi32E19rocblas_complex_numIdEPS2_EEviiT1_T2_llli
                                        ; -- End function
	.set _ZN12_GLOBAL__N_125rocblas_gemm_scale_kernelILi32ELi32E19rocblas_complex_numIdEPS2_EEviiT1_T2_llli.num_vgpr, 12
	.set _ZN12_GLOBAL__N_125rocblas_gemm_scale_kernelILi32ELi32E19rocblas_complex_numIdEPS2_EEviiT1_T2_llli.num_agpr, 0
	.set _ZN12_GLOBAL__N_125rocblas_gemm_scale_kernelILi32ELi32E19rocblas_complex_numIdEPS2_EEviiT1_T2_llli.numbered_sgpr, 20
	.set _ZN12_GLOBAL__N_125rocblas_gemm_scale_kernelILi32ELi32E19rocblas_complex_numIdEPS2_EEviiT1_T2_llli.num_named_barrier, 0
	.set _ZN12_GLOBAL__N_125rocblas_gemm_scale_kernelILi32ELi32E19rocblas_complex_numIdEPS2_EEviiT1_T2_llli.private_seg_size, 0
	.set _ZN12_GLOBAL__N_125rocblas_gemm_scale_kernelILi32ELi32E19rocblas_complex_numIdEPS2_EEviiT1_T2_llli.uses_vcc, 1
	.set _ZN12_GLOBAL__N_125rocblas_gemm_scale_kernelILi32ELi32E19rocblas_complex_numIdEPS2_EEviiT1_T2_llli.uses_flat_scratch, 0
	.set _ZN12_GLOBAL__N_125rocblas_gemm_scale_kernelILi32ELi32E19rocblas_complex_numIdEPS2_EEviiT1_T2_llli.has_dyn_sized_stack, 0
	.set _ZN12_GLOBAL__N_125rocblas_gemm_scale_kernelILi32ELi32E19rocblas_complex_numIdEPS2_EEviiT1_T2_llli.has_recursion, 0
	.set _ZN12_GLOBAL__N_125rocblas_gemm_scale_kernelILi32ELi32E19rocblas_complex_numIdEPS2_EEviiT1_T2_llli.has_indirect_call, 0
	.section	.AMDGPU.csdata,"",@progbits
; Kernel info:
; codeLenInByte = 268
; TotalNumSgprs: 26
; NumVgprs: 12
; NumAgprs: 0
; TotalNumVgprs: 12
; ScratchSize: 0
; MemoryBound: 0
; FloatMode: 240
; IeeeMode: 1
; LDSByteSize: 0 bytes/workgroup (compile time only)
; SGPRBlocks: 3
; VGPRBlocks: 1
; NumSGPRsForWavesPerEU: 26
; NumVGPRsForWavesPerEU: 12
; AccumOffset: 12
; Occupancy: 8
; WaveLimiterHint : 0
; COMPUTE_PGM_RSRC2:SCRATCH_EN: 0
; COMPUTE_PGM_RSRC2:USER_SGPR: 2
; COMPUTE_PGM_RSRC2:TRAP_HANDLER: 0
; COMPUTE_PGM_RSRC2:TGID_X_EN: 1
; COMPUTE_PGM_RSRC2:TGID_Y_EN: 1
; COMPUTE_PGM_RSRC2:TGID_Z_EN: 1
; COMPUTE_PGM_RSRC2:TIDIG_COMP_CNT: 1
; COMPUTE_PGM_RSRC3_GFX90A:ACCUM_OFFSET: 2
; COMPUTE_PGM_RSRC3_GFX90A:TG_SPLIT: 0
	.section	.text._ZN12_GLOBAL__N_120gemm_ex_scale_kernelILi32ELi32E19rocblas_complex_numIdEPKS2_PS2_EEviiT1_T2_lllT3_llli,"axG",@progbits,_ZN12_GLOBAL__N_120gemm_ex_scale_kernelILi32ELi32E19rocblas_complex_numIdEPKS2_PS2_EEviiT1_T2_lllT3_llli,comdat
	.globl	_ZN12_GLOBAL__N_120gemm_ex_scale_kernelILi32ELi32E19rocblas_complex_numIdEPKS2_PS2_EEviiT1_T2_lllT3_llli ; -- Begin function _ZN12_GLOBAL__N_120gemm_ex_scale_kernelILi32ELi32E19rocblas_complex_numIdEPKS2_PS2_EEviiT1_T2_lllT3_llli
	.p2align	8
	.type	_ZN12_GLOBAL__N_120gemm_ex_scale_kernelILi32ELi32E19rocblas_complex_numIdEPKS2_PS2_EEviiT1_T2_lllT3_llli,@function
_ZN12_GLOBAL__N_120gemm_ex_scale_kernelILi32ELi32E19rocblas_complex_numIdEPKS2_PS2_EEviiT1_T2_lllT3_llli: ; @_ZN12_GLOBAL__N_120gemm_ex_scale_kernelILi32ELi32E19rocblas_complex_numIdEPKS2_PS2_EEviiT1_T2_lllT3_llli
; %bb.0:
	s_load_dwordx2 s[6:7], s[0:1], 0x0
	v_and_b32_e32 v1, 0x3ff, v0
	v_bfe_u32 v0, v0, 10, 10
	v_lshl_add_u32 v4, s2, 5, v1
	v_lshl_add_u32 v6, s3, 5, v0
	s_waitcnt lgkmcnt(0)
	v_cmp_gt_u32_e32 vcc, s6, v4
	v_cmp_gt_u32_e64 s[2:3], s7, v6
	s_and_b64 s[2:3], vcc, s[2:3]
	s_and_saveexec_b64 s[6:7], s[2:3]
	s_cbranch_execz .LBB117_6
; %bb.1:
	s_load_dwordx16 s[8:23], s[0:1], 0x8
	s_mov_b64 s[2:3], 0
	v_mov_b32_e32 v5, 0
	s_waitcnt lgkmcnt(0)
	v_cmp_neq_f64_e64 s[6:7], s[10:11], 0
	v_cmp_neq_f64_e64 s[24:25], s[8:9], 0
	s_or_b64 s[6:7], s[24:25], s[6:7]
	s_and_b64 vcc, exec, s[6:7]
	s_cbranch_vccz .LBB117_3
; %bb.2:
	s_mov_b64 s[2:3], -1
.LBB117_3:
	v_mov_b64_e32 v[2:3], 0
	s_andn2_b64 vcc, exec, s[2:3]
	v_mov_b64_e32 v[0:1], 0
	s_cbranch_vccnz .LBB117_5
; %bb.4:
	s_mul_i32 s2, s19, s4
	s_mul_hi_u32 s3, s18, s4
	s_add_i32 s3, s3, s2
	s_mul_i32 s2, s18, s4
	s_lshl_b64 s[2:3], s[2:3], 4
	s_add_u32 s5, s12, s2
	s_addc_u32 s6, s13, s3
	s_lshl_b64 s[2:3], s[14:15], 4
	s_add_u32 s2, s5, s2
	s_addc_u32 s3, s6, s3
	v_mad_u64_u32 v[0:1], s[6:7], s16, v6, 0
	v_mov_b32_e32 v2, v1
	v_mad_u64_u32 v[2:3], s[6:7], s17, v6, v[2:3]
	v_mov_b32_e32 v1, v2
	v_lshl_add_u64 v[0:1], v[0:1], 4, s[2:3]
	v_lshl_add_u64 v[0:1], v[4:5], 4, v[0:1]
	global_load_dwordx4 v[8:11], v[0:1], off
	s_waitcnt vmcnt(0)
	v_mul_f64 v[0:1], s[10:11], v[10:11]
	v_mul_f64 v[2:3], s[8:9], v[10:11]
	v_fma_f64 v[0:1], s[8:9], v[8:9], -v[0:1]
	v_fmac_f64_e32 v[2:3], s[10:11], v[8:9]
.LBB117_5:
	s_load_dwordx4 s[8:11], s[0:1], 0x48
	s_waitcnt lgkmcnt(0)
	s_mul_i32 s1, s11, s4
	s_mul_hi_u32 s2, s10, s4
	s_mul_i32 s0, s10, s4
	s_add_i32 s1, s2, s1
	s_lshl_b64 s[0:1], s[0:1], 4
	s_add_u32 s2, s20, s0
	s_addc_u32 s3, s21, s1
	s_lshl_b64 s[0:1], s[22:23], 4
	s_add_u32 s0, s2, s0
	s_addc_u32 s1, s3, s1
	v_mad_u64_u32 v[8:9], s[2:3], s8, v6, 0
	v_mov_b32_e32 v10, v9
	v_mad_u64_u32 v[6:7], s[2:3], s9, v6, v[10:11]
	v_mov_b32_e32 v9, v6
	v_lshl_add_u64 v[6:7], v[8:9], 4, s[0:1]
	v_lshl_add_u64 v[4:5], v[4:5], 4, v[6:7]
	global_store_dwordx4 v[4:5], v[0:3], off
.LBB117_6:
	s_endpgm
	.section	.rodata,"a",@progbits
	.p2align	6, 0x0
	.amdhsa_kernel _ZN12_GLOBAL__N_120gemm_ex_scale_kernelILi32ELi32E19rocblas_complex_numIdEPKS2_PS2_EEviiT1_T2_lllT3_llli
		.amdhsa_group_segment_fixed_size 0
		.amdhsa_private_segment_fixed_size 0
		.amdhsa_kernarg_size 92
		.amdhsa_user_sgpr_count 2
		.amdhsa_user_sgpr_dispatch_ptr 0
		.amdhsa_user_sgpr_queue_ptr 0
		.amdhsa_user_sgpr_kernarg_segment_ptr 1
		.amdhsa_user_sgpr_dispatch_id 0
		.amdhsa_user_sgpr_kernarg_preload_length 0
		.amdhsa_user_sgpr_kernarg_preload_offset 0
		.amdhsa_user_sgpr_private_segment_size 0
		.amdhsa_uses_dynamic_stack 0
		.amdhsa_enable_private_segment 0
		.amdhsa_system_sgpr_workgroup_id_x 1
		.amdhsa_system_sgpr_workgroup_id_y 1
		.amdhsa_system_sgpr_workgroup_id_z 1
		.amdhsa_system_sgpr_workgroup_info 0
		.amdhsa_system_vgpr_workitem_id 1
		.amdhsa_next_free_vgpr 12
		.amdhsa_next_free_sgpr 26
		.amdhsa_accum_offset 12
		.amdhsa_reserve_vcc 1
		.amdhsa_float_round_mode_32 0
		.amdhsa_float_round_mode_16_64 0
		.amdhsa_float_denorm_mode_32 3
		.amdhsa_float_denorm_mode_16_64 3
		.amdhsa_dx10_clamp 1
		.amdhsa_ieee_mode 1
		.amdhsa_fp16_overflow 0
		.amdhsa_tg_split 0
		.amdhsa_exception_fp_ieee_invalid_op 0
		.amdhsa_exception_fp_denorm_src 0
		.amdhsa_exception_fp_ieee_div_zero 0
		.amdhsa_exception_fp_ieee_overflow 0
		.amdhsa_exception_fp_ieee_underflow 0
		.amdhsa_exception_fp_ieee_inexact 0
		.amdhsa_exception_int_div_zero 0
	.end_amdhsa_kernel
	.section	.text._ZN12_GLOBAL__N_120gemm_ex_scale_kernelILi32ELi32E19rocblas_complex_numIdEPKS2_PS2_EEviiT1_T2_lllT3_llli,"axG",@progbits,_ZN12_GLOBAL__N_120gemm_ex_scale_kernelILi32ELi32E19rocblas_complex_numIdEPKS2_PS2_EEviiT1_T2_lllT3_llli,comdat
.Lfunc_end117:
	.size	_ZN12_GLOBAL__N_120gemm_ex_scale_kernelILi32ELi32E19rocblas_complex_numIdEPKS2_PS2_EEviiT1_T2_lllT3_llli, .Lfunc_end117-_ZN12_GLOBAL__N_120gemm_ex_scale_kernelILi32ELi32E19rocblas_complex_numIdEPKS2_PS2_EEviiT1_T2_lllT3_llli
                                        ; -- End function
	.set _ZN12_GLOBAL__N_120gemm_ex_scale_kernelILi32ELi32E19rocblas_complex_numIdEPKS2_PS2_EEviiT1_T2_lllT3_llli.num_vgpr, 12
	.set _ZN12_GLOBAL__N_120gemm_ex_scale_kernelILi32ELi32E19rocblas_complex_numIdEPKS2_PS2_EEviiT1_T2_lllT3_llli.num_agpr, 0
	.set _ZN12_GLOBAL__N_120gemm_ex_scale_kernelILi32ELi32E19rocblas_complex_numIdEPKS2_PS2_EEviiT1_T2_lllT3_llli.numbered_sgpr, 26
	.set _ZN12_GLOBAL__N_120gemm_ex_scale_kernelILi32ELi32E19rocblas_complex_numIdEPKS2_PS2_EEviiT1_T2_lllT3_llli.num_named_barrier, 0
	.set _ZN12_GLOBAL__N_120gemm_ex_scale_kernelILi32ELi32E19rocblas_complex_numIdEPKS2_PS2_EEviiT1_T2_lllT3_llli.private_seg_size, 0
	.set _ZN12_GLOBAL__N_120gemm_ex_scale_kernelILi32ELi32E19rocblas_complex_numIdEPKS2_PS2_EEviiT1_T2_lllT3_llli.uses_vcc, 1
	.set _ZN12_GLOBAL__N_120gemm_ex_scale_kernelILi32ELi32E19rocblas_complex_numIdEPKS2_PS2_EEviiT1_T2_lllT3_llli.uses_flat_scratch, 0
	.set _ZN12_GLOBAL__N_120gemm_ex_scale_kernelILi32ELi32E19rocblas_complex_numIdEPKS2_PS2_EEviiT1_T2_lllT3_llli.has_dyn_sized_stack, 0
	.set _ZN12_GLOBAL__N_120gemm_ex_scale_kernelILi32ELi32E19rocblas_complex_numIdEPKS2_PS2_EEviiT1_T2_lllT3_llli.has_recursion, 0
	.set _ZN12_GLOBAL__N_120gemm_ex_scale_kernelILi32ELi32E19rocblas_complex_numIdEPKS2_PS2_EEviiT1_T2_lllT3_llli.has_indirect_call, 0
	.section	.AMDGPU.csdata,"",@progbits
; Kernel info:
; codeLenInByte = 360
; TotalNumSgprs: 32
; NumVgprs: 12
; NumAgprs: 0
; TotalNumVgprs: 12
; ScratchSize: 0
; MemoryBound: 0
; FloatMode: 240
; IeeeMode: 1
; LDSByteSize: 0 bytes/workgroup (compile time only)
; SGPRBlocks: 3
; VGPRBlocks: 1
; NumSGPRsForWavesPerEU: 32
; NumVGPRsForWavesPerEU: 12
; AccumOffset: 12
; Occupancy: 8
; WaveLimiterHint : 0
; COMPUTE_PGM_RSRC2:SCRATCH_EN: 0
; COMPUTE_PGM_RSRC2:USER_SGPR: 2
; COMPUTE_PGM_RSRC2:TRAP_HANDLER: 0
; COMPUTE_PGM_RSRC2:TGID_X_EN: 1
; COMPUTE_PGM_RSRC2:TGID_Y_EN: 1
; COMPUTE_PGM_RSRC2:TGID_Z_EN: 1
; COMPUTE_PGM_RSRC2:TIDIG_COMP_CNT: 1
; COMPUTE_PGM_RSRC3_GFX90A:ACCUM_OFFSET: 2
; COMPUTE_PGM_RSRC3_GFX90A:TG_SPLIT: 0
	.section	.text._ZN12_GLOBAL__N_127rocblas_gemm_batched_kernelI19rocblas_complex_numIdELi16ELi16ELi64ELi64ELi4ELi64ELi4ELi4ELi64ELc78ELc78EKS2_S3_S2_EEvlllT_PT11_llS6_llS4_PT12_llPT13_lli,"axG",@progbits,_ZN12_GLOBAL__N_127rocblas_gemm_batched_kernelI19rocblas_complex_numIdELi16ELi16ELi64ELi64ELi4ELi64ELi4ELi4ELi64ELc78ELc78EKS2_S3_S2_EEvlllT_PT11_llS6_llS4_PT12_llPT13_lli,comdat
	.globl	_ZN12_GLOBAL__N_127rocblas_gemm_batched_kernelI19rocblas_complex_numIdELi16ELi16ELi64ELi64ELi4ELi64ELi4ELi4ELi64ELc78ELc78EKS2_S3_S2_EEvlllT_PT11_llS6_llS4_PT12_llPT13_lli ; -- Begin function _ZN12_GLOBAL__N_127rocblas_gemm_batched_kernelI19rocblas_complex_numIdELi16ELi16ELi64ELi64ELi4ELi64ELi4ELi4ELi64ELc78ELc78EKS2_S3_S2_EEvlllT_PT11_llS6_llS4_PT12_llPT13_lli
	.p2align	8
	.type	_ZN12_GLOBAL__N_127rocblas_gemm_batched_kernelI19rocblas_complex_numIdELi16ELi16ELi64ELi64ELi4ELi64ELi4ELi4ELi64ELc78ELc78EKS2_S3_S2_EEvlllT_PT11_llS6_llS4_PT12_llPT13_lli,@function
_ZN12_GLOBAL__N_127rocblas_gemm_batched_kernelI19rocblas_complex_numIdELi16ELi16ELi64ELi64ELi4ELi64ELi4ELi4ELi64ELc78ELc78EKS2_S3_S2_EEvlllT_PT11_llS6_llS4_PT12_llPT13_lli: ; @_ZN12_GLOBAL__N_127rocblas_gemm_batched_kernelI19rocblas_complex_numIdELi16ELi16ELi64ELi64ELi4ELi64ELi4ELi4ELi64ELc78ELc78EKS2_S3_S2_EEvlllT_PT11_llS6_llS4_PT12_llPT13_lli
; %bb.0:
	s_load_dwordx16 s[36:51], s[0:1], 0x10
	s_load_dwordx16 s[8:23], s[0:1], 0x50
	s_mov_b32 s6, s3
	v_mov_b32_e32 v27, 0
	s_ashr_i32 s3, s2, 31
	s_ashr_i32 s7, s6, 31
	s_waitcnt lgkmcnt(0)
	v_cmp_lt_i64_e64 s[24:25], s[36:37], 1
	v_bfe_u32 v26, v0, 10, 10
	v_and_b32_e32 v24, 0x3ff, v0
	v_mov_b32_e32 v25, v27
	s_lshl_b64 s[2:3], s[2:3], 6
	s_lshl_b64 s[6:7], s[6:7], 6
	s_and_b64 vcc, exec, s[24:25]
	s_cbranch_vccnz .LBB118_3
; %bb.1:
	v_lshl_add_u32 v6, v26, 4, v24
	v_lshrrev_b32_e32 v0, 2, v6
	v_mov_b32_e32 v1, v27
	v_and_b32_e32 v4, 63, v6
	v_lshl_add_u64 v[2:3], v[0:1], 0, s[6:7]
	v_and_b32_e32 v1, 3, v24
	v_lshrrev_b32_e32 v7, 6, v6
	v_lshlrev_b32_e32 v6, 4, v4
	v_lshl_or_b32 v110, v7, 10, v6
	v_lshlrev_b32_e32 v6, 4, v1
	v_lshl_or_b32 v0, v0, 6, v6
	v_add_u32_e32 v111, 0x1000, v0
	v_mov_b32_e32 v0, 0x1000
	v_lshl_add_u32 v113, v26, 6, v0
	v_mov_b64_e32 v[0:1], s[2:3]
	s_mul_i32 s5, s47, s4
	s_mul_hi_u32 s24, s46, s4
	v_mad_u64_u32 v[0:1], s[26:27], s44, v7, v[0:1]
	s_add_i32 s25, s24, s5
	s_mul_i32 s24, s46, s4
	v_mov_b32_e32 v8, v1
	s_lshl_b64 s[24:25], s[24:25], 4
	v_mad_u64_u32 v[8:9], s[26:27], s45, v7, v[8:9]
	v_mov_b32_e32 v5, v27
	v_mov_b32_e32 v1, v8
	s_add_u32 s24, s42, s24
	v_lshl_add_u64 v[0:1], v[0:1], 0, v[4:5]
	s_addc_u32 s25, s43, s25
	s_mul_i32 s5, s9, s4
	s_mul_hi_u32 s9, s8, s4
	v_lshl_add_u64 v[28:29], v[0:1], 4, s[24:25]
	v_mul_lo_u32 v4, s51, v2
	v_mul_lo_u32 v3, s50, v3
	v_mad_u64_u32 v[0:1], s[26:27], s50, v2, 0
	s_add_i32 s9, s9, s5
	s_mul_i32 s8, s8, s4
	v_add3_u32 v1, v1, v3, v4
	s_lshl_b64 s[8:9], s[8:9], 4
	v_lshl_add_u64 v[0:1], v[0:1], 4, s[8:9]
	v_mov_b32_e32 v7, v27
	v_lshl_add_u64 v[0:1], v[0:1], 0, v[6:7]
	v_lshlrev_b32_e32 v112, 4, v24
	s_lshl_b64 s[24:25], s[44:45], 6
	v_lshl_add_u64 v[30:31], s[48:49], 0, v[0:1]
	s_mov_b64 s[8:9], 0
	v_mov_b64_e32 v[10:11], 0
	v_mov_b64_e32 v[32:33], s[36:37]
	;; [unrolled: 1-line block ×33, first 2 shown]
.LBB118_2:                              ; =>This Inner Loop Header: Depth=1
	global_load_dwordx4 v[0:3], v[28:29], off
	s_add_u32 s8, s8, 4
	s_addc_u32 s9, s9, 0
	v_cmp_lt_i64_e32 vcc, s[8:9], v[32:33]
	v_lshl_add_u64 v[28:29], v[28:29], 0, s[24:25]
	s_and_b64 vcc, exec, vcc
	s_waitcnt vmcnt(0)
	ds_write2_b64 v110, v[0:1], v[2:3] offset1:1
	global_load_dwordx4 v[0:3], v[30:31], off
	v_lshl_add_u64 v[30:31], v[30:31], 0, 64
	s_waitcnt vmcnt(0)
	ds_write2_b64 v111, v[0:1], v[2:3] offset1:1
	s_waitcnt lgkmcnt(0)
	s_barrier
	ds_read_b128 v[82:85], v113
	ds_read_b128 v[114:117], v113 offset:16
	ds_read_b128 v[4:7], v113 offset:32
	;; [unrolled: 1-line block ×3, first 2 shown]
	ds_read_b128 v[118:121], v112
	s_waitcnt lgkmcnt(0)
	v_mul_f64 v[86:87], v[84:85], v[120:121]
	v_mul_f64 v[88:89], v[82:83], v[120:121]
	v_fma_f64 v[86:87], v[82:83], v[118:119], -v[86:87]
	v_fmac_f64_e32 v[88:89], v[84:85], v[118:119]
	v_add_f64 v[122:123], v[54:55], v[86:87]
	v_add_f64 v[124:125], v[88:89], v[56:57]
	ds_read_b128 v[54:57], v112 offset:256
	s_waitcnt lgkmcnt(0)
	v_mul_f64 v[86:87], v[84:85], v[56:57]
	v_mul_f64 v[88:89], v[82:83], v[56:57]
	v_fma_f64 v[86:87], v[82:83], v[54:55], -v[86:87]
	v_fmac_f64_e32 v[88:89], v[84:85], v[54:55]
	v_add_f64 v[126:127], v[38:39], v[86:87]
	v_add_f64 v[128:129], v[88:89], v[40:41]
	ds_read_b128 v[38:41], v112 offset:512
	;; [unrolled: 8-line block ×3, first 2 shown]
	s_waitcnt lgkmcnt(0)
	v_mul_f64 v[86:87], v[84:85], v[36:37]
	v_fma_f64 v[86:87], v[82:83], v[34:35], -v[86:87]
	v_mul_f64 v[82:83], v[82:83], v[36:37]
	v_fmac_f64_e32 v[82:83], v[84:85], v[34:35]
	v_add_f64 v[134:135], v[20:21], v[86:87]
	v_add_f64 v[136:137], v[82:83], v[22:23]
	ds_read_b128 v[20:23], v113 offset:1024
	s_waitcnt lgkmcnt(0)
	v_mul_f64 v[82:83], v[22:23], v[120:121]
	v_fma_f64 v[82:83], v[20:21], v[118:119], -v[82:83]
	v_add_f64 v[74:75], v[74:75], v[82:83]
	v_mul_f64 v[82:83], v[22:23], v[56:57]
	v_mul_f64 v[84:85], v[20:21], v[120:121]
	v_fma_f64 v[82:83], v[20:21], v[54:55], -v[82:83]
	v_fmac_f64_e32 v[84:85], v[22:23], v[118:119]
	v_add_f64 v[98:99], v[66:67], v[82:83]
	v_mul_f64 v[66:67], v[22:23], v[40:41]
	v_add_f64 v[76:77], v[84:85], v[76:77]
	v_mul_f64 v[84:85], v[20:21], v[56:57]
	v_fma_f64 v[66:67], v[20:21], v[38:39], -v[66:67]
	v_fmac_f64_e32 v[84:85], v[22:23], v[54:55]
	v_add_f64 v[102:103], v[58:59], v[66:67]
	v_mul_f64 v[58:59], v[22:23], v[36:37]
	v_add_f64 v[100:101], v[84:85], v[68:69]
	v_mul_f64 v[68:69], v[20:21], v[40:41]
	v_fma_f64 v[58:59], v[20:21], v[34:35], -v[58:59]
	v_mul_f64 v[20:21], v[20:21], v[36:37]
	v_fmac_f64_e32 v[20:21], v[22:23], v[34:35]
	v_fmac_f64_e32 v[68:69], v[22:23], v[38:39]
	v_add_f64 v[108:109], v[20:21], v[50:51]
	ds_read_b128 v[20:23], v113 offset:2048
	v_add_f64 v[106:107], v[46:47], v[58:59]
	v_add_f64 v[104:105], v[68:69], v[62:63]
	s_waitcnt lgkmcnt(0)
	v_mul_f64 v[46:47], v[22:23], v[120:121]
	v_fma_f64 v[46:47], v[20:21], v[118:119], -v[46:47]
	v_add_f64 v[82:83], v[70:71], v[46:47]
	v_mul_f64 v[46:47], v[22:23], v[56:57]
	v_mul_f64 v[50:51], v[20:21], v[120:121]
	v_fma_f64 v[46:47], v[20:21], v[54:55], -v[46:47]
	v_fmac_f64_e32 v[50:51], v[22:23], v[118:119]
	v_add_f64 v[86:87], v[60:61], v[46:47]
	v_mul_f64 v[46:47], v[22:23], v[40:41]
	v_add_f64 v[84:85], v[50:51], v[72:73]
	v_mul_f64 v[50:51], v[20:21], v[56:57]
	v_fma_f64 v[46:47], v[20:21], v[38:39], -v[46:47]
	v_fmac_f64_e32 v[50:51], v[22:23], v[54:55]
	v_add_f64 v[90:91], v[48:49], v[46:47]
	v_mul_f64 v[46:47], v[22:23], v[36:37]
	v_add_f64 v[88:89], v[50:51], v[64:65]
	v_mul_f64 v[50:51], v[20:21], v[40:41]
	v_fma_f64 v[46:47], v[20:21], v[34:35], -v[46:47]
	v_mul_f64 v[20:21], v[20:21], v[36:37]
	v_fmac_f64_e32 v[20:21], v[22:23], v[34:35]
	v_fmac_f64_e32 v[50:51], v[22:23], v[38:39]
	v_add_f64 v[96:97], v[20:21], v[44:45]
	ds_read_b128 v[20:23], v113 offset:3072
	v_add_f64 v[94:95], v[42:43], v[46:47]
	v_add_f64 v[92:93], v[50:51], v[52:53]
	s_waitcnt lgkmcnt(0)
	v_mul_f64 v[42:43], v[22:23], v[120:121]
	v_mul_f64 v[44:45], v[20:21], v[120:121]
	v_fma_f64 v[42:43], v[20:21], v[118:119], -v[42:43]
	v_fmac_f64_e32 v[44:45], v[22:23], v[118:119]
	v_add_f64 v[62:63], v[78:79], v[42:43]
	v_add_f64 v[64:65], v[44:45], v[80:81]
	v_mul_f64 v[42:43], v[22:23], v[56:57]
	v_mul_f64 v[44:45], v[20:21], v[56:57]
	v_fma_f64 v[42:43], v[20:21], v[54:55], -v[42:43]
	v_fmac_f64_e32 v[44:45], v[22:23], v[54:55]
	v_add_f64 v[58:59], v[16:17], v[42:43]
	v_add_f64 v[60:61], v[44:45], v[18:19]
	;; [unrolled: 6-line block ×3, first 2 shown]
	v_mul_f64 v[12:13], v[22:23], v[36:37]
	v_mul_f64 v[14:15], v[20:21], v[36:37]
	v_fma_f64 v[12:13], v[20:21], v[34:35], -v[12:13]
	v_fmac_f64_e32 v[14:15], v[22:23], v[34:35]
	ds_read_b128 v[20:23], v112 offset:1024
	ds_read_b128 v[16:19], v112 offset:1280
	v_add_f64 v[50:51], v[8:9], v[12:13]
	v_add_f64 v[52:53], v[14:15], v[10:11]
	ds_read_b128 v[12:15], v112 offset:1536
	ds_read_b128 v[78:81], v113 offset:1040
	s_waitcnt lgkmcnt(3)
	v_mul_f64 v[8:9], v[116:117], v[22:23]
	v_mul_f64 v[10:11], v[114:115], v[22:23]
	v_fma_f64 v[8:9], v[114:115], v[20:21], -v[8:9]
	v_fmac_f64_e32 v[10:11], v[116:117], v[20:21]
	v_add_f64 v[46:47], v[122:123], v[8:9]
	v_add_f64 v[48:49], v[10:11], v[124:125]
	s_waitcnt lgkmcnt(2)
	v_mul_f64 v[8:9], v[116:117], v[18:19]
	v_mul_f64 v[10:11], v[114:115], v[18:19]
	v_fma_f64 v[8:9], v[114:115], v[16:17], -v[8:9]
	v_fmac_f64_e32 v[10:11], v[116:117], v[16:17]
	v_add_f64 v[42:43], v[126:127], v[8:9]
	v_add_f64 v[44:45], v[10:11], v[128:129]
	;; [unrolled: 7-line block ×3, first 2 shown]
	ds_read_b128 v[8:11], v112 offset:1792
	s_waitcnt lgkmcnt(1)
	v_mul_f64 v[70:71], v[80:81], v[18:19]
	v_mul_f64 v[72:73], v[78:79], v[18:19]
	;; [unrolled: 1-line block ×4, first 2 shown]
	v_fma_f64 v[70:71], v[78:79], v[16:17], -v[70:71]
	v_fmac_f64_e32 v[72:73], v[80:81], v[16:17]
	v_fma_f64 v[66:67], v[78:79], v[20:21], -v[66:67]
	v_fmac_f64_e32 v[68:69], v[80:81], v[20:21]
	v_add_f64 v[70:71], v[98:99], v[70:71]
	v_add_f64 v[72:73], v[72:73], v[100:101]
	s_waitcnt lgkmcnt(0)
	v_mul_f64 v[98:99], v[80:81], v[10:11]
	v_mul_f64 v[100:101], v[78:79], v[10:11]
	v_add_f64 v[66:67], v[74:75], v[66:67]
	v_add_f64 v[68:69], v[68:69], v[76:77]
	v_mul_f64 v[74:75], v[80:81], v[14:15]
	v_mul_f64 v[76:77], v[78:79], v[14:15]
	v_fma_f64 v[98:99], v[78:79], v[8:9], -v[98:99]
	v_fmac_f64_e32 v[100:101], v[80:81], v[8:9]
	v_fma_f64 v[74:75], v[78:79], v[12:13], -v[74:75]
	v_fmac_f64_e32 v[76:77], v[80:81], v[12:13]
	v_add_f64 v[78:79], v[106:107], v[98:99]
	v_add_f64 v[80:81], v[100:101], v[108:109]
	ds_read_b128 v[98:101], v113 offset:2064
	v_add_f64 v[74:75], v[102:103], v[74:75]
	v_add_f64 v[76:77], v[76:77], v[104:105]
	v_mul_f64 v[34:35], v[116:117], v[10:11]
	v_mul_f64 v[36:37], v[114:115], v[10:11]
	s_waitcnt lgkmcnt(0)
	v_mul_f64 v[102:103], v[100:101], v[22:23]
	v_mul_f64 v[104:105], v[98:99], v[22:23]
	v_fma_f64 v[102:103], v[98:99], v[20:21], -v[102:103]
	v_fmac_f64_e32 v[104:105], v[100:101], v[20:21]
	v_add_f64 v[82:83], v[82:83], v[102:103]
	v_add_f64 v[84:85], v[104:105], v[84:85]
	v_mul_f64 v[102:103], v[100:101], v[18:19]
	v_mul_f64 v[104:105], v[98:99], v[18:19]
	v_fma_f64 v[102:103], v[98:99], v[16:17], -v[102:103]
	v_fmac_f64_e32 v[104:105], v[100:101], v[16:17]
	v_add_f64 v[86:87], v[86:87], v[102:103]
	v_add_f64 v[88:89], v[104:105], v[88:89]
	;; [unrolled: 6-line block ×4, first 2 shown]
	ds_read_b128 v[94:97], v113 offset:3088
	v_fma_f64 v[34:35], v[114:115], v[8:9], -v[34:35]
	v_fmac_f64_e32 v[36:37], v[116:117], v[8:9]
	v_add_f64 v[36:37], v[36:37], v[136:137]
	v_add_f64 v[34:35], v[134:135], v[34:35]
	s_waitcnt lgkmcnt(0)
	v_mul_f64 v[102:103], v[96:97], v[22:23]
	v_mul_f64 v[22:23], v[94:95], v[22:23]
	v_fma_f64 v[102:103], v[94:95], v[20:21], -v[102:103]
	v_fmac_f64_e32 v[22:23], v[96:97], v[20:21]
	v_mul_f64 v[20:21], v[96:97], v[18:19]
	v_mul_f64 v[18:19], v[94:95], v[18:19]
	v_fma_f64 v[20:21], v[94:95], v[16:17], -v[20:21]
	v_fmac_f64_e32 v[18:19], v[96:97], v[16:17]
	;; [unrolled: 4-line block ×3, first 2 shown]
	v_mul_f64 v[12:13], v[96:97], v[10:11]
	v_mul_f64 v[10:11], v[94:95], v[10:11]
	v_fmac_f64_e32 v[10:11], v[96:97], v[8:9]
	v_fma_f64 v[12:13], v[94:95], v[8:9], -v[12:13]
	v_add_f64 v[116:117], v[10:11], v[52:53]
	ds_read_b128 v[8:11], v112 offset:2048
	v_add_f64 v[56:57], v[14:15], v[56:57]
	v_add_f64 v[114:115], v[50:51], v[12:13]
	;; [unrolled: 1-line block ×4, first 2 shown]
	s_waitcnt lgkmcnt(0)
	v_mul_f64 v[12:13], v[6:7], v[10:11]
	v_mul_f64 v[14:15], v[4:5], v[10:11]
	v_fma_f64 v[12:13], v[4:5], v[8:9], -v[12:13]
	v_fmac_f64_e32 v[14:15], v[6:7], v[8:9]
	v_add_f64 v[118:119], v[46:47], v[12:13]
	v_add_f64 v[120:121], v[14:15], v[48:49]
	ds_read_b128 v[12:15], v112 offset:2304
	v_add_f64 v[104:105], v[22:23], v[64:65]
	v_add_f64 v[106:107], v[58:59], v[20:21]
	;; [unrolled: 1-line block ×3, first 2 shown]
	s_waitcnt lgkmcnt(0)
	v_mul_f64 v[16:17], v[6:7], v[14:15]
	v_mul_f64 v[18:19], v[4:5], v[14:15]
	v_fma_f64 v[16:17], v[4:5], v[12:13], -v[16:17]
	v_fmac_f64_e32 v[18:19], v[6:7], v[12:13]
	v_add_f64 v[122:123], v[42:43], v[16:17]
	v_add_f64 v[124:125], v[18:19], v[44:45]
	ds_read_b128 v[16:19], v112 offset:2560
	s_waitcnt lgkmcnt(0)
	v_mul_f64 v[20:21], v[6:7], v[18:19]
	v_mul_f64 v[22:23], v[4:5], v[18:19]
	v_fma_f64 v[20:21], v[4:5], v[16:17], -v[20:21]
	v_fmac_f64_e32 v[22:23], v[6:7], v[16:17]
	v_add_f64 v[126:127], v[38:39], v[20:21]
	v_add_f64 v[128:129], v[22:23], v[40:41]
	ds_read_b128 v[20:23], v112 offset:2816
	s_waitcnt lgkmcnt(0)
	v_mul_f64 v[38:39], v[6:7], v[22:23]
	v_fma_f64 v[38:39], v[4:5], v[20:21], -v[38:39]
	v_mul_f64 v[4:5], v[4:5], v[22:23]
	v_fmac_f64_e32 v[4:5], v[6:7], v[20:21]
	v_add_f64 v[132:133], v[4:5], v[36:37]
	ds_read_b128 v[4:7], v113 offset:1056
	v_add_f64 v[130:131], v[34:35], v[38:39]
	s_waitcnt lgkmcnt(0)
	v_mul_f64 v[34:35], v[6:7], v[10:11]
	v_fma_f64 v[34:35], v[4:5], v[8:9], -v[34:35]
	v_add_f64 v[46:47], v[66:67], v[34:35]
	v_mul_f64 v[34:35], v[6:7], v[14:15]
	v_mul_f64 v[36:37], v[4:5], v[10:11]
	v_fma_f64 v[34:35], v[4:5], v[12:13], -v[34:35]
	v_fmac_f64_e32 v[36:37], v[6:7], v[8:9]
	v_add_f64 v[58:59], v[70:71], v[34:35]
	v_mul_f64 v[34:35], v[6:7], v[18:19]
	v_add_f64 v[50:51], v[36:37], v[68:69]
	v_mul_f64 v[36:37], v[4:5], v[14:15]
	v_fma_f64 v[34:35], v[4:5], v[16:17], -v[34:35]
	v_fmac_f64_e32 v[36:37], v[6:7], v[12:13]
	v_add_f64 v[62:63], v[74:75], v[34:35]
	v_mul_f64 v[34:35], v[6:7], v[22:23]
	v_add_f64 v[60:61], v[36:37], v[72:73]
	v_mul_f64 v[36:37], v[4:5], v[18:19]
	v_fma_f64 v[34:35], v[4:5], v[20:21], -v[34:35]
	v_mul_f64 v[4:5], v[4:5], v[22:23]
	v_fmac_f64_e32 v[4:5], v[6:7], v[20:21]
	v_fmac_f64_e32 v[36:37], v[6:7], v[16:17]
	v_add_f64 v[72:73], v[4:5], v[80:81]
	ds_read_b128 v[4:7], v113 offset:2080
	v_add_f64 v[70:71], v[78:79], v[34:35]
	v_add_f64 v[64:65], v[36:37], v[76:77]
	s_waitcnt lgkmcnt(0)
	v_mul_f64 v[34:35], v[6:7], v[10:11]
	v_fma_f64 v[34:35], v[4:5], v[8:9], -v[34:35]
	v_add_f64 v[42:43], v[82:83], v[34:35]
	v_mul_f64 v[34:35], v[6:7], v[14:15]
	v_mul_f64 v[36:37], v[4:5], v[10:11]
	v_fma_f64 v[34:35], v[4:5], v[12:13], -v[34:35]
	v_fmac_f64_e32 v[36:37], v[6:7], v[8:9]
	v_add_f64 v[48:49], v[86:87], v[34:35]
	v_mul_f64 v[34:35], v[6:7], v[18:19]
	v_add_f64 v[44:45], v[36:37], v[84:85]
	v_mul_f64 v[36:37], v[4:5], v[14:15]
	v_fma_f64 v[34:35], v[4:5], v[16:17], -v[34:35]
	v_fmac_f64_e32 v[36:37], v[6:7], v[12:13]
	v_add_f64 v[94:95], v[90:91], v[34:35]
	v_mul_f64 v[34:35], v[6:7], v[22:23]
	v_add_f64 v[52:53], v[36:37], v[88:89]
	v_mul_f64 v[36:37], v[4:5], v[18:19]
	v_fma_f64 v[34:35], v[4:5], v[20:21], -v[34:35]
	v_mul_f64 v[4:5], v[4:5], v[22:23]
	v_fmac_f64_e32 v[4:5], v[6:7], v[20:21]
	v_fmac_f64_e32 v[36:37], v[6:7], v[16:17]
	v_add_f64 v[100:101], v[4:5], v[100:101]
	ds_read_b128 v[4:7], v113 offset:3104
	v_add_f64 v[98:99], v[98:99], v[34:35]
	v_add_f64 v[96:97], v[36:37], v[92:93]
	s_waitcnt lgkmcnt(0)
	v_mul_f64 v[34:35], v[6:7], v[10:11]
	v_mul_f64 v[10:11], v[4:5], v[10:11]
	v_fmac_f64_e32 v[10:11], v[6:7], v[8:9]
	v_fma_f64 v[34:35], v[4:5], v[8:9], -v[34:35]
	v_add_f64 v[80:81], v[10:11], v[104:105]
	v_mul_f64 v[8:9], v[6:7], v[14:15]
	v_mul_f64 v[10:11], v[4:5], v[14:15]
	v_fma_f64 v[8:9], v[4:5], v[12:13], -v[8:9]
	v_fmac_f64_e32 v[10:11], v[6:7], v[12:13]
	v_add_f64 v[90:91], v[106:107], v[8:9]
	v_add_f64 v[92:93], v[10:11], v[108:109]
	v_mul_f64 v[8:9], v[6:7], v[18:19]
	v_mul_f64 v[10:11], v[4:5], v[18:19]
	v_fma_f64 v[8:9], v[4:5], v[16:17], -v[8:9]
	v_fmac_f64_e32 v[10:11], v[6:7], v[16:17]
	ds_read_b128 v[16:19], v112 offset:3072
	ds_read_b128 v[12:15], v112 offset:3328
	v_add_f64 v[86:87], v[54:55], v[8:9]
	v_mul_f64 v[8:9], v[6:7], v[22:23]
	v_fma_f64 v[8:9], v[4:5], v[20:21], -v[8:9]
	v_mul_f64 v[4:5], v[4:5], v[22:23]
	v_add_f64 v[88:89], v[10:11], v[56:57]
	v_fmac_f64_e32 v[4:5], v[6:7], v[20:21]
	v_add_f64 v[82:83], v[114:115], v[8:9]
	ds_read_b128 v[8:11], v112 offset:3584
	v_add_f64 v[84:85], v[4:5], v[116:117]
	s_waitcnt lgkmcnt(2)
	v_mul_f64 v[4:5], v[2:3], v[18:19]
	v_mul_f64 v[6:7], v[0:1], v[18:19]
	v_fma_f64 v[4:5], v[0:1], v[16:17], -v[4:5]
	v_fmac_f64_e32 v[6:7], v[2:3], v[16:17]
	v_add_f64 v[54:55], v[118:119], v[4:5]
	v_add_f64 v[56:57], v[6:7], v[120:121]
	s_waitcnt lgkmcnt(1)
	v_mul_f64 v[4:5], v[2:3], v[14:15]
	v_mul_f64 v[6:7], v[0:1], v[14:15]
	v_fma_f64 v[4:5], v[0:1], v[12:13], -v[4:5]
	v_fmac_f64_e32 v[6:7], v[2:3], v[12:13]
	v_add_f64 v[38:39], v[122:123], v[4:5]
	;; [unrolled: 7-line block ×3, first 2 shown]
	v_add_f64 v[34:35], v[126:127], v[4:5]
	v_add_f64 v[36:37], v[6:7], v[128:129]
	ds_read_b128 v[4:7], v112 offset:3840
	s_waitcnt lgkmcnt(0)
	v_mul_f64 v[20:21], v[2:3], v[6:7]
	v_fma_f64 v[20:21], v[0:1], v[4:5], -v[20:21]
	v_mul_f64 v[0:1], v[0:1], v[6:7]
	v_fmac_f64_e32 v[0:1], v[2:3], v[4:5]
	v_add_f64 v[22:23], v[0:1], v[132:133]
	ds_read_b128 v[0:3], v113 offset:1072
	v_add_f64 v[20:21], v[130:131], v[20:21]
	s_waitcnt lgkmcnt(0)
	v_mul_f64 v[66:67], v[2:3], v[18:19]
	v_fma_f64 v[66:67], v[0:1], v[16:17], -v[66:67]
	v_add_f64 v[74:75], v[46:47], v[66:67]
	v_mul_f64 v[46:47], v[2:3], v[14:15]
	v_mul_f64 v[68:69], v[0:1], v[18:19]
	v_fma_f64 v[46:47], v[0:1], v[12:13], -v[46:47]
	v_fmac_f64_e32 v[68:69], v[2:3], v[16:17]
	v_add_f64 v[66:67], v[58:59], v[46:47]
	v_mul_f64 v[46:47], v[2:3], v[10:11]
	v_add_f64 v[76:77], v[68:69], v[50:51]
	v_mul_f64 v[50:51], v[0:1], v[14:15]
	v_fma_f64 v[46:47], v[0:1], v[8:9], -v[46:47]
	v_fmac_f64_e32 v[50:51], v[2:3], v[12:13]
	v_add_f64 v[58:59], v[62:63], v[46:47]
	v_mul_f64 v[46:47], v[2:3], v[6:7]
	v_add_f64 v[68:69], v[50:51], v[60:61]
	v_mul_f64 v[50:51], v[0:1], v[10:11]
	v_fma_f64 v[46:47], v[0:1], v[4:5], -v[46:47]
	v_mul_f64 v[0:1], v[0:1], v[6:7]
	v_fmac_f64_e32 v[50:51], v[2:3], v[8:9]
	v_fmac_f64_e32 v[0:1], v[2:3], v[4:5]
	v_add_f64 v[62:63], v[50:51], v[64:65]
	v_add_f64 v[50:51], v[0:1], v[72:73]
	ds_read_b128 v[0:3], v113 offset:2096
	v_add_f64 v[46:47], v[70:71], v[46:47]
	s_waitcnt lgkmcnt(0)
	v_mul_f64 v[60:61], v[2:3], v[18:19]
	v_fma_f64 v[60:61], v[0:1], v[16:17], -v[60:61]
	v_add_f64 v[70:71], v[42:43], v[60:61]
	v_mul_f64 v[42:43], v[2:3], v[14:15]
	v_mul_f64 v[64:65], v[0:1], v[18:19]
	v_fma_f64 v[42:43], v[0:1], v[12:13], -v[42:43]
	v_fmac_f64_e32 v[64:65], v[2:3], v[16:17]
	v_add_f64 v[60:61], v[48:49], v[42:43]
	v_mul_f64 v[42:43], v[2:3], v[10:11]
	v_add_f64 v[72:73], v[64:65], v[44:45]
	v_mul_f64 v[44:45], v[0:1], v[14:15]
	v_fma_f64 v[42:43], v[0:1], v[8:9], -v[42:43]
	v_fmac_f64_e32 v[44:45], v[2:3], v[12:13]
	v_add_f64 v[48:49], v[94:95], v[42:43]
	v_mul_f64 v[42:43], v[2:3], v[6:7]
	v_add_f64 v[64:65], v[44:45], v[52:53]
	v_mul_f64 v[44:45], v[0:1], v[10:11]
	v_fma_f64 v[42:43], v[0:1], v[4:5], -v[42:43]
	v_mul_f64 v[0:1], v[0:1], v[6:7]
	v_fmac_f64_e32 v[44:45], v[2:3], v[8:9]
	v_fmac_f64_e32 v[0:1], v[2:3], v[4:5]
	v_add_f64 v[52:53], v[44:45], v[96:97]
	v_add_f64 v[44:45], v[0:1], v[100:101]
	ds_read_b128 v[0:3], v113 offset:3120
	v_add_f64 v[42:43], v[98:99], v[42:43]
	s_waitcnt lgkmcnt(0)
	s_barrier
	v_mul_f64 v[94:95], v[2:3], v[18:19]
	v_mul_f64 v[18:19], v[0:1], v[18:19]
	v_fma_f64 v[94:95], v[0:1], v[16:17], -v[94:95]
	v_fmac_f64_e32 v[18:19], v[2:3], v[16:17]
	v_mul_f64 v[16:17], v[2:3], v[14:15]
	v_mul_f64 v[14:15], v[0:1], v[14:15]
	v_fma_f64 v[16:17], v[0:1], v[12:13], -v[16:17]
	v_fmac_f64_e32 v[14:15], v[2:3], v[12:13]
	;; [unrolled: 4-line block ×3, first 2 shown]
	v_mul_f64 v[8:9], v[2:3], v[6:7]
	v_fma_f64 v[8:9], v[0:1], v[4:5], -v[8:9]
	v_mul_f64 v[0:1], v[0:1], v[6:7]
	v_fmac_f64_e32 v[0:1], v[2:3], v[4:5]
	v_add_f64 v[78:79], v[78:79], v[94:95]
	v_add_f64 v[80:81], v[18:19], v[80:81]
	;; [unrolled: 1-line block ×8, first 2 shown]
	s_cbranch_vccnz .LBB118_2
	s_branch .LBB118_4
.LBB118_3:
	v_mov_b64_e32 v[54:55], 0
	v_mov_b64_e32 v[56:57], 0
	;; [unrolled: 1-line block ×32, first 2 shown]
.LBB118_4:
	s_load_dwordx2 s[0:1], s[0:1], 0x90
	v_cmp_neq_f64_e64 s[8:9], s[10:11], 0
	v_lshl_add_u64 v[2:3], s[6:7], 0, v[26:27]
	s_mov_b64 s[6:7], 0
	v_lshl_add_u64 v[0:1], s[2:3], 0, v[24:25]
	s_waitcnt lgkmcnt(0)
	s_mul_i32 s1, s1, s4
	s_mul_hi_u32 s5, s0, s4
	s_mul_i32 s0, s0, s4
	s_add_i32 s1, s5, s1
	s_lshl_b64 s[0:1], s[0:1], 4
	s_add_u32 s0, s20, s0
	s_addc_u32 s1, s21, s1
	v_cmp_neq_f64_e64 s[20:21], s[12:13], 0
	s_or_b64 s[8:9], s[8:9], s[20:21]
	s_and_b64 vcc, exec, s[8:9]
	s_cbranch_vccnz .LBB118_6
; %bb.5:
	v_mul_lo_u32 v6, v3, s22
	v_mul_lo_u32 v7, v2, s23
	v_mad_u64_u32 v[4:5], s[2:3], v2, s22, 0
	v_add3_u32 v5, v5, v7, v6
	v_lshl_add_u64 v[24:25], v[4:5], 4, s[0:1]
	v_mul_f64 v[4:5], s[40:41], v[56:57]
	v_mul_f64 v[6:7], s[38:39], v[56:57]
	v_lshlrev_b64 v[26:27], 4, v[0:1]
	v_fma_f64 v[4:5], s[38:39], v[54:55], -v[4:5]
	v_fmac_f64_e32 v[6:7], s[40:41], v[54:55]
	v_lshl_add_u64 v[28:29], v[24:25], 0, v[26:27]
	global_store_dwordx4 v[28:29], v[4:7], off
	s_lshl_b64 s[2:3], s[22:23], 8
	v_lshl_add_u64 v[24:25], v[24:25], 0, s[2:3]
	v_mul_f64 v[4:5], s[40:41], v[40:41]
	v_mul_f64 v[6:7], s[38:39], v[40:41]
	v_fma_f64 v[4:5], s[38:39], v[38:39], -v[4:5]
	v_fmac_f64_e32 v[6:7], s[40:41], v[38:39]
	global_store_dwordx4 v[28:29], v[4:7], off offset:256
	s_nop 1
	v_mul_f64 v[4:5], s[40:41], v[36:37]
	v_mul_f64 v[6:7], s[38:39], v[36:37]
	v_fma_f64 v[4:5], s[38:39], v[34:35], -v[4:5]
	v_fmac_f64_e32 v[6:7], s[40:41], v[34:35]
	global_store_dwordx4 v[28:29], v[4:7], off offset:512
	s_nop 1
	v_mul_f64 v[4:5], s[40:41], v[22:23]
	v_mul_f64 v[6:7], s[38:39], v[22:23]
	v_fma_f64 v[4:5], s[38:39], v[20:21], -v[4:5]
	v_fmac_f64_e32 v[6:7], s[40:41], v[20:21]
	global_store_dwordx4 v[28:29], v[4:7], off offset:768
	v_lshl_add_u64 v[28:29], v[24:25], 0, v[26:27]
	v_lshl_add_u64 v[24:25], v[24:25], 0, s[2:3]
	v_mul_f64 v[4:5], s[40:41], v[76:77]
	v_mul_f64 v[6:7], s[38:39], v[76:77]
	v_fma_f64 v[4:5], s[38:39], v[74:75], -v[4:5]
	v_fmac_f64_e32 v[6:7], s[40:41], v[74:75]
	global_store_dwordx4 v[28:29], v[4:7], off
	s_nop 1
	v_mul_f64 v[4:5], s[40:41], v[68:69]
	v_mul_f64 v[6:7], s[38:39], v[68:69]
	v_fma_f64 v[4:5], s[38:39], v[66:67], -v[4:5]
	v_fmac_f64_e32 v[6:7], s[40:41], v[66:67]
	global_store_dwordx4 v[28:29], v[4:7], off offset:256
	s_nop 1
	v_mul_f64 v[4:5], s[40:41], v[62:63]
	v_mul_f64 v[6:7], s[38:39], v[62:63]
	v_fma_f64 v[4:5], s[38:39], v[58:59], -v[4:5]
	v_fmac_f64_e32 v[6:7], s[40:41], v[58:59]
	global_store_dwordx4 v[28:29], v[4:7], off offset:512
	;; [unrolled: 6-line block ×3, first 2 shown]
	v_lshl_add_u64 v[28:29], v[24:25], 0, v[26:27]
	v_lshl_add_u64 v[24:25], v[24:25], 0, s[2:3]
	v_mul_f64 v[4:5], s[40:41], v[72:73]
	v_mul_f64 v[6:7], s[38:39], v[72:73]
	v_fma_f64 v[4:5], s[38:39], v[70:71], -v[4:5]
	v_fmac_f64_e32 v[6:7], s[40:41], v[70:71]
	global_store_dwordx4 v[28:29], v[4:7], off
	v_lshl_add_u64 v[24:25], v[24:25], 0, v[26:27]
	s_mov_b64 s[2:3], 0x300
	v_mul_f64 v[4:5], s[40:41], v[64:65]
	v_mul_f64 v[6:7], s[38:39], v[64:65]
	v_fma_f64 v[4:5], s[38:39], v[60:61], -v[4:5]
	v_fmac_f64_e32 v[6:7], s[40:41], v[60:61]
	global_store_dwordx4 v[28:29], v[4:7], off offset:256
	s_nop 1
	v_mul_f64 v[4:5], s[40:41], v[52:53]
	v_mul_f64 v[6:7], s[38:39], v[52:53]
	v_fma_f64 v[4:5], s[38:39], v[48:49], -v[4:5]
	v_fmac_f64_e32 v[6:7], s[40:41], v[48:49]
	global_store_dwordx4 v[28:29], v[4:7], off offset:512
	s_nop 1
	v_mul_f64 v[4:5], s[40:41], v[44:45]
	v_mul_f64 v[6:7], s[38:39], v[44:45]
	v_fma_f64 v[4:5], s[38:39], v[42:43], -v[4:5]
	v_fmac_f64_e32 v[6:7], s[40:41], v[42:43]
	global_store_dwordx4 v[28:29], v[4:7], off offset:768
	s_nop 1
	v_mul_f64 v[4:5], s[40:41], v[80:81]
	v_mul_f64 v[6:7], s[38:39], v[80:81]
	v_fma_f64 v[4:5], s[38:39], v[78:79], -v[4:5]
	v_fmac_f64_e32 v[6:7], s[40:41], v[78:79]
	global_store_dwordx4 v[24:25], v[4:7], off
	s_nop 1
	v_mul_f64 v[4:5], s[40:41], v[18:19]
	v_mul_f64 v[6:7], s[38:39], v[18:19]
	v_fma_f64 v[4:5], s[38:39], v[16:17], -v[4:5]
	v_fmac_f64_e32 v[6:7], s[40:41], v[16:17]
	global_store_dwordx4 v[24:25], v[4:7], off offset:256
	s_nop 1
	v_mul_f64 v[4:5], s[40:41], v[14:15]
	v_mul_f64 v[6:7], s[38:39], v[14:15]
	v_fma_f64 v[4:5], s[38:39], v[12:13], -v[4:5]
	v_fmac_f64_e32 v[6:7], s[40:41], v[12:13]
	global_store_dwordx4 v[24:25], v[4:7], off offset:512
	s_nop 1
	v_mul_f64 v[4:5], s[40:41], v[10:11]
	v_fma_f64 v[26:27], s[38:39], v[8:9], -v[4:5]
	v_mul_f64 v[4:5], s[38:39], v[10:11]
	v_fmac_f64_e32 v[4:5], s[40:41], v[8:9]
	v_lshl_add_u64 v[6:7], v[24:25], 0, s[2:3]
	global_store_dwordx2 v[24:25], v[26:27], off offset:768
	s_andn2_b64 vcc, exec, s[6:7]
	s_cbranch_vccz .LBB118_7
	s_branch .LBB118_8
.LBB118_6:
                                        ; implicit-def: $vgpr4_vgpr5
                                        ; implicit-def: $vgpr6_vgpr7
.LBB118_7:
	s_mul_i32 s2, s19, s4
	s_mul_hi_u32 s3, s18, s4
	s_add_i32 s3, s3, s2
	s_mul_i32 s2, s18, s4
	s_lshl_b64 s[2:3], s[2:3], 4
	s_add_u32 s2, s14, s2
	v_mul_lo_u32 v6, v3, s16
	v_mul_lo_u32 v7, v2, s17
	v_mad_u64_u32 v[4:5], s[4:5], v2, s16, 0
	s_addc_u32 s3, s15, s3
	v_add3_u32 v5, v5, v7, v6
	v_lshl_add_u64 v[24:25], v[4:5], 4, s[2:3]
	v_lshlrev_b64 v[0:1], 4, v[0:1]
	v_lshl_add_u64 v[26:27], v[24:25], 0, v[0:1]
	global_load_dwordx4 v[4:7], v[26:27], off
	v_mul_lo_u32 v32, v3, s22
	v_mul_lo_u32 v33, v2, s23
	v_mad_u64_u32 v[2:3], s[2:3], v2, s22, 0
	v_add3_u32 v3, v3, v33, v32
	v_mul_f64 v[28:29], s[40:41], v[56:57]
	v_mul_f64 v[30:31], s[38:39], v[56:57]
	v_lshl_add_u64 v[32:33], v[2:3], 4, s[0:1]
	v_fma_f64 v[28:29], s[38:39], v[54:55], -v[28:29]
	v_fmac_f64_e32 v[30:31], s[40:41], v[54:55]
	v_lshl_add_u64 v[54:55], v[32:33], 0, v[0:1]
	s_lshl_b64 s[0:1], s[16:17], 8
	s_lshl_b64 s[2:3], s[22:23], 8
	s_waitcnt vmcnt(0)
	v_mul_f64 v[2:3], s[12:13], v[6:7]
	v_mul_f64 v[6:7], s[10:11], v[6:7]
	v_fma_f64 v[2:3], s[10:11], v[4:5], -v[2:3]
	v_fmac_f64_e32 v[6:7], s[12:13], v[4:5]
	v_add_f64 v[2:3], v[28:29], v[2:3]
	v_add_f64 v[4:5], v[30:31], v[6:7]
	global_store_dwordx4 v[54:55], v[2:5], off
	global_load_dwordx4 v[2:5], v[26:27], off offset:256
	v_mul_f64 v[6:7], s[40:41], v[40:41]
	v_mul_f64 v[28:29], s[38:39], v[40:41]
	v_fma_f64 v[6:7], s[38:39], v[38:39], -v[6:7]
	v_fmac_f64_e32 v[28:29], s[40:41], v[38:39]
	s_waitcnt vmcnt(0)
	v_mul_f64 v[30:31], s[12:13], v[4:5]
	v_mul_f64 v[4:5], s[10:11], v[4:5]
	v_fma_f64 v[30:31], s[10:11], v[2:3], -v[30:31]
	v_fmac_f64_e32 v[4:5], s[12:13], v[2:3]
	v_add_f64 v[2:3], v[6:7], v[30:31]
	v_add_f64 v[4:5], v[28:29], v[4:5]
	global_store_dwordx4 v[54:55], v[2:5], off offset:256
	global_load_dwordx4 v[2:5], v[26:27], off offset:512
	v_mul_f64 v[6:7], s[40:41], v[36:37]
	v_mul_f64 v[28:29], s[38:39], v[36:37]
	v_fma_f64 v[6:7], s[38:39], v[34:35], -v[6:7]
	v_fmac_f64_e32 v[28:29], s[40:41], v[34:35]
	s_waitcnt vmcnt(0)
	v_mul_f64 v[30:31], s[12:13], v[4:5]
	v_mul_f64 v[4:5], s[10:11], v[4:5]
	v_fma_f64 v[30:31], s[10:11], v[2:3], -v[30:31]
	v_fmac_f64_e32 v[4:5], s[12:13], v[2:3]
	v_add_f64 v[2:3], v[6:7], v[30:31]
	v_add_f64 v[4:5], v[28:29], v[4:5]
	global_store_dwordx4 v[54:55], v[2:5], off offset:512
	global_load_dwordx4 v[2:5], v[26:27], off offset:768
	v_mul_f64 v[6:7], s[40:41], v[22:23]
	v_mul_f64 v[22:23], s[38:39], v[22:23]
	v_fma_f64 v[6:7], s[38:39], v[20:21], -v[6:7]
	v_fmac_f64_e32 v[22:23], s[40:41], v[20:21]
	v_lshl_add_u64 v[20:21], v[24:25], 0, s[0:1]
	v_lshl_add_u64 v[24:25], v[20:21], 0, v[0:1]
	;; [unrolled: 1-line block ×3, first 2 shown]
	s_waitcnt vmcnt(0)
	v_mul_f64 v[26:27], s[12:13], v[4:5]
	v_mul_f64 v[4:5], s[10:11], v[4:5]
	v_fma_f64 v[26:27], s[10:11], v[2:3], -v[26:27]
	v_fmac_f64_e32 v[4:5], s[12:13], v[2:3]
	v_add_f64 v[2:3], v[6:7], v[26:27]
	v_add_f64 v[4:5], v[22:23], v[4:5]
	global_store_dwordx4 v[54:55], v[2:5], off offset:768
	global_load_dwordx4 v[2:5], v[24:25], off
	v_mul_f64 v[6:7], s[40:41], v[76:77]
	v_mul_f64 v[22:23], s[38:39], v[76:77]
	v_fma_f64 v[6:7], s[38:39], v[74:75], -v[6:7]
	v_fmac_f64_e32 v[22:23], s[40:41], v[74:75]
	v_lshl_add_u64 v[26:27], v[32:33], 0, s[2:3]
	v_lshl_add_u64 v[28:29], v[26:27], 0, v[0:1]
	;; [unrolled: 1-line block ×3, first 2 shown]
	s_waitcnt vmcnt(0)
	v_mul_f64 v[30:31], s[12:13], v[4:5]
	v_mul_f64 v[4:5], s[10:11], v[4:5]
	v_fma_f64 v[30:31], s[10:11], v[2:3], -v[30:31]
	v_fmac_f64_e32 v[4:5], s[12:13], v[2:3]
	v_add_f64 v[2:3], v[6:7], v[30:31]
	v_add_f64 v[4:5], v[22:23], v[4:5]
	global_store_dwordx4 v[28:29], v[2:5], off
	global_load_dwordx4 v[2:5], v[24:25], off offset:256
	v_mul_f64 v[6:7], s[40:41], v[68:69]
	v_mul_f64 v[22:23], s[38:39], v[68:69]
	v_fma_f64 v[6:7], s[38:39], v[66:67], -v[6:7]
	v_fmac_f64_e32 v[22:23], s[40:41], v[66:67]
	s_waitcnt vmcnt(0)
	v_mul_f64 v[30:31], s[12:13], v[4:5]
	v_mul_f64 v[4:5], s[10:11], v[4:5]
	v_fma_f64 v[30:31], s[10:11], v[2:3], -v[30:31]
	v_fmac_f64_e32 v[4:5], s[12:13], v[2:3]
	v_add_f64 v[2:3], v[6:7], v[30:31]
	v_add_f64 v[4:5], v[22:23], v[4:5]
	global_store_dwordx4 v[28:29], v[2:5], off offset:256
	global_load_dwordx4 v[2:5], v[24:25], off offset:512
	v_mul_f64 v[6:7], s[40:41], v[62:63]
	v_mul_f64 v[22:23], s[38:39], v[62:63]
	v_fma_f64 v[6:7], s[38:39], v[58:59], -v[6:7]
	v_fmac_f64_e32 v[22:23], s[40:41], v[58:59]
	s_waitcnt vmcnt(0)
	v_mul_f64 v[30:31], s[12:13], v[4:5]
	v_mul_f64 v[4:5], s[10:11], v[4:5]
	v_fma_f64 v[30:31], s[10:11], v[2:3], -v[30:31]
	v_fmac_f64_e32 v[4:5], s[12:13], v[2:3]
	v_add_f64 v[2:3], v[6:7], v[30:31]
	v_add_f64 v[4:5], v[22:23], v[4:5]
	global_store_dwordx4 v[28:29], v[2:5], off offset:512
	global_load_dwordx4 v[2:5], v[24:25], off offset:768
	v_mul_f64 v[6:7], s[40:41], v[50:51]
	v_mul_f64 v[22:23], s[38:39], v[50:51]
	v_fma_f64 v[6:7], s[38:39], v[46:47], -v[6:7]
	v_fmac_f64_e32 v[22:23], s[40:41], v[46:47]
	v_lshl_add_u64 v[24:25], v[20:21], 0, v[0:1]
	v_lshl_add_u64 v[20:21], v[20:21], 0, s[0:1]
	;; [unrolled: 1-line block ×3, first 2 shown]
	s_mov_b64 s[0:1], 0x300
	s_waitcnt vmcnt(0)
	v_mul_f64 v[30:31], s[12:13], v[4:5]
	v_mul_f64 v[4:5], s[10:11], v[4:5]
	v_fma_f64 v[30:31], s[10:11], v[2:3], -v[30:31]
	v_fmac_f64_e32 v[4:5], s[12:13], v[2:3]
	v_add_f64 v[2:3], v[6:7], v[30:31]
	v_add_f64 v[4:5], v[22:23], v[4:5]
	global_store_dwordx4 v[28:29], v[2:5], off offset:768
	global_load_dwordx4 v[2:5], v[24:25], off
	v_mul_f64 v[6:7], s[40:41], v[72:73]
	v_mul_f64 v[22:23], s[38:39], v[72:73]
	v_fma_f64 v[6:7], s[38:39], v[70:71], -v[6:7]
	v_fmac_f64_e32 v[22:23], s[40:41], v[70:71]
	v_lshl_add_u64 v[28:29], v[26:27], 0, v[0:1]
	s_waitcnt vmcnt(0)
	v_mul_f64 v[30:31], s[12:13], v[4:5]
	v_mul_f64 v[4:5], s[10:11], v[4:5]
	v_fma_f64 v[30:31], s[10:11], v[2:3], -v[30:31]
	v_fmac_f64_e32 v[4:5], s[12:13], v[2:3]
	v_add_f64 v[2:3], v[6:7], v[30:31]
	v_add_f64 v[4:5], v[22:23], v[4:5]
	global_store_dwordx4 v[28:29], v[2:5], off
	global_load_dwordx4 v[2:5], v[24:25], off offset:256
	v_mul_f64 v[6:7], s[40:41], v[64:65]
	v_mul_f64 v[22:23], s[38:39], v[64:65]
	v_fma_f64 v[6:7], s[38:39], v[60:61], -v[6:7]
	v_fmac_f64_e32 v[22:23], s[40:41], v[60:61]
	s_waitcnt vmcnt(0)
	v_mul_f64 v[30:31], s[12:13], v[4:5]
	v_mul_f64 v[4:5], s[10:11], v[4:5]
	v_fma_f64 v[30:31], s[10:11], v[2:3], -v[30:31]
	v_fmac_f64_e32 v[4:5], s[12:13], v[2:3]
	v_add_f64 v[2:3], v[6:7], v[30:31]
	v_add_f64 v[4:5], v[22:23], v[4:5]
	global_store_dwordx4 v[28:29], v[2:5], off offset:256
	global_load_dwordx4 v[2:5], v[24:25], off offset:512
	v_mul_f64 v[6:7], s[40:41], v[52:53]
	v_mul_f64 v[22:23], s[38:39], v[52:53]
	v_fma_f64 v[6:7], s[38:39], v[48:49], -v[6:7]
	v_fmac_f64_e32 v[22:23], s[40:41], v[48:49]
	s_waitcnt vmcnt(0)
	v_mul_f64 v[30:31], s[12:13], v[4:5]
	v_mul_f64 v[4:5], s[10:11], v[4:5]
	v_fma_f64 v[30:31], s[10:11], v[2:3], -v[30:31]
	v_fmac_f64_e32 v[4:5], s[12:13], v[2:3]
	v_add_f64 v[2:3], v[6:7], v[30:31]
	v_add_f64 v[4:5], v[22:23], v[4:5]
	global_store_dwordx4 v[28:29], v[2:5], off offset:512
	;; [unrolled: 13-line block ×3, first 2 shown]
	global_load_dwordx4 v[2:5], v[20:21], off
	v_lshl_add_u64 v[24:25], v[26:27], 0, s[2:3]
	v_mul_f64 v[6:7], s[40:41], v[80:81]
	v_mul_f64 v[22:23], s[38:39], v[80:81]
	v_lshl_add_u64 v[24:25], v[24:25], 0, v[0:1]
	v_fma_f64 v[6:7], s[38:39], v[78:79], -v[6:7]
	v_fmac_f64_e32 v[22:23], s[40:41], v[78:79]
	s_waitcnt vmcnt(0)
	v_mul_f64 v[0:1], s[12:13], v[4:5]
	v_mul_f64 v[4:5], s[10:11], v[4:5]
	v_fma_f64 v[0:1], s[10:11], v[2:3], -v[0:1]
	v_fmac_f64_e32 v[4:5], s[12:13], v[2:3]
	v_add_f64 v[0:1], v[6:7], v[0:1]
	v_add_f64 v[2:3], v[22:23], v[4:5]
	global_store_dwordx4 v[24:25], v[0:3], off
	global_load_dwordx4 v[0:3], v[20:21], off offset:256
	v_mul_f64 v[4:5], s[40:41], v[18:19]
	v_mul_f64 v[6:7], s[38:39], v[18:19]
	v_fma_f64 v[4:5], s[38:39], v[16:17], -v[4:5]
	v_fmac_f64_e32 v[6:7], s[40:41], v[16:17]
	s_waitcnt vmcnt(0)
	v_mul_f64 v[16:17], s[12:13], v[2:3]
	v_mul_f64 v[2:3], s[10:11], v[2:3]
	v_fma_f64 v[16:17], s[10:11], v[0:1], -v[16:17]
	v_fmac_f64_e32 v[2:3], s[12:13], v[0:1]
	v_add_f64 v[0:1], v[4:5], v[16:17]
	v_add_f64 v[2:3], v[6:7], v[2:3]
	global_store_dwordx4 v[24:25], v[0:3], off offset:256
	global_load_dwordx4 v[0:3], v[20:21], off offset:512
	v_mul_f64 v[4:5], s[40:41], v[14:15]
	v_mul_f64 v[6:7], s[38:39], v[14:15]
	v_fma_f64 v[4:5], s[38:39], v[12:13], -v[4:5]
	v_fmac_f64_e32 v[6:7], s[40:41], v[12:13]
	s_waitcnt vmcnt(0)
	v_mul_f64 v[12:13], s[12:13], v[2:3]
	v_mul_f64 v[2:3], s[10:11], v[2:3]
	v_fma_f64 v[12:13], s[10:11], v[0:1], -v[12:13]
	v_fmac_f64_e32 v[2:3], s[12:13], v[0:1]
	v_add_f64 v[0:1], v[4:5], v[12:13]
	v_add_f64 v[2:3], v[6:7], v[2:3]
	global_store_dwordx4 v[24:25], v[0:3], off offset:512
	global_load_dwordx4 v[0:3], v[20:21], off offset:768
	v_mul_f64 v[4:5], s[40:41], v[10:11]
	v_mul_f64 v[6:7], s[38:39], v[10:11]
	v_fma_f64 v[4:5], s[38:39], v[8:9], -v[4:5]
	v_fmac_f64_e32 v[6:7], s[40:41], v[8:9]
	s_waitcnt vmcnt(0)
	v_mul_f64 v[8:9], s[12:13], v[2:3]
	v_mul_f64 v[2:3], s[10:11], v[2:3]
	v_fma_f64 v[8:9], s[10:11], v[0:1], -v[8:9]
	v_fmac_f64_e32 v[2:3], s[12:13], v[0:1]
	v_add_f64 v[0:1], v[4:5], v[8:9]
	v_add_f64 v[4:5], v[6:7], v[2:3]
	v_lshl_add_u64 v[6:7], v[24:25], 0, s[0:1]
	global_store_dwordx2 v[24:25], v[0:1], off offset:768
.LBB118_8:
	global_store_dwordx2 v[6:7], v[4:5], off offset:8
	s_endpgm
	.section	.rodata,"a",@progbits
	.p2align	6, 0x0
	.amdhsa_kernel _ZN12_GLOBAL__N_127rocblas_gemm_batched_kernelI19rocblas_complex_numIdELi16ELi16ELi64ELi64ELi4ELi64ELi4ELi4ELi64ELc78ELc78EKS2_S3_S2_EEvlllT_PT11_llS6_llS4_PT12_llPT13_lli
		.amdhsa_group_segment_fixed_size 8192
		.amdhsa_private_segment_fixed_size 0
		.amdhsa_kernarg_size 156
		.amdhsa_user_sgpr_count 2
		.amdhsa_user_sgpr_dispatch_ptr 0
		.amdhsa_user_sgpr_queue_ptr 0
		.amdhsa_user_sgpr_kernarg_segment_ptr 1
		.amdhsa_user_sgpr_dispatch_id 0
		.amdhsa_user_sgpr_kernarg_preload_length 0
		.amdhsa_user_sgpr_kernarg_preload_offset 0
		.amdhsa_user_sgpr_private_segment_size 0
		.amdhsa_uses_dynamic_stack 0
		.amdhsa_enable_private_segment 0
		.amdhsa_system_sgpr_workgroup_id_x 1
		.amdhsa_system_sgpr_workgroup_id_y 1
		.amdhsa_system_sgpr_workgroup_id_z 1
		.amdhsa_system_sgpr_workgroup_info 0
		.amdhsa_system_vgpr_workitem_id 1
		.amdhsa_next_free_vgpr 138
		.amdhsa_next_free_sgpr 52
		.amdhsa_accum_offset 140
		.amdhsa_reserve_vcc 1
		.amdhsa_float_round_mode_32 0
		.amdhsa_float_round_mode_16_64 0
		.amdhsa_float_denorm_mode_32 3
		.amdhsa_float_denorm_mode_16_64 3
		.amdhsa_dx10_clamp 1
		.amdhsa_ieee_mode 1
		.amdhsa_fp16_overflow 0
		.amdhsa_tg_split 0
		.amdhsa_exception_fp_ieee_invalid_op 0
		.amdhsa_exception_fp_denorm_src 0
		.amdhsa_exception_fp_ieee_div_zero 0
		.amdhsa_exception_fp_ieee_overflow 0
		.amdhsa_exception_fp_ieee_underflow 0
		.amdhsa_exception_fp_ieee_inexact 0
		.amdhsa_exception_int_div_zero 0
	.end_amdhsa_kernel
	.section	.text._ZN12_GLOBAL__N_127rocblas_gemm_batched_kernelI19rocblas_complex_numIdELi16ELi16ELi64ELi64ELi4ELi64ELi4ELi4ELi64ELc78ELc78EKS2_S3_S2_EEvlllT_PT11_llS6_llS4_PT12_llPT13_lli,"axG",@progbits,_ZN12_GLOBAL__N_127rocblas_gemm_batched_kernelI19rocblas_complex_numIdELi16ELi16ELi64ELi64ELi4ELi64ELi4ELi4ELi64ELc78ELc78EKS2_S3_S2_EEvlllT_PT11_llS6_llS4_PT12_llPT13_lli,comdat
.Lfunc_end118:
	.size	_ZN12_GLOBAL__N_127rocblas_gemm_batched_kernelI19rocblas_complex_numIdELi16ELi16ELi64ELi64ELi4ELi64ELi4ELi4ELi64ELc78ELc78EKS2_S3_S2_EEvlllT_PT11_llS6_llS4_PT12_llPT13_lli, .Lfunc_end118-_ZN12_GLOBAL__N_127rocblas_gemm_batched_kernelI19rocblas_complex_numIdELi16ELi16ELi64ELi64ELi4ELi64ELi4ELi4ELi64ELc78ELc78EKS2_S3_S2_EEvlllT_PT11_llS6_llS4_PT12_llPT13_lli
                                        ; -- End function
	.set _ZN12_GLOBAL__N_127rocblas_gemm_batched_kernelI19rocblas_complex_numIdELi16ELi16ELi64ELi64ELi4ELi64ELi4ELi4ELi64ELc78ELc78EKS2_S3_S2_EEvlllT_PT11_llS6_llS4_PT12_llPT13_lli.num_vgpr, 138
	.set _ZN12_GLOBAL__N_127rocblas_gemm_batched_kernelI19rocblas_complex_numIdELi16ELi16ELi64ELi64ELi4ELi64ELi4ELi4ELi64ELc78ELc78EKS2_S3_S2_EEvlllT_PT11_llS6_llS4_PT12_llPT13_lli.num_agpr, 0
	.set _ZN12_GLOBAL__N_127rocblas_gemm_batched_kernelI19rocblas_complex_numIdELi16ELi16ELi64ELi64ELi4ELi64ELi4ELi4ELi64ELc78ELc78EKS2_S3_S2_EEvlllT_PT11_llS6_llS4_PT12_llPT13_lli.numbered_sgpr, 52
	.set _ZN12_GLOBAL__N_127rocblas_gemm_batched_kernelI19rocblas_complex_numIdELi16ELi16ELi64ELi64ELi4ELi64ELi4ELi4ELi64ELc78ELc78EKS2_S3_S2_EEvlllT_PT11_llS6_llS4_PT12_llPT13_lli.num_named_barrier, 0
	.set _ZN12_GLOBAL__N_127rocblas_gemm_batched_kernelI19rocblas_complex_numIdELi16ELi16ELi64ELi64ELi4ELi64ELi4ELi4ELi64ELc78ELc78EKS2_S3_S2_EEvlllT_PT11_llS6_llS4_PT12_llPT13_lli.private_seg_size, 0
	.set _ZN12_GLOBAL__N_127rocblas_gemm_batched_kernelI19rocblas_complex_numIdELi16ELi16ELi64ELi64ELi4ELi64ELi4ELi4ELi64ELc78ELc78EKS2_S3_S2_EEvlllT_PT11_llS6_llS4_PT12_llPT13_lli.uses_vcc, 1
	.set _ZN12_GLOBAL__N_127rocblas_gemm_batched_kernelI19rocblas_complex_numIdELi16ELi16ELi64ELi64ELi4ELi64ELi4ELi4ELi64ELc78ELc78EKS2_S3_S2_EEvlllT_PT11_llS6_llS4_PT12_llPT13_lli.uses_flat_scratch, 0
	.set _ZN12_GLOBAL__N_127rocblas_gemm_batched_kernelI19rocblas_complex_numIdELi16ELi16ELi64ELi64ELi4ELi64ELi4ELi4ELi64ELc78ELc78EKS2_S3_S2_EEvlllT_PT11_llS6_llS4_PT12_llPT13_lli.has_dyn_sized_stack, 0
	.set _ZN12_GLOBAL__N_127rocblas_gemm_batched_kernelI19rocblas_complex_numIdELi16ELi16ELi64ELi64ELi4ELi64ELi4ELi4ELi64ELc78ELc78EKS2_S3_S2_EEvlllT_PT11_llS6_llS4_PT12_llPT13_lli.has_recursion, 0
	.set _ZN12_GLOBAL__N_127rocblas_gemm_batched_kernelI19rocblas_complex_numIdELi16ELi16ELi64ELi64ELi4ELi64ELi4ELi4ELi64ELc78ELc78EKS2_S3_S2_EEvlllT_PT11_llS6_llS4_PT12_llPT13_lli.has_indirect_call, 0
	.section	.AMDGPU.csdata,"",@progbits
; Kernel info:
; codeLenInByte = 6448
; TotalNumSgprs: 58
; NumVgprs: 138
; NumAgprs: 0
; TotalNumVgprs: 138
; ScratchSize: 0
; MemoryBound: 0
; FloatMode: 240
; IeeeMode: 1
; LDSByteSize: 8192 bytes/workgroup (compile time only)
; SGPRBlocks: 7
; VGPRBlocks: 17
; NumSGPRsForWavesPerEU: 58
; NumVGPRsForWavesPerEU: 138
; AccumOffset: 140
; Occupancy: 3
; WaveLimiterHint : 1
; COMPUTE_PGM_RSRC2:SCRATCH_EN: 0
; COMPUTE_PGM_RSRC2:USER_SGPR: 2
; COMPUTE_PGM_RSRC2:TRAP_HANDLER: 0
; COMPUTE_PGM_RSRC2:TGID_X_EN: 1
; COMPUTE_PGM_RSRC2:TGID_Y_EN: 1
; COMPUTE_PGM_RSRC2:TGID_Z_EN: 1
; COMPUTE_PGM_RSRC2:TIDIG_COMP_CNT: 1
; COMPUTE_PGM_RSRC3_GFX90A:ACCUM_OFFSET: 34
; COMPUTE_PGM_RSRC3_GFX90A:TG_SPLIT: 0
	.section	.text._ZN12_GLOBAL__N_127rocblas_gemm_batched_kernelI19rocblas_complex_numIdELi16ELi16ELi64ELi64ELi4ELi64ELi4ELi4ELi64ELc84ELc78EKS2_S3_S2_EEvlllT_PT11_llS6_llS4_PT12_llPT13_lli,"axG",@progbits,_ZN12_GLOBAL__N_127rocblas_gemm_batched_kernelI19rocblas_complex_numIdELi16ELi16ELi64ELi64ELi4ELi64ELi4ELi4ELi64ELc84ELc78EKS2_S3_S2_EEvlllT_PT11_llS6_llS4_PT12_llPT13_lli,comdat
	.globl	_ZN12_GLOBAL__N_127rocblas_gemm_batched_kernelI19rocblas_complex_numIdELi16ELi16ELi64ELi64ELi4ELi64ELi4ELi4ELi64ELc84ELc78EKS2_S3_S2_EEvlllT_PT11_llS6_llS4_PT12_llPT13_lli ; -- Begin function _ZN12_GLOBAL__N_127rocblas_gemm_batched_kernelI19rocblas_complex_numIdELi16ELi16ELi64ELi64ELi4ELi64ELi4ELi4ELi64ELc84ELc78EKS2_S3_S2_EEvlllT_PT11_llS6_llS4_PT12_llPT13_lli
	.p2align	8
	.type	_ZN12_GLOBAL__N_127rocblas_gemm_batched_kernelI19rocblas_complex_numIdELi16ELi16ELi64ELi64ELi4ELi64ELi4ELi4ELi64ELc84ELc78EKS2_S3_S2_EEvlllT_PT11_llS6_llS4_PT12_llPT13_lli,@function
_ZN12_GLOBAL__N_127rocblas_gemm_batched_kernelI19rocblas_complex_numIdELi16ELi16ELi64ELi64ELi4ELi64ELi4ELi4ELi64ELc84ELc78EKS2_S3_S2_EEvlllT_PT11_llS6_llS4_PT12_llPT13_lli: ; @_ZN12_GLOBAL__N_127rocblas_gemm_batched_kernelI19rocblas_complex_numIdELi16ELi16ELi64ELi64ELi4ELi64ELi4ELi4ELi64ELc84ELc78EKS2_S3_S2_EEvlllT_PT11_llS6_llS4_PT12_llPT13_lli
; %bb.0:
	s_load_dwordx16 s[36:51], s[0:1], 0x10
	s_load_dwordx16 s[8:23], s[0:1], 0x50
	s_mov_b32 s6, s3
	v_mov_b32_e32 v27, 0
	s_ashr_i32 s3, s2, 31
	s_ashr_i32 s7, s6, 31
	s_waitcnt lgkmcnt(0)
	v_cmp_lt_i64_e64 s[24:25], s[36:37], 1
	v_bfe_u32 v26, v0, 10, 10
	v_and_b32_e32 v24, 0x3ff, v0
	v_mov_b32_e32 v25, v27
	s_lshl_b64 s[2:3], s[2:3], 6
	s_lshl_b64 s[6:7], s[6:7], 6
	s_and_b64 vcc, exec, s[24:25]
	s_cbranch_vccnz .LBB119_3
; %bb.1:
	v_lshl_add_u32 v6, v26, 4, v24
	v_lshrrev_b32_e32 v0, 2, v6
	v_mov_b32_e32 v1, v27
	v_and_b32_e32 v4, 63, v6
	v_lshl_add_u64 v[2:3], v[0:1], 0, s[6:7]
	v_and_b32_e32 v1, 3, v24
	v_lshrrev_b32_e32 v7, 6, v6
	v_lshlrev_b32_e32 v6, 4, v4
	v_lshl_or_b32 v110, v7, 10, v6
	v_lshlrev_b32_e32 v6, 4, v1
	v_lshl_or_b32 v0, v0, 6, v6
	v_mov_b32_e32 v5, v27
	v_add_u32_e32 v111, 0x1000, v0
	v_mov_b32_e32 v0, 0x1000
	v_lshl_add_u32 v113, v26, 6, v0
	v_lshl_add_u64 v[0:1], s[2:3], 0, v[4:5]
	v_mul_lo_u32 v4, s45, v0
	v_mul_lo_u32 v5, s44, v1
	v_mad_u64_u32 v[0:1], s[24:25], s44, v0, 0
	s_mul_i32 s5, s47, s4
	s_mul_hi_u32 s24, s46, s4
	s_add_i32 s25, s24, s5
	s_mul_i32 s24, s46, s4
	v_add3_u32 v1, v1, v5, v4
	s_lshl_b64 s[24:25], s[24:25], 4
	v_lshl_add_u64 v[0:1], v[0:1], 4, s[24:25]
	v_lshlrev_b32_e32 v4, 4, v7
	v_mov_b32_e32 v5, v27
	v_lshl_add_u64 v[0:1], v[0:1], 0, v[4:5]
	s_mul_i32 s5, s9, s4
	s_mul_hi_u32 s9, s8, s4
	v_lshl_add_u64 v[28:29], s[42:43], 0, v[0:1]
	v_mul_lo_u32 v4, s51, v2
	v_mul_lo_u32 v3, s50, v3
	v_mad_u64_u32 v[0:1], s[24:25], s50, v2, 0
	s_add_i32 s9, s9, s5
	s_mul_i32 s8, s8, s4
	v_add3_u32 v1, v1, v3, v4
	s_lshl_b64 s[8:9], s[8:9], 4
	v_lshl_add_u64 v[0:1], v[0:1], 4, s[8:9]
	v_mov_b32_e32 v7, v27
	v_lshl_add_u64 v[0:1], v[0:1], 0, v[6:7]
	v_lshlrev_b32_e32 v112, 4, v24
	v_lshl_add_u64 v[30:31], s[48:49], 0, v[0:1]
	s_mov_b64 s[8:9], 0
	v_mov_b64_e32 v[10:11], 0
	v_mov_b64_e32 v[32:33], s[36:37]
	;; [unrolled: 1-line block ×33, first 2 shown]
.LBB119_2:                              ; =>This Inner Loop Header: Depth=1
	global_load_dwordx4 v[0:3], v[28:29], off
	s_add_u32 s8, s8, 4
	s_addc_u32 s9, s9, 0
	v_cmp_lt_i64_e32 vcc, s[8:9], v[32:33]
	v_lshl_add_u64 v[28:29], v[28:29], 0, 64
	s_and_b64 vcc, exec, vcc
	s_waitcnt vmcnt(0)
	ds_write2_b64 v110, v[0:1], v[2:3] offset1:1
	global_load_dwordx4 v[0:3], v[30:31], off
	v_lshl_add_u64 v[30:31], v[30:31], 0, 64
	s_waitcnt vmcnt(0)
	ds_write2_b64 v111, v[0:1], v[2:3] offset1:1
	s_waitcnt lgkmcnt(0)
	s_barrier
	ds_read_b128 v[82:85], v113
	ds_read_b128 v[114:117], v113 offset:16
	ds_read_b128 v[4:7], v113 offset:32
	;; [unrolled: 1-line block ×3, first 2 shown]
	ds_read_b128 v[118:121], v112
	s_waitcnt lgkmcnt(0)
	v_mul_f64 v[86:87], v[84:85], v[120:121]
	v_mul_f64 v[88:89], v[82:83], v[120:121]
	v_fma_f64 v[86:87], v[82:83], v[118:119], -v[86:87]
	v_fmac_f64_e32 v[88:89], v[84:85], v[118:119]
	v_add_f64 v[122:123], v[54:55], v[86:87]
	v_add_f64 v[124:125], v[88:89], v[56:57]
	ds_read_b128 v[54:57], v112 offset:256
	s_waitcnt lgkmcnt(0)
	v_mul_f64 v[86:87], v[84:85], v[56:57]
	v_mul_f64 v[88:89], v[82:83], v[56:57]
	v_fma_f64 v[86:87], v[82:83], v[54:55], -v[86:87]
	v_fmac_f64_e32 v[88:89], v[84:85], v[54:55]
	v_add_f64 v[126:127], v[38:39], v[86:87]
	v_add_f64 v[128:129], v[88:89], v[40:41]
	ds_read_b128 v[38:41], v112 offset:512
	s_waitcnt lgkmcnt(0)
	v_mul_f64 v[86:87], v[84:85], v[40:41]
	v_mul_f64 v[88:89], v[82:83], v[40:41]
	v_fma_f64 v[86:87], v[82:83], v[38:39], -v[86:87]
	v_fmac_f64_e32 v[88:89], v[84:85], v[38:39]
	v_add_f64 v[130:131], v[34:35], v[86:87]
	v_add_f64 v[132:133], v[88:89], v[36:37]
	ds_read_b128 v[34:37], v112 offset:768
	s_waitcnt lgkmcnt(0)
	v_mul_f64 v[86:87], v[84:85], v[36:37]
	v_fma_f64 v[86:87], v[82:83], v[34:35], -v[86:87]
	v_mul_f64 v[82:83], v[82:83], v[36:37]
	v_fmac_f64_e32 v[82:83], v[84:85], v[34:35]
	v_add_f64 v[134:135], v[20:21], v[86:87]
	v_add_f64 v[136:137], v[82:83], v[22:23]
	ds_read_b128 v[20:23], v113 offset:1024
	s_waitcnt lgkmcnt(0)
	v_mul_f64 v[82:83], v[22:23], v[120:121]
	v_fma_f64 v[82:83], v[20:21], v[118:119], -v[82:83]
	v_add_f64 v[74:75], v[74:75], v[82:83]
	v_mul_f64 v[82:83], v[22:23], v[56:57]
	v_mul_f64 v[84:85], v[20:21], v[120:121]
	v_fma_f64 v[82:83], v[20:21], v[54:55], -v[82:83]
	v_fmac_f64_e32 v[84:85], v[22:23], v[118:119]
	v_add_f64 v[98:99], v[66:67], v[82:83]
	v_mul_f64 v[66:67], v[22:23], v[40:41]
	v_add_f64 v[76:77], v[84:85], v[76:77]
	v_mul_f64 v[84:85], v[20:21], v[56:57]
	v_fma_f64 v[66:67], v[20:21], v[38:39], -v[66:67]
	v_fmac_f64_e32 v[84:85], v[22:23], v[54:55]
	v_add_f64 v[102:103], v[58:59], v[66:67]
	v_mul_f64 v[58:59], v[22:23], v[36:37]
	v_add_f64 v[100:101], v[84:85], v[68:69]
	v_mul_f64 v[68:69], v[20:21], v[40:41]
	v_fma_f64 v[58:59], v[20:21], v[34:35], -v[58:59]
	v_mul_f64 v[20:21], v[20:21], v[36:37]
	v_fmac_f64_e32 v[20:21], v[22:23], v[34:35]
	v_fmac_f64_e32 v[68:69], v[22:23], v[38:39]
	v_add_f64 v[108:109], v[20:21], v[50:51]
	ds_read_b128 v[20:23], v113 offset:2048
	v_add_f64 v[106:107], v[46:47], v[58:59]
	v_add_f64 v[104:105], v[68:69], v[62:63]
	s_waitcnt lgkmcnt(0)
	v_mul_f64 v[46:47], v[22:23], v[120:121]
	v_fma_f64 v[46:47], v[20:21], v[118:119], -v[46:47]
	v_add_f64 v[82:83], v[70:71], v[46:47]
	v_mul_f64 v[46:47], v[22:23], v[56:57]
	v_mul_f64 v[50:51], v[20:21], v[120:121]
	v_fma_f64 v[46:47], v[20:21], v[54:55], -v[46:47]
	v_fmac_f64_e32 v[50:51], v[22:23], v[118:119]
	v_add_f64 v[86:87], v[60:61], v[46:47]
	v_mul_f64 v[46:47], v[22:23], v[40:41]
	v_add_f64 v[84:85], v[50:51], v[72:73]
	v_mul_f64 v[50:51], v[20:21], v[56:57]
	v_fma_f64 v[46:47], v[20:21], v[38:39], -v[46:47]
	v_fmac_f64_e32 v[50:51], v[22:23], v[54:55]
	v_add_f64 v[90:91], v[48:49], v[46:47]
	v_mul_f64 v[46:47], v[22:23], v[36:37]
	v_add_f64 v[88:89], v[50:51], v[64:65]
	v_mul_f64 v[50:51], v[20:21], v[40:41]
	v_fma_f64 v[46:47], v[20:21], v[34:35], -v[46:47]
	v_mul_f64 v[20:21], v[20:21], v[36:37]
	v_fmac_f64_e32 v[20:21], v[22:23], v[34:35]
	v_fmac_f64_e32 v[50:51], v[22:23], v[38:39]
	v_add_f64 v[96:97], v[20:21], v[44:45]
	ds_read_b128 v[20:23], v113 offset:3072
	v_add_f64 v[94:95], v[42:43], v[46:47]
	v_add_f64 v[92:93], v[50:51], v[52:53]
	s_waitcnt lgkmcnt(0)
	v_mul_f64 v[42:43], v[22:23], v[120:121]
	v_mul_f64 v[44:45], v[20:21], v[120:121]
	v_fma_f64 v[42:43], v[20:21], v[118:119], -v[42:43]
	v_fmac_f64_e32 v[44:45], v[22:23], v[118:119]
	v_add_f64 v[62:63], v[78:79], v[42:43]
	v_add_f64 v[64:65], v[44:45], v[80:81]
	v_mul_f64 v[42:43], v[22:23], v[56:57]
	v_mul_f64 v[44:45], v[20:21], v[56:57]
	v_fma_f64 v[42:43], v[20:21], v[54:55], -v[42:43]
	v_fmac_f64_e32 v[44:45], v[22:23], v[54:55]
	v_add_f64 v[58:59], v[16:17], v[42:43]
	v_add_f64 v[60:61], v[44:45], v[18:19]
	;; [unrolled: 6-line block ×3, first 2 shown]
	v_mul_f64 v[12:13], v[22:23], v[36:37]
	v_mul_f64 v[14:15], v[20:21], v[36:37]
	v_fma_f64 v[12:13], v[20:21], v[34:35], -v[12:13]
	v_fmac_f64_e32 v[14:15], v[22:23], v[34:35]
	ds_read_b128 v[20:23], v112 offset:1024
	ds_read_b128 v[16:19], v112 offset:1280
	v_add_f64 v[50:51], v[8:9], v[12:13]
	v_add_f64 v[52:53], v[14:15], v[10:11]
	ds_read_b128 v[12:15], v112 offset:1536
	ds_read_b128 v[78:81], v113 offset:1040
	s_waitcnt lgkmcnt(3)
	v_mul_f64 v[8:9], v[116:117], v[22:23]
	v_mul_f64 v[10:11], v[114:115], v[22:23]
	v_fma_f64 v[8:9], v[114:115], v[20:21], -v[8:9]
	v_fmac_f64_e32 v[10:11], v[116:117], v[20:21]
	v_add_f64 v[46:47], v[122:123], v[8:9]
	v_add_f64 v[48:49], v[10:11], v[124:125]
	s_waitcnt lgkmcnt(2)
	v_mul_f64 v[8:9], v[116:117], v[18:19]
	v_mul_f64 v[10:11], v[114:115], v[18:19]
	v_fma_f64 v[8:9], v[114:115], v[16:17], -v[8:9]
	v_fmac_f64_e32 v[10:11], v[116:117], v[16:17]
	v_add_f64 v[42:43], v[126:127], v[8:9]
	v_add_f64 v[44:45], v[10:11], v[128:129]
	;; [unrolled: 7-line block ×3, first 2 shown]
	ds_read_b128 v[8:11], v112 offset:1792
	s_waitcnt lgkmcnt(1)
	v_mul_f64 v[70:71], v[80:81], v[18:19]
	v_mul_f64 v[72:73], v[78:79], v[18:19]
	;; [unrolled: 1-line block ×4, first 2 shown]
	v_fma_f64 v[70:71], v[78:79], v[16:17], -v[70:71]
	v_fmac_f64_e32 v[72:73], v[80:81], v[16:17]
	v_fma_f64 v[66:67], v[78:79], v[20:21], -v[66:67]
	v_fmac_f64_e32 v[68:69], v[80:81], v[20:21]
	v_add_f64 v[70:71], v[98:99], v[70:71]
	v_add_f64 v[72:73], v[72:73], v[100:101]
	s_waitcnt lgkmcnt(0)
	v_mul_f64 v[98:99], v[80:81], v[10:11]
	v_mul_f64 v[100:101], v[78:79], v[10:11]
	v_add_f64 v[66:67], v[74:75], v[66:67]
	v_add_f64 v[68:69], v[68:69], v[76:77]
	v_mul_f64 v[74:75], v[80:81], v[14:15]
	v_mul_f64 v[76:77], v[78:79], v[14:15]
	v_fma_f64 v[98:99], v[78:79], v[8:9], -v[98:99]
	v_fmac_f64_e32 v[100:101], v[80:81], v[8:9]
	v_fma_f64 v[74:75], v[78:79], v[12:13], -v[74:75]
	v_fmac_f64_e32 v[76:77], v[80:81], v[12:13]
	v_add_f64 v[78:79], v[106:107], v[98:99]
	v_add_f64 v[80:81], v[100:101], v[108:109]
	ds_read_b128 v[98:101], v113 offset:2064
	v_add_f64 v[74:75], v[102:103], v[74:75]
	v_add_f64 v[76:77], v[76:77], v[104:105]
	v_mul_f64 v[34:35], v[116:117], v[10:11]
	v_mul_f64 v[36:37], v[114:115], v[10:11]
	s_waitcnt lgkmcnt(0)
	v_mul_f64 v[102:103], v[100:101], v[22:23]
	v_mul_f64 v[104:105], v[98:99], v[22:23]
	v_fma_f64 v[102:103], v[98:99], v[20:21], -v[102:103]
	v_fmac_f64_e32 v[104:105], v[100:101], v[20:21]
	v_add_f64 v[82:83], v[82:83], v[102:103]
	v_add_f64 v[84:85], v[104:105], v[84:85]
	v_mul_f64 v[102:103], v[100:101], v[18:19]
	v_mul_f64 v[104:105], v[98:99], v[18:19]
	v_fma_f64 v[102:103], v[98:99], v[16:17], -v[102:103]
	v_fmac_f64_e32 v[104:105], v[100:101], v[16:17]
	v_add_f64 v[86:87], v[86:87], v[102:103]
	v_add_f64 v[88:89], v[104:105], v[88:89]
	;; [unrolled: 6-line block ×4, first 2 shown]
	ds_read_b128 v[94:97], v113 offset:3088
	v_fma_f64 v[34:35], v[114:115], v[8:9], -v[34:35]
	v_fmac_f64_e32 v[36:37], v[116:117], v[8:9]
	v_add_f64 v[36:37], v[36:37], v[136:137]
	v_add_f64 v[34:35], v[134:135], v[34:35]
	s_waitcnt lgkmcnt(0)
	v_mul_f64 v[102:103], v[96:97], v[22:23]
	v_mul_f64 v[22:23], v[94:95], v[22:23]
	v_fma_f64 v[102:103], v[94:95], v[20:21], -v[102:103]
	v_fmac_f64_e32 v[22:23], v[96:97], v[20:21]
	v_mul_f64 v[20:21], v[96:97], v[18:19]
	v_mul_f64 v[18:19], v[94:95], v[18:19]
	v_fma_f64 v[20:21], v[94:95], v[16:17], -v[20:21]
	v_fmac_f64_e32 v[18:19], v[96:97], v[16:17]
	;; [unrolled: 4-line block ×3, first 2 shown]
	v_mul_f64 v[12:13], v[96:97], v[10:11]
	v_mul_f64 v[10:11], v[94:95], v[10:11]
	v_fmac_f64_e32 v[10:11], v[96:97], v[8:9]
	v_fma_f64 v[12:13], v[94:95], v[8:9], -v[12:13]
	v_add_f64 v[116:117], v[10:11], v[52:53]
	ds_read_b128 v[8:11], v112 offset:2048
	v_add_f64 v[56:57], v[14:15], v[56:57]
	v_add_f64 v[114:115], v[50:51], v[12:13]
	;; [unrolled: 1-line block ×4, first 2 shown]
	s_waitcnt lgkmcnt(0)
	v_mul_f64 v[12:13], v[6:7], v[10:11]
	v_mul_f64 v[14:15], v[4:5], v[10:11]
	v_fma_f64 v[12:13], v[4:5], v[8:9], -v[12:13]
	v_fmac_f64_e32 v[14:15], v[6:7], v[8:9]
	v_add_f64 v[118:119], v[46:47], v[12:13]
	v_add_f64 v[120:121], v[14:15], v[48:49]
	ds_read_b128 v[12:15], v112 offset:2304
	v_add_f64 v[104:105], v[22:23], v[64:65]
	v_add_f64 v[106:107], v[58:59], v[20:21]
	;; [unrolled: 1-line block ×3, first 2 shown]
	s_waitcnt lgkmcnt(0)
	v_mul_f64 v[16:17], v[6:7], v[14:15]
	v_mul_f64 v[18:19], v[4:5], v[14:15]
	v_fma_f64 v[16:17], v[4:5], v[12:13], -v[16:17]
	v_fmac_f64_e32 v[18:19], v[6:7], v[12:13]
	v_add_f64 v[122:123], v[42:43], v[16:17]
	v_add_f64 v[124:125], v[18:19], v[44:45]
	ds_read_b128 v[16:19], v112 offset:2560
	s_waitcnt lgkmcnt(0)
	v_mul_f64 v[20:21], v[6:7], v[18:19]
	v_mul_f64 v[22:23], v[4:5], v[18:19]
	v_fma_f64 v[20:21], v[4:5], v[16:17], -v[20:21]
	v_fmac_f64_e32 v[22:23], v[6:7], v[16:17]
	v_add_f64 v[126:127], v[38:39], v[20:21]
	v_add_f64 v[128:129], v[22:23], v[40:41]
	ds_read_b128 v[20:23], v112 offset:2816
	s_waitcnt lgkmcnt(0)
	v_mul_f64 v[38:39], v[6:7], v[22:23]
	v_fma_f64 v[38:39], v[4:5], v[20:21], -v[38:39]
	v_mul_f64 v[4:5], v[4:5], v[22:23]
	v_fmac_f64_e32 v[4:5], v[6:7], v[20:21]
	v_add_f64 v[132:133], v[4:5], v[36:37]
	ds_read_b128 v[4:7], v113 offset:1056
	v_add_f64 v[130:131], v[34:35], v[38:39]
	s_waitcnt lgkmcnt(0)
	v_mul_f64 v[34:35], v[6:7], v[10:11]
	v_fma_f64 v[34:35], v[4:5], v[8:9], -v[34:35]
	v_add_f64 v[46:47], v[66:67], v[34:35]
	v_mul_f64 v[34:35], v[6:7], v[14:15]
	v_mul_f64 v[36:37], v[4:5], v[10:11]
	v_fma_f64 v[34:35], v[4:5], v[12:13], -v[34:35]
	v_fmac_f64_e32 v[36:37], v[6:7], v[8:9]
	v_add_f64 v[58:59], v[70:71], v[34:35]
	v_mul_f64 v[34:35], v[6:7], v[18:19]
	v_add_f64 v[50:51], v[36:37], v[68:69]
	v_mul_f64 v[36:37], v[4:5], v[14:15]
	v_fma_f64 v[34:35], v[4:5], v[16:17], -v[34:35]
	v_fmac_f64_e32 v[36:37], v[6:7], v[12:13]
	v_add_f64 v[62:63], v[74:75], v[34:35]
	v_mul_f64 v[34:35], v[6:7], v[22:23]
	v_add_f64 v[60:61], v[36:37], v[72:73]
	v_mul_f64 v[36:37], v[4:5], v[18:19]
	v_fma_f64 v[34:35], v[4:5], v[20:21], -v[34:35]
	v_mul_f64 v[4:5], v[4:5], v[22:23]
	v_fmac_f64_e32 v[4:5], v[6:7], v[20:21]
	v_fmac_f64_e32 v[36:37], v[6:7], v[16:17]
	v_add_f64 v[72:73], v[4:5], v[80:81]
	ds_read_b128 v[4:7], v113 offset:2080
	v_add_f64 v[70:71], v[78:79], v[34:35]
	v_add_f64 v[64:65], v[36:37], v[76:77]
	s_waitcnt lgkmcnt(0)
	v_mul_f64 v[34:35], v[6:7], v[10:11]
	v_fma_f64 v[34:35], v[4:5], v[8:9], -v[34:35]
	v_add_f64 v[42:43], v[82:83], v[34:35]
	v_mul_f64 v[34:35], v[6:7], v[14:15]
	v_mul_f64 v[36:37], v[4:5], v[10:11]
	v_fma_f64 v[34:35], v[4:5], v[12:13], -v[34:35]
	v_fmac_f64_e32 v[36:37], v[6:7], v[8:9]
	v_add_f64 v[48:49], v[86:87], v[34:35]
	v_mul_f64 v[34:35], v[6:7], v[18:19]
	v_add_f64 v[44:45], v[36:37], v[84:85]
	v_mul_f64 v[36:37], v[4:5], v[14:15]
	v_fma_f64 v[34:35], v[4:5], v[16:17], -v[34:35]
	v_fmac_f64_e32 v[36:37], v[6:7], v[12:13]
	v_add_f64 v[94:95], v[90:91], v[34:35]
	v_mul_f64 v[34:35], v[6:7], v[22:23]
	v_add_f64 v[52:53], v[36:37], v[88:89]
	v_mul_f64 v[36:37], v[4:5], v[18:19]
	v_fma_f64 v[34:35], v[4:5], v[20:21], -v[34:35]
	v_mul_f64 v[4:5], v[4:5], v[22:23]
	v_fmac_f64_e32 v[4:5], v[6:7], v[20:21]
	v_fmac_f64_e32 v[36:37], v[6:7], v[16:17]
	v_add_f64 v[100:101], v[4:5], v[100:101]
	ds_read_b128 v[4:7], v113 offset:3104
	v_add_f64 v[98:99], v[98:99], v[34:35]
	v_add_f64 v[96:97], v[36:37], v[92:93]
	s_waitcnt lgkmcnt(0)
	v_mul_f64 v[34:35], v[6:7], v[10:11]
	v_mul_f64 v[10:11], v[4:5], v[10:11]
	v_fmac_f64_e32 v[10:11], v[6:7], v[8:9]
	v_fma_f64 v[34:35], v[4:5], v[8:9], -v[34:35]
	v_add_f64 v[80:81], v[10:11], v[104:105]
	v_mul_f64 v[8:9], v[6:7], v[14:15]
	v_mul_f64 v[10:11], v[4:5], v[14:15]
	v_fma_f64 v[8:9], v[4:5], v[12:13], -v[8:9]
	v_fmac_f64_e32 v[10:11], v[6:7], v[12:13]
	v_add_f64 v[90:91], v[106:107], v[8:9]
	v_add_f64 v[92:93], v[10:11], v[108:109]
	v_mul_f64 v[8:9], v[6:7], v[18:19]
	v_mul_f64 v[10:11], v[4:5], v[18:19]
	v_fma_f64 v[8:9], v[4:5], v[16:17], -v[8:9]
	v_fmac_f64_e32 v[10:11], v[6:7], v[16:17]
	ds_read_b128 v[16:19], v112 offset:3072
	ds_read_b128 v[12:15], v112 offset:3328
	v_add_f64 v[86:87], v[54:55], v[8:9]
	v_mul_f64 v[8:9], v[6:7], v[22:23]
	v_fma_f64 v[8:9], v[4:5], v[20:21], -v[8:9]
	v_mul_f64 v[4:5], v[4:5], v[22:23]
	v_add_f64 v[88:89], v[10:11], v[56:57]
	v_fmac_f64_e32 v[4:5], v[6:7], v[20:21]
	v_add_f64 v[82:83], v[114:115], v[8:9]
	ds_read_b128 v[8:11], v112 offset:3584
	v_add_f64 v[84:85], v[4:5], v[116:117]
	s_waitcnt lgkmcnt(2)
	v_mul_f64 v[4:5], v[2:3], v[18:19]
	v_mul_f64 v[6:7], v[0:1], v[18:19]
	v_fma_f64 v[4:5], v[0:1], v[16:17], -v[4:5]
	v_fmac_f64_e32 v[6:7], v[2:3], v[16:17]
	v_add_f64 v[54:55], v[118:119], v[4:5]
	v_add_f64 v[56:57], v[6:7], v[120:121]
	s_waitcnt lgkmcnt(1)
	v_mul_f64 v[4:5], v[2:3], v[14:15]
	v_mul_f64 v[6:7], v[0:1], v[14:15]
	v_fma_f64 v[4:5], v[0:1], v[12:13], -v[4:5]
	v_fmac_f64_e32 v[6:7], v[2:3], v[12:13]
	v_add_f64 v[38:39], v[122:123], v[4:5]
	;; [unrolled: 7-line block ×3, first 2 shown]
	v_add_f64 v[34:35], v[126:127], v[4:5]
	v_add_f64 v[36:37], v[6:7], v[128:129]
	ds_read_b128 v[4:7], v112 offset:3840
	s_waitcnt lgkmcnt(0)
	v_mul_f64 v[20:21], v[2:3], v[6:7]
	v_fma_f64 v[20:21], v[0:1], v[4:5], -v[20:21]
	v_mul_f64 v[0:1], v[0:1], v[6:7]
	v_fmac_f64_e32 v[0:1], v[2:3], v[4:5]
	v_add_f64 v[22:23], v[0:1], v[132:133]
	ds_read_b128 v[0:3], v113 offset:1072
	v_add_f64 v[20:21], v[130:131], v[20:21]
	s_waitcnt lgkmcnt(0)
	v_mul_f64 v[66:67], v[2:3], v[18:19]
	v_fma_f64 v[66:67], v[0:1], v[16:17], -v[66:67]
	v_add_f64 v[74:75], v[46:47], v[66:67]
	v_mul_f64 v[46:47], v[2:3], v[14:15]
	v_mul_f64 v[68:69], v[0:1], v[18:19]
	v_fma_f64 v[46:47], v[0:1], v[12:13], -v[46:47]
	v_fmac_f64_e32 v[68:69], v[2:3], v[16:17]
	v_add_f64 v[66:67], v[58:59], v[46:47]
	v_mul_f64 v[46:47], v[2:3], v[10:11]
	v_add_f64 v[76:77], v[68:69], v[50:51]
	v_mul_f64 v[50:51], v[0:1], v[14:15]
	v_fma_f64 v[46:47], v[0:1], v[8:9], -v[46:47]
	v_fmac_f64_e32 v[50:51], v[2:3], v[12:13]
	v_add_f64 v[58:59], v[62:63], v[46:47]
	v_mul_f64 v[46:47], v[2:3], v[6:7]
	v_add_f64 v[68:69], v[50:51], v[60:61]
	v_mul_f64 v[50:51], v[0:1], v[10:11]
	v_fma_f64 v[46:47], v[0:1], v[4:5], -v[46:47]
	v_mul_f64 v[0:1], v[0:1], v[6:7]
	v_fmac_f64_e32 v[50:51], v[2:3], v[8:9]
	v_fmac_f64_e32 v[0:1], v[2:3], v[4:5]
	v_add_f64 v[62:63], v[50:51], v[64:65]
	v_add_f64 v[50:51], v[0:1], v[72:73]
	ds_read_b128 v[0:3], v113 offset:2096
	v_add_f64 v[46:47], v[70:71], v[46:47]
	s_waitcnt lgkmcnt(0)
	v_mul_f64 v[60:61], v[2:3], v[18:19]
	v_fma_f64 v[60:61], v[0:1], v[16:17], -v[60:61]
	v_add_f64 v[70:71], v[42:43], v[60:61]
	v_mul_f64 v[42:43], v[2:3], v[14:15]
	v_mul_f64 v[64:65], v[0:1], v[18:19]
	v_fma_f64 v[42:43], v[0:1], v[12:13], -v[42:43]
	v_fmac_f64_e32 v[64:65], v[2:3], v[16:17]
	v_add_f64 v[60:61], v[48:49], v[42:43]
	v_mul_f64 v[42:43], v[2:3], v[10:11]
	v_add_f64 v[72:73], v[64:65], v[44:45]
	v_mul_f64 v[44:45], v[0:1], v[14:15]
	v_fma_f64 v[42:43], v[0:1], v[8:9], -v[42:43]
	v_fmac_f64_e32 v[44:45], v[2:3], v[12:13]
	v_add_f64 v[48:49], v[94:95], v[42:43]
	v_mul_f64 v[42:43], v[2:3], v[6:7]
	v_add_f64 v[64:65], v[44:45], v[52:53]
	v_mul_f64 v[44:45], v[0:1], v[10:11]
	v_fma_f64 v[42:43], v[0:1], v[4:5], -v[42:43]
	v_mul_f64 v[0:1], v[0:1], v[6:7]
	v_fmac_f64_e32 v[44:45], v[2:3], v[8:9]
	v_fmac_f64_e32 v[0:1], v[2:3], v[4:5]
	v_add_f64 v[52:53], v[44:45], v[96:97]
	v_add_f64 v[44:45], v[0:1], v[100:101]
	ds_read_b128 v[0:3], v113 offset:3120
	v_add_f64 v[42:43], v[98:99], v[42:43]
	s_waitcnt lgkmcnt(0)
	s_barrier
	v_mul_f64 v[94:95], v[2:3], v[18:19]
	v_mul_f64 v[18:19], v[0:1], v[18:19]
	v_fma_f64 v[94:95], v[0:1], v[16:17], -v[94:95]
	v_fmac_f64_e32 v[18:19], v[2:3], v[16:17]
	v_mul_f64 v[16:17], v[2:3], v[14:15]
	v_mul_f64 v[14:15], v[0:1], v[14:15]
	v_fma_f64 v[16:17], v[0:1], v[12:13], -v[16:17]
	v_fmac_f64_e32 v[14:15], v[2:3], v[12:13]
	v_mul_f64 v[12:13], v[2:3], v[10:11]
	v_mul_f64 v[10:11], v[0:1], v[10:11]
	v_fma_f64 v[12:13], v[0:1], v[8:9], -v[12:13]
	v_fmac_f64_e32 v[10:11], v[2:3], v[8:9]
	v_mul_f64 v[8:9], v[2:3], v[6:7]
	v_fma_f64 v[8:9], v[0:1], v[4:5], -v[8:9]
	v_mul_f64 v[0:1], v[0:1], v[6:7]
	v_fmac_f64_e32 v[0:1], v[2:3], v[4:5]
	v_add_f64 v[78:79], v[78:79], v[94:95]
	v_add_f64 v[80:81], v[18:19], v[80:81]
	;; [unrolled: 1-line block ×8, first 2 shown]
	s_cbranch_vccnz .LBB119_2
	s_branch .LBB119_4
.LBB119_3:
	v_mov_b64_e32 v[54:55], 0
	v_mov_b64_e32 v[56:57], 0
	;; [unrolled: 1-line block ×32, first 2 shown]
.LBB119_4:
	s_load_dwordx2 s[0:1], s[0:1], 0x90
	v_cmp_neq_f64_e64 s[8:9], s[10:11], 0
	v_lshl_add_u64 v[2:3], s[6:7], 0, v[26:27]
	s_mov_b64 s[6:7], 0
	v_lshl_add_u64 v[0:1], s[2:3], 0, v[24:25]
	s_waitcnt lgkmcnt(0)
	s_mul_i32 s1, s1, s4
	s_mul_hi_u32 s5, s0, s4
	s_mul_i32 s0, s0, s4
	s_add_i32 s1, s5, s1
	s_lshl_b64 s[0:1], s[0:1], 4
	s_add_u32 s0, s20, s0
	s_addc_u32 s1, s21, s1
	v_cmp_neq_f64_e64 s[20:21], s[12:13], 0
	s_or_b64 s[8:9], s[8:9], s[20:21]
	s_and_b64 vcc, exec, s[8:9]
	s_cbranch_vccnz .LBB119_6
; %bb.5:
	v_mul_lo_u32 v6, v3, s22
	v_mul_lo_u32 v7, v2, s23
	v_mad_u64_u32 v[4:5], s[2:3], v2, s22, 0
	v_add3_u32 v5, v5, v7, v6
	v_lshl_add_u64 v[24:25], v[4:5], 4, s[0:1]
	v_mul_f64 v[4:5], s[40:41], v[56:57]
	v_mul_f64 v[6:7], s[38:39], v[56:57]
	v_lshlrev_b64 v[26:27], 4, v[0:1]
	v_fma_f64 v[4:5], s[38:39], v[54:55], -v[4:5]
	v_fmac_f64_e32 v[6:7], s[40:41], v[54:55]
	v_lshl_add_u64 v[28:29], v[24:25], 0, v[26:27]
	global_store_dwordx4 v[28:29], v[4:7], off
	s_lshl_b64 s[2:3], s[22:23], 8
	v_lshl_add_u64 v[24:25], v[24:25], 0, s[2:3]
	v_mul_f64 v[4:5], s[40:41], v[40:41]
	v_mul_f64 v[6:7], s[38:39], v[40:41]
	v_fma_f64 v[4:5], s[38:39], v[38:39], -v[4:5]
	v_fmac_f64_e32 v[6:7], s[40:41], v[38:39]
	global_store_dwordx4 v[28:29], v[4:7], off offset:256
	s_nop 1
	v_mul_f64 v[4:5], s[40:41], v[36:37]
	v_mul_f64 v[6:7], s[38:39], v[36:37]
	v_fma_f64 v[4:5], s[38:39], v[34:35], -v[4:5]
	v_fmac_f64_e32 v[6:7], s[40:41], v[34:35]
	global_store_dwordx4 v[28:29], v[4:7], off offset:512
	s_nop 1
	v_mul_f64 v[4:5], s[40:41], v[22:23]
	v_mul_f64 v[6:7], s[38:39], v[22:23]
	v_fma_f64 v[4:5], s[38:39], v[20:21], -v[4:5]
	v_fmac_f64_e32 v[6:7], s[40:41], v[20:21]
	global_store_dwordx4 v[28:29], v[4:7], off offset:768
	v_lshl_add_u64 v[28:29], v[24:25], 0, v[26:27]
	v_lshl_add_u64 v[24:25], v[24:25], 0, s[2:3]
	v_mul_f64 v[4:5], s[40:41], v[76:77]
	v_mul_f64 v[6:7], s[38:39], v[76:77]
	v_fma_f64 v[4:5], s[38:39], v[74:75], -v[4:5]
	v_fmac_f64_e32 v[6:7], s[40:41], v[74:75]
	global_store_dwordx4 v[28:29], v[4:7], off
	s_nop 1
	v_mul_f64 v[4:5], s[40:41], v[68:69]
	v_mul_f64 v[6:7], s[38:39], v[68:69]
	v_fma_f64 v[4:5], s[38:39], v[66:67], -v[4:5]
	v_fmac_f64_e32 v[6:7], s[40:41], v[66:67]
	global_store_dwordx4 v[28:29], v[4:7], off offset:256
	s_nop 1
	v_mul_f64 v[4:5], s[40:41], v[62:63]
	v_mul_f64 v[6:7], s[38:39], v[62:63]
	v_fma_f64 v[4:5], s[38:39], v[58:59], -v[4:5]
	v_fmac_f64_e32 v[6:7], s[40:41], v[58:59]
	global_store_dwordx4 v[28:29], v[4:7], off offset:512
	;; [unrolled: 6-line block ×3, first 2 shown]
	v_lshl_add_u64 v[28:29], v[24:25], 0, v[26:27]
	v_lshl_add_u64 v[24:25], v[24:25], 0, s[2:3]
	v_mul_f64 v[4:5], s[40:41], v[72:73]
	v_mul_f64 v[6:7], s[38:39], v[72:73]
	v_fma_f64 v[4:5], s[38:39], v[70:71], -v[4:5]
	v_fmac_f64_e32 v[6:7], s[40:41], v[70:71]
	global_store_dwordx4 v[28:29], v[4:7], off
	v_lshl_add_u64 v[24:25], v[24:25], 0, v[26:27]
	s_mov_b64 s[2:3], 0x300
	v_mul_f64 v[4:5], s[40:41], v[64:65]
	v_mul_f64 v[6:7], s[38:39], v[64:65]
	v_fma_f64 v[4:5], s[38:39], v[60:61], -v[4:5]
	v_fmac_f64_e32 v[6:7], s[40:41], v[60:61]
	global_store_dwordx4 v[28:29], v[4:7], off offset:256
	s_nop 1
	v_mul_f64 v[4:5], s[40:41], v[52:53]
	v_mul_f64 v[6:7], s[38:39], v[52:53]
	v_fma_f64 v[4:5], s[38:39], v[48:49], -v[4:5]
	v_fmac_f64_e32 v[6:7], s[40:41], v[48:49]
	global_store_dwordx4 v[28:29], v[4:7], off offset:512
	s_nop 1
	;; [unrolled: 6-line block ×3, first 2 shown]
	v_mul_f64 v[4:5], s[40:41], v[80:81]
	v_mul_f64 v[6:7], s[38:39], v[80:81]
	v_fma_f64 v[4:5], s[38:39], v[78:79], -v[4:5]
	v_fmac_f64_e32 v[6:7], s[40:41], v[78:79]
	global_store_dwordx4 v[24:25], v[4:7], off
	s_nop 1
	v_mul_f64 v[4:5], s[40:41], v[18:19]
	v_mul_f64 v[6:7], s[38:39], v[18:19]
	v_fma_f64 v[4:5], s[38:39], v[16:17], -v[4:5]
	v_fmac_f64_e32 v[6:7], s[40:41], v[16:17]
	global_store_dwordx4 v[24:25], v[4:7], off offset:256
	s_nop 1
	v_mul_f64 v[4:5], s[40:41], v[14:15]
	v_mul_f64 v[6:7], s[38:39], v[14:15]
	v_fma_f64 v[4:5], s[38:39], v[12:13], -v[4:5]
	v_fmac_f64_e32 v[6:7], s[40:41], v[12:13]
	global_store_dwordx4 v[24:25], v[4:7], off offset:512
	s_nop 1
	v_mul_f64 v[4:5], s[40:41], v[10:11]
	v_fma_f64 v[26:27], s[38:39], v[8:9], -v[4:5]
	v_mul_f64 v[4:5], s[38:39], v[10:11]
	v_fmac_f64_e32 v[4:5], s[40:41], v[8:9]
	v_lshl_add_u64 v[6:7], v[24:25], 0, s[2:3]
	global_store_dwordx2 v[24:25], v[26:27], off offset:768
	s_andn2_b64 vcc, exec, s[6:7]
	s_cbranch_vccz .LBB119_7
	s_branch .LBB119_8
.LBB119_6:
                                        ; implicit-def: $vgpr4_vgpr5
                                        ; implicit-def: $vgpr6_vgpr7
.LBB119_7:
	s_mul_i32 s2, s19, s4
	s_mul_hi_u32 s3, s18, s4
	s_add_i32 s3, s3, s2
	s_mul_i32 s2, s18, s4
	s_lshl_b64 s[2:3], s[2:3], 4
	s_add_u32 s2, s14, s2
	v_mul_lo_u32 v6, v3, s16
	v_mul_lo_u32 v7, v2, s17
	v_mad_u64_u32 v[4:5], s[4:5], v2, s16, 0
	s_addc_u32 s3, s15, s3
	v_add3_u32 v5, v5, v7, v6
	v_lshl_add_u64 v[24:25], v[4:5], 4, s[2:3]
	v_lshlrev_b64 v[0:1], 4, v[0:1]
	v_lshl_add_u64 v[26:27], v[24:25], 0, v[0:1]
	global_load_dwordx4 v[4:7], v[26:27], off
	v_mul_lo_u32 v32, v3, s22
	v_mul_lo_u32 v33, v2, s23
	v_mad_u64_u32 v[2:3], s[2:3], v2, s22, 0
	v_add3_u32 v3, v3, v33, v32
	v_mul_f64 v[28:29], s[40:41], v[56:57]
	v_mul_f64 v[30:31], s[38:39], v[56:57]
	v_lshl_add_u64 v[32:33], v[2:3], 4, s[0:1]
	v_fma_f64 v[28:29], s[38:39], v[54:55], -v[28:29]
	v_fmac_f64_e32 v[30:31], s[40:41], v[54:55]
	v_lshl_add_u64 v[54:55], v[32:33], 0, v[0:1]
	s_lshl_b64 s[0:1], s[16:17], 8
	s_lshl_b64 s[2:3], s[22:23], 8
	s_waitcnt vmcnt(0)
	v_mul_f64 v[2:3], s[12:13], v[6:7]
	v_mul_f64 v[6:7], s[10:11], v[6:7]
	v_fma_f64 v[2:3], s[10:11], v[4:5], -v[2:3]
	v_fmac_f64_e32 v[6:7], s[12:13], v[4:5]
	v_add_f64 v[2:3], v[28:29], v[2:3]
	v_add_f64 v[4:5], v[30:31], v[6:7]
	global_store_dwordx4 v[54:55], v[2:5], off
	global_load_dwordx4 v[2:5], v[26:27], off offset:256
	v_mul_f64 v[6:7], s[40:41], v[40:41]
	v_mul_f64 v[28:29], s[38:39], v[40:41]
	v_fma_f64 v[6:7], s[38:39], v[38:39], -v[6:7]
	v_fmac_f64_e32 v[28:29], s[40:41], v[38:39]
	s_waitcnt vmcnt(0)
	v_mul_f64 v[30:31], s[12:13], v[4:5]
	v_mul_f64 v[4:5], s[10:11], v[4:5]
	v_fma_f64 v[30:31], s[10:11], v[2:3], -v[30:31]
	v_fmac_f64_e32 v[4:5], s[12:13], v[2:3]
	v_add_f64 v[2:3], v[6:7], v[30:31]
	v_add_f64 v[4:5], v[28:29], v[4:5]
	global_store_dwordx4 v[54:55], v[2:5], off offset:256
	global_load_dwordx4 v[2:5], v[26:27], off offset:512
	v_mul_f64 v[6:7], s[40:41], v[36:37]
	v_mul_f64 v[28:29], s[38:39], v[36:37]
	v_fma_f64 v[6:7], s[38:39], v[34:35], -v[6:7]
	v_fmac_f64_e32 v[28:29], s[40:41], v[34:35]
	s_waitcnt vmcnt(0)
	v_mul_f64 v[30:31], s[12:13], v[4:5]
	v_mul_f64 v[4:5], s[10:11], v[4:5]
	v_fma_f64 v[30:31], s[10:11], v[2:3], -v[30:31]
	v_fmac_f64_e32 v[4:5], s[12:13], v[2:3]
	v_add_f64 v[2:3], v[6:7], v[30:31]
	v_add_f64 v[4:5], v[28:29], v[4:5]
	global_store_dwordx4 v[54:55], v[2:5], off offset:512
	global_load_dwordx4 v[2:5], v[26:27], off offset:768
	v_mul_f64 v[6:7], s[40:41], v[22:23]
	v_mul_f64 v[22:23], s[38:39], v[22:23]
	v_fma_f64 v[6:7], s[38:39], v[20:21], -v[6:7]
	v_fmac_f64_e32 v[22:23], s[40:41], v[20:21]
	v_lshl_add_u64 v[20:21], v[24:25], 0, s[0:1]
	v_lshl_add_u64 v[24:25], v[20:21], 0, v[0:1]
	;; [unrolled: 1-line block ×3, first 2 shown]
	s_waitcnt vmcnt(0)
	v_mul_f64 v[26:27], s[12:13], v[4:5]
	v_mul_f64 v[4:5], s[10:11], v[4:5]
	v_fma_f64 v[26:27], s[10:11], v[2:3], -v[26:27]
	v_fmac_f64_e32 v[4:5], s[12:13], v[2:3]
	v_add_f64 v[2:3], v[6:7], v[26:27]
	v_add_f64 v[4:5], v[22:23], v[4:5]
	global_store_dwordx4 v[54:55], v[2:5], off offset:768
	global_load_dwordx4 v[2:5], v[24:25], off
	v_mul_f64 v[6:7], s[40:41], v[76:77]
	v_mul_f64 v[22:23], s[38:39], v[76:77]
	v_fma_f64 v[6:7], s[38:39], v[74:75], -v[6:7]
	v_fmac_f64_e32 v[22:23], s[40:41], v[74:75]
	v_lshl_add_u64 v[26:27], v[32:33], 0, s[2:3]
	v_lshl_add_u64 v[28:29], v[26:27], 0, v[0:1]
	;; [unrolled: 1-line block ×3, first 2 shown]
	s_waitcnt vmcnt(0)
	v_mul_f64 v[30:31], s[12:13], v[4:5]
	v_mul_f64 v[4:5], s[10:11], v[4:5]
	v_fma_f64 v[30:31], s[10:11], v[2:3], -v[30:31]
	v_fmac_f64_e32 v[4:5], s[12:13], v[2:3]
	v_add_f64 v[2:3], v[6:7], v[30:31]
	v_add_f64 v[4:5], v[22:23], v[4:5]
	global_store_dwordx4 v[28:29], v[2:5], off
	global_load_dwordx4 v[2:5], v[24:25], off offset:256
	v_mul_f64 v[6:7], s[40:41], v[68:69]
	v_mul_f64 v[22:23], s[38:39], v[68:69]
	v_fma_f64 v[6:7], s[38:39], v[66:67], -v[6:7]
	v_fmac_f64_e32 v[22:23], s[40:41], v[66:67]
	s_waitcnt vmcnt(0)
	v_mul_f64 v[30:31], s[12:13], v[4:5]
	v_mul_f64 v[4:5], s[10:11], v[4:5]
	v_fma_f64 v[30:31], s[10:11], v[2:3], -v[30:31]
	v_fmac_f64_e32 v[4:5], s[12:13], v[2:3]
	v_add_f64 v[2:3], v[6:7], v[30:31]
	v_add_f64 v[4:5], v[22:23], v[4:5]
	global_store_dwordx4 v[28:29], v[2:5], off offset:256
	global_load_dwordx4 v[2:5], v[24:25], off offset:512
	v_mul_f64 v[6:7], s[40:41], v[62:63]
	v_mul_f64 v[22:23], s[38:39], v[62:63]
	v_fma_f64 v[6:7], s[38:39], v[58:59], -v[6:7]
	v_fmac_f64_e32 v[22:23], s[40:41], v[58:59]
	s_waitcnt vmcnt(0)
	v_mul_f64 v[30:31], s[12:13], v[4:5]
	v_mul_f64 v[4:5], s[10:11], v[4:5]
	v_fma_f64 v[30:31], s[10:11], v[2:3], -v[30:31]
	v_fmac_f64_e32 v[4:5], s[12:13], v[2:3]
	v_add_f64 v[2:3], v[6:7], v[30:31]
	v_add_f64 v[4:5], v[22:23], v[4:5]
	global_store_dwordx4 v[28:29], v[2:5], off offset:512
	global_load_dwordx4 v[2:5], v[24:25], off offset:768
	v_mul_f64 v[6:7], s[40:41], v[50:51]
	v_mul_f64 v[22:23], s[38:39], v[50:51]
	v_fma_f64 v[6:7], s[38:39], v[46:47], -v[6:7]
	v_fmac_f64_e32 v[22:23], s[40:41], v[46:47]
	v_lshl_add_u64 v[24:25], v[20:21], 0, v[0:1]
	v_lshl_add_u64 v[20:21], v[20:21], 0, s[0:1]
	;; [unrolled: 1-line block ×3, first 2 shown]
	s_mov_b64 s[0:1], 0x300
	s_waitcnt vmcnt(0)
	v_mul_f64 v[30:31], s[12:13], v[4:5]
	v_mul_f64 v[4:5], s[10:11], v[4:5]
	v_fma_f64 v[30:31], s[10:11], v[2:3], -v[30:31]
	v_fmac_f64_e32 v[4:5], s[12:13], v[2:3]
	v_add_f64 v[2:3], v[6:7], v[30:31]
	v_add_f64 v[4:5], v[22:23], v[4:5]
	global_store_dwordx4 v[28:29], v[2:5], off offset:768
	global_load_dwordx4 v[2:5], v[24:25], off
	v_mul_f64 v[6:7], s[40:41], v[72:73]
	v_mul_f64 v[22:23], s[38:39], v[72:73]
	v_fma_f64 v[6:7], s[38:39], v[70:71], -v[6:7]
	v_fmac_f64_e32 v[22:23], s[40:41], v[70:71]
	v_lshl_add_u64 v[28:29], v[26:27], 0, v[0:1]
	s_waitcnt vmcnt(0)
	v_mul_f64 v[30:31], s[12:13], v[4:5]
	v_mul_f64 v[4:5], s[10:11], v[4:5]
	v_fma_f64 v[30:31], s[10:11], v[2:3], -v[30:31]
	v_fmac_f64_e32 v[4:5], s[12:13], v[2:3]
	v_add_f64 v[2:3], v[6:7], v[30:31]
	v_add_f64 v[4:5], v[22:23], v[4:5]
	global_store_dwordx4 v[28:29], v[2:5], off
	global_load_dwordx4 v[2:5], v[24:25], off offset:256
	v_mul_f64 v[6:7], s[40:41], v[64:65]
	v_mul_f64 v[22:23], s[38:39], v[64:65]
	v_fma_f64 v[6:7], s[38:39], v[60:61], -v[6:7]
	v_fmac_f64_e32 v[22:23], s[40:41], v[60:61]
	s_waitcnt vmcnt(0)
	v_mul_f64 v[30:31], s[12:13], v[4:5]
	v_mul_f64 v[4:5], s[10:11], v[4:5]
	v_fma_f64 v[30:31], s[10:11], v[2:3], -v[30:31]
	v_fmac_f64_e32 v[4:5], s[12:13], v[2:3]
	v_add_f64 v[2:3], v[6:7], v[30:31]
	v_add_f64 v[4:5], v[22:23], v[4:5]
	global_store_dwordx4 v[28:29], v[2:5], off offset:256
	global_load_dwordx4 v[2:5], v[24:25], off offset:512
	v_mul_f64 v[6:7], s[40:41], v[52:53]
	v_mul_f64 v[22:23], s[38:39], v[52:53]
	v_fma_f64 v[6:7], s[38:39], v[48:49], -v[6:7]
	v_fmac_f64_e32 v[22:23], s[40:41], v[48:49]
	s_waitcnt vmcnt(0)
	v_mul_f64 v[30:31], s[12:13], v[4:5]
	v_mul_f64 v[4:5], s[10:11], v[4:5]
	v_fma_f64 v[30:31], s[10:11], v[2:3], -v[30:31]
	v_fmac_f64_e32 v[4:5], s[12:13], v[2:3]
	v_add_f64 v[2:3], v[6:7], v[30:31]
	v_add_f64 v[4:5], v[22:23], v[4:5]
	global_store_dwordx4 v[28:29], v[2:5], off offset:512
	;; [unrolled: 13-line block ×3, first 2 shown]
	global_load_dwordx4 v[2:5], v[20:21], off
	v_lshl_add_u64 v[24:25], v[26:27], 0, s[2:3]
	v_mul_f64 v[6:7], s[40:41], v[80:81]
	v_mul_f64 v[22:23], s[38:39], v[80:81]
	v_lshl_add_u64 v[24:25], v[24:25], 0, v[0:1]
	v_fma_f64 v[6:7], s[38:39], v[78:79], -v[6:7]
	v_fmac_f64_e32 v[22:23], s[40:41], v[78:79]
	s_waitcnt vmcnt(0)
	v_mul_f64 v[0:1], s[12:13], v[4:5]
	v_mul_f64 v[4:5], s[10:11], v[4:5]
	v_fma_f64 v[0:1], s[10:11], v[2:3], -v[0:1]
	v_fmac_f64_e32 v[4:5], s[12:13], v[2:3]
	v_add_f64 v[0:1], v[6:7], v[0:1]
	v_add_f64 v[2:3], v[22:23], v[4:5]
	global_store_dwordx4 v[24:25], v[0:3], off
	global_load_dwordx4 v[0:3], v[20:21], off offset:256
	v_mul_f64 v[4:5], s[40:41], v[18:19]
	v_mul_f64 v[6:7], s[38:39], v[18:19]
	v_fma_f64 v[4:5], s[38:39], v[16:17], -v[4:5]
	v_fmac_f64_e32 v[6:7], s[40:41], v[16:17]
	s_waitcnt vmcnt(0)
	v_mul_f64 v[16:17], s[12:13], v[2:3]
	v_mul_f64 v[2:3], s[10:11], v[2:3]
	v_fma_f64 v[16:17], s[10:11], v[0:1], -v[16:17]
	v_fmac_f64_e32 v[2:3], s[12:13], v[0:1]
	v_add_f64 v[0:1], v[4:5], v[16:17]
	v_add_f64 v[2:3], v[6:7], v[2:3]
	global_store_dwordx4 v[24:25], v[0:3], off offset:256
	global_load_dwordx4 v[0:3], v[20:21], off offset:512
	v_mul_f64 v[4:5], s[40:41], v[14:15]
	v_mul_f64 v[6:7], s[38:39], v[14:15]
	v_fma_f64 v[4:5], s[38:39], v[12:13], -v[4:5]
	v_fmac_f64_e32 v[6:7], s[40:41], v[12:13]
	s_waitcnt vmcnt(0)
	v_mul_f64 v[12:13], s[12:13], v[2:3]
	v_mul_f64 v[2:3], s[10:11], v[2:3]
	v_fma_f64 v[12:13], s[10:11], v[0:1], -v[12:13]
	v_fmac_f64_e32 v[2:3], s[12:13], v[0:1]
	v_add_f64 v[0:1], v[4:5], v[12:13]
	v_add_f64 v[2:3], v[6:7], v[2:3]
	global_store_dwordx4 v[24:25], v[0:3], off offset:512
	global_load_dwordx4 v[0:3], v[20:21], off offset:768
	v_mul_f64 v[4:5], s[40:41], v[10:11]
	v_mul_f64 v[6:7], s[38:39], v[10:11]
	v_fma_f64 v[4:5], s[38:39], v[8:9], -v[4:5]
	v_fmac_f64_e32 v[6:7], s[40:41], v[8:9]
	s_waitcnt vmcnt(0)
	v_mul_f64 v[8:9], s[12:13], v[2:3]
	v_mul_f64 v[2:3], s[10:11], v[2:3]
	v_fma_f64 v[8:9], s[10:11], v[0:1], -v[8:9]
	v_fmac_f64_e32 v[2:3], s[12:13], v[0:1]
	v_add_f64 v[0:1], v[4:5], v[8:9]
	v_add_f64 v[4:5], v[6:7], v[2:3]
	v_lshl_add_u64 v[6:7], v[24:25], 0, s[0:1]
	global_store_dwordx2 v[24:25], v[0:1], off offset:768
.LBB119_8:
	global_store_dwordx2 v[6:7], v[4:5], off offset:8
	s_endpgm
	.section	.rodata,"a",@progbits
	.p2align	6, 0x0
	.amdhsa_kernel _ZN12_GLOBAL__N_127rocblas_gemm_batched_kernelI19rocblas_complex_numIdELi16ELi16ELi64ELi64ELi4ELi64ELi4ELi4ELi64ELc84ELc78EKS2_S3_S2_EEvlllT_PT11_llS6_llS4_PT12_llPT13_lli
		.amdhsa_group_segment_fixed_size 8192
		.amdhsa_private_segment_fixed_size 0
		.amdhsa_kernarg_size 156
		.amdhsa_user_sgpr_count 2
		.amdhsa_user_sgpr_dispatch_ptr 0
		.amdhsa_user_sgpr_queue_ptr 0
		.amdhsa_user_sgpr_kernarg_segment_ptr 1
		.amdhsa_user_sgpr_dispatch_id 0
		.amdhsa_user_sgpr_kernarg_preload_length 0
		.amdhsa_user_sgpr_kernarg_preload_offset 0
		.amdhsa_user_sgpr_private_segment_size 0
		.amdhsa_uses_dynamic_stack 0
		.amdhsa_enable_private_segment 0
		.amdhsa_system_sgpr_workgroup_id_x 1
		.amdhsa_system_sgpr_workgroup_id_y 1
		.amdhsa_system_sgpr_workgroup_id_z 1
		.amdhsa_system_sgpr_workgroup_info 0
		.amdhsa_system_vgpr_workitem_id 1
		.amdhsa_next_free_vgpr 138
		.amdhsa_next_free_sgpr 52
		.amdhsa_accum_offset 140
		.amdhsa_reserve_vcc 1
		.amdhsa_float_round_mode_32 0
		.amdhsa_float_round_mode_16_64 0
		.amdhsa_float_denorm_mode_32 3
		.amdhsa_float_denorm_mode_16_64 3
		.amdhsa_dx10_clamp 1
		.amdhsa_ieee_mode 1
		.amdhsa_fp16_overflow 0
		.amdhsa_tg_split 0
		.amdhsa_exception_fp_ieee_invalid_op 0
		.amdhsa_exception_fp_denorm_src 0
		.amdhsa_exception_fp_ieee_div_zero 0
		.amdhsa_exception_fp_ieee_overflow 0
		.amdhsa_exception_fp_ieee_underflow 0
		.amdhsa_exception_fp_ieee_inexact 0
		.amdhsa_exception_int_div_zero 0
	.end_amdhsa_kernel
	.section	.text._ZN12_GLOBAL__N_127rocblas_gemm_batched_kernelI19rocblas_complex_numIdELi16ELi16ELi64ELi64ELi4ELi64ELi4ELi4ELi64ELc84ELc78EKS2_S3_S2_EEvlllT_PT11_llS6_llS4_PT12_llPT13_lli,"axG",@progbits,_ZN12_GLOBAL__N_127rocblas_gemm_batched_kernelI19rocblas_complex_numIdELi16ELi16ELi64ELi64ELi4ELi64ELi4ELi4ELi64ELc84ELc78EKS2_S3_S2_EEvlllT_PT11_llS6_llS4_PT12_llPT13_lli,comdat
.Lfunc_end119:
	.size	_ZN12_GLOBAL__N_127rocblas_gemm_batched_kernelI19rocblas_complex_numIdELi16ELi16ELi64ELi64ELi4ELi64ELi4ELi4ELi64ELc84ELc78EKS2_S3_S2_EEvlllT_PT11_llS6_llS4_PT12_llPT13_lli, .Lfunc_end119-_ZN12_GLOBAL__N_127rocblas_gemm_batched_kernelI19rocblas_complex_numIdELi16ELi16ELi64ELi64ELi4ELi64ELi4ELi4ELi64ELc84ELc78EKS2_S3_S2_EEvlllT_PT11_llS6_llS4_PT12_llPT13_lli
                                        ; -- End function
	.set _ZN12_GLOBAL__N_127rocblas_gemm_batched_kernelI19rocblas_complex_numIdELi16ELi16ELi64ELi64ELi4ELi64ELi4ELi4ELi64ELc84ELc78EKS2_S3_S2_EEvlllT_PT11_llS6_llS4_PT12_llPT13_lli.num_vgpr, 138
	.set _ZN12_GLOBAL__N_127rocblas_gemm_batched_kernelI19rocblas_complex_numIdELi16ELi16ELi64ELi64ELi4ELi64ELi4ELi4ELi64ELc84ELc78EKS2_S3_S2_EEvlllT_PT11_llS6_llS4_PT12_llPT13_lli.num_agpr, 0
	.set _ZN12_GLOBAL__N_127rocblas_gemm_batched_kernelI19rocblas_complex_numIdELi16ELi16ELi64ELi64ELi4ELi64ELi4ELi4ELi64ELc84ELc78EKS2_S3_S2_EEvlllT_PT11_llS6_llS4_PT12_llPT13_lli.numbered_sgpr, 52
	.set _ZN12_GLOBAL__N_127rocblas_gemm_batched_kernelI19rocblas_complex_numIdELi16ELi16ELi64ELi64ELi4ELi64ELi4ELi4ELi64ELc84ELc78EKS2_S3_S2_EEvlllT_PT11_llS6_llS4_PT12_llPT13_lli.num_named_barrier, 0
	.set _ZN12_GLOBAL__N_127rocblas_gemm_batched_kernelI19rocblas_complex_numIdELi16ELi16ELi64ELi64ELi4ELi64ELi4ELi4ELi64ELc84ELc78EKS2_S3_S2_EEvlllT_PT11_llS6_llS4_PT12_llPT13_lli.private_seg_size, 0
	.set _ZN12_GLOBAL__N_127rocblas_gemm_batched_kernelI19rocblas_complex_numIdELi16ELi16ELi64ELi64ELi4ELi64ELi4ELi4ELi64ELc84ELc78EKS2_S3_S2_EEvlllT_PT11_llS6_llS4_PT12_llPT13_lli.uses_vcc, 1
	.set _ZN12_GLOBAL__N_127rocblas_gemm_batched_kernelI19rocblas_complex_numIdELi16ELi16ELi64ELi64ELi4ELi64ELi4ELi4ELi64ELc84ELc78EKS2_S3_S2_EEvlllT_PT11_llS6_llS4_PT12_llPT13_lli.uses_flat_scratch, 0
	.set _ZN12_GLOBAL__N_127rocblas_gemm_batched_kernelI19rocblas_complex_numIdELi16ELi16ELi64ELi64ELi4ELi64ELi4ELi4ELi64ELc84ELc78EKS2_S3_S2_EEvlllT_PT11_llS6_llS4_PT12_llPT13_lli.has_dyn_sized_stack, 0
	.set _ZN12_GLOBAL__N_127rocblas_gemm_batched_kernelI19rocblas_complex_numIdELi16ELi16ELi64ELi64ELi4ELi64ELi4ELi4ELi64ELc84ELc78EKS2_S3_S2_EEvlllT_PT11_llS6_llS4_PT12_llPT13_lli.has_recursion, 0
	.set _ZN12_GLOBAL__N_127rocblas_gemm_batched_kernelI19rocblas_complex_numIdELi16ELi16ELi64ELi64ELi4ELi64ELi4ELi4ELi64ELc84ELc78EKS2_S3_S2_EEvlllT_PT11_llS6_llS4_PT12_llPT13_lli.has_indirect_call, 0
	.section	.AMDGPU.csdata,"",@progbits
; Kernel info:
; codeLenInByte = 6464
; TotalNumSgprs: 58
; NumVgprs: 138
; NumAgprs: 0
; TotalNumVgprs: 138
; ScratchSize: 0
; MemoryBound: 0
; FloatMode: 240
; IeeeMode: 1
; LDSByteSize: 8192 bytes/workgroup (compile time only)
; SGPRBlocks: 7
; VGPRBlocks: 17
; NumSGPRsForWavesPerEU: 58
; NumVGPRsForWavesPerEU: 138
; AccumOffset: 140
; Occupancy: 3
; WaveLimiterHint : 1
; COMPUTE_PGM_RSRC2:SCRATCH_EN: 0
; COMPUTE_PGM_RSRC2:USER_SGPR: 2
; COMPUTE_PGM_RSRC2:TRAP_HANDLER: 0
; COMPUTE_PGM_RSRC2:TGID_X_EN: 1
; COMPUTE_PGM_RSRC2:TGID_Y_EN: 1
; COMPUTE_PGM_RSRC2:TGID_Z_EN: 1
; COMPUTE_PGM_RSRC2:TIDIG_COMP_CNT: 1
; COMPUTE_PGM_RSRC3_GFX90A:ACCUM_OFFSET: 34
; COMPUTE_PGM_RSRC3_GFX90A:TG_SPLIT: 0
	.section	.text._ZN12_GLOBAL__N_127rocblas_gemm_batched_kernelI19rocblas_complex_numIdELi16ELi16ELi64ELi64ELi4ELi64ELi4ELi4ELi64ELc78ELc84EKS2_S3_S2_EEvlllT_PT11_llS6_llS4_PT12_llPT13_lli,"axG",@progbits,_ZN12_GLOBAL__N_127rocblas_gemm_batched_kernelI19rocblas_complex_numIdELi16ELi16ELi64ELi64ELi4ELi64ELi4ELi4ELi64ELc78ELc84EKS2_S3_S2_EEvlllT_PT11_llS6_llS4_PT12_llPT13_lli,comdat
	.globl	_ZN12_GLOBAL__N_127rocblas_gemm_batched_kernelI19rocblas_complex_numIdELi16ELi16ELi64ELi64ELi4ELi64ELi4ELi4ELi64ELc78ELc84EKS2_S3_S2_EEvlllT_PT11_llS6_llS4_PT12_llPT13_lli ; -- Begin function _ZN12_GLOBAL__N_127rocblas_gemm_batched_kernelI19rocblas_complex_numIdELi16ELi16ELi64ELi64ELi4ELi64ELi4ELi4ELi64ELc78ELc84EKS2_S3_S2_EEvlllT_PT11_llS6_llS4_PT12_llPT13_lli
	.p2align	8
	.type	_ZN12_GLOBAL__N_127rocblas_gemm_batched_kernelI19rocblas_complex_numIdELi16ELi16ELi64ELi64ELi4ELi64ELi4ELi4ELi64ELc78ELc84EKS2_S3_S2_EEvlllT_PT11_llS6_llS4_PT12_llPT13_lli,@function
_ZN12_GLOBAL__N_127rocblas_gemm_batched_kernelI19rocblas_complex_numIdELi16ELi16ELi64ELi64ELi4ELi64ELi4ELi4ELi64ELc78ELc84EKS2_S3_S2_EEvlllT_PT11_llS6_llS4_PT12_llPT13_lli: ; @_ZN12_GLOBAL__N_127rocblas_gemm_batched_kernelI19rocblas_complex_numIdELi16ELi16ELi64ELi64ELi4ELi64ELi4ELi4ELi64ELc78ELc84EKS2_S3_S2_EEvlllT_PT11_llS6_llS4_PT12_llPT13_lli
; %bb.0:
	s_load_dwordx16 s[36:51], s[0:1], 0x10
	s_load_dwordx16 s[8:23], s[0:1], 0x50
	s_mov_b32 s6, s3
	v_mov_b32_e32 v27, 0
	s_ashr_i32 s3, s2, 31
	s_ashr_i32 s7, s6, 31
	s_waitcnt lgkmcnt(0)
	v_cmp_lt_i64_e64 s[24:25], s[36:37], 1
	v_bfe_u32 v26, v0, 10, 10
	v_and_b32_e32 v24, 0x3ff, v0
	v_mov_b32_e32 v25, v27
	s_lshl_b64 s[2:3], s[2:3], 6
	s_lshl_b64 s[6:7], s[6:7], 6
	s_and_b64 vcc, exec, s[24:25]
	s_cbranch_vccnz .LBB120_3
; %bb.1:
	v_lshl_add_u32 v6, v26, 4, v24
	v_lshrrev_b32_e32 v0, 2, v6
	v_mov_b32_e32 v1, v27
	v_lshl_add_u64 v[2:3], v[0:1], 0, s[6:7]
	v_and_b32_e32 v1, 3, v24
	v_mad_u64_u32 v[2:3], s[24:25], s50, v1, v[2:3]
	v_mov_b32_e32 v4, v3
	v_mad_u64_u32 v[4:5], s[24:25], s51, v1, v[4:5]
	v_lshlrev_b32_e32 v1, 4, v1
	v_lshl_or_b32 v0, v0, 6, v1
	v_add_u32_e32 v111, 0x1000, v0
	v_mov_b32_e32 v0, 0x1000
	v_mov_b32_e32 v3, v4
	v_and_b32_e32 v4, 63, v6
	v_lshrrev_b32_e32 v7, 6, v6
	v_lshl_add_u32 v113, v26, 6, v0
	v_mov_b64_e32 v[0:1], s[2:3]
	v_lshlrev_b32_e32 v6, 4, v4
	s_mul_i32 s5, s47, s4
	s_mul_hi_u32 s24, s46, s4
	v_mad_u64_u32 v[0:1], s[26:27], s44, v7, v[0:1]
	v_lshl_or_b32 v110, v7, 10, v6
	s_add_i32 s25, s24, s5
	s_mul_i32 s24, s46, s4
	v_mov_b32_e32 v6, v1
	s_lshl_b64 s[24:25], s[24:25], 4
	v_mad_u64_u32 v[6:7], s[26:27], s45, v7, v[6:7]
	v_mov_b32_e32 v5, v27
	v_mov_b32_e32 v1, v6
	s_add_u32 s24, s42, s24
	s_mul_i32 s5, s9, s4
	s_mul_hi_u32 s9, s8, s4
	v_lshl_add_u64 v[0:1], v[0:1], 0, v[4:5]
	s_addc_u32 s25, s43, s25
	s_add_i32 s9, s9, s5
	s_mul_i32 s8, s8, s4
	v_lshl_add_u64 v[28:29], v[0:1], 4, s[24:25]
	s_lshl_b64 s[24:25], s[44:45], 6
	s_lshl_b64 s[8:9], s[8:9], 4
	s_add_u32 s8, s48, s8
	s_addc_u32 s9, s49, s9
	v_lshlrev_b32_e32 v112, 4, v24
	v_lshl_add_u64 v[30:31], v[2:3], 4, s[8:9]
	s_lshl_b64 s[8:9], s[50:51], 6
	s_mov_b64 s[26:27], 0
	v_mov_b64_e32 v[10:11], 0
	v_mov_b64_e32 v[32:33], s[36:37]
	;; [unrolled: 1-line block ×33, first 2 shown]
.LBB120_2:                              ; =>This Inner Loop Header: Depth=1
	global_load_dwordx4 v[0:3], v[28:29], off
	s_add_u32 s26, s26, 4
	s_addc_u32 s27, s27, 0
	v_cmp_lt_i64_e32 vcc, s[26:27], v[32:33]
	v_lshl_add_u64 v[28:29], v[28:29], 0, s[24:25]
	s_and_b64 vcc, exec, vcc
	s_waitcnt vmcnt(0)
	ds_write2_b64 v110, v[0:1], v[2:3] offset1:1
	global_load_dwordx4 v[0:3], v[30:31], off
	v_lshl_add_u64 v[30:31], v[30:31], 0, s[8:9]
	s_waitcnt vmcnt(0)
	ds_write2_b64 v111, v[0:1], v[2:3] offset1:1
	s_waitcnt lgkmcnt(0)
	s_barrier
	ds_read_b128 v[82:85], v113
	ds_read_b128 v[114:117], v113 offset:16
	ds_read_b128 v[4:7], v113 offset:32
	;; [unrolled: 1-line block ×3, first 2 shown]
	ds_read_b128 v[118:121], v112
	s_waitcnt lgkmcnt(0)
	v_mul_f64 v[86:87], v[84:85], v[120:121]
	v_mul_f64 v[88:89], v[82:83], v[120:121]
	v_fma_f64 v[86:87], v[82:83], v[118:119], -v[86:87]
	v_fmac_f64_e32 v[88:89], v[84:85], v[118:119]
	v_add_f64 v[122:123], v[54:55], v[86:87]
	v_add_f64 v[124:125], v[88:89], v[56:57]
	ds_read_b128 v[54:57], v112 offset:256
	s_waitcnt lgkmcnt(0)
	v_mul_f64 v[86:87], v[84:85], v[56:57]
	v_mul_f64 v[88:89], v[82:83], v[56:57]
	v_fma_f64 v[86:87], v[82:83], v[54:55], -v[86:87]
	v_fmac_f64_e32 v[88:89], v[84:85], v[54:55]
	v_add_f64 v[126:127], v[38:39], v[86:87]
	v_add_f64 v[128:129], v[88:89], v[40:41]
	ds_read_b128 v[38:41], v112 offset:512
	;; [unrolled: 8-line block ×3, first 2 shown]
	s_waitcnt lgkmcnt(0)
	v_mul_f64 v[86:87], v[84:85], v[36:37]
	v_fma_f64 v[86:87], v[82:83], v[34:35], -v[86:87]
	v_mul_f64 v[82:83], v[82:83], v[36:37]
	v_fmac_f64_e32 v[82:83], v[84:85], v[34:35]
	v_add_f64 v[134:135], v[20:21], v[86:87]
	v_add_f64 v[136:137], v[82:83], v[22:23]
	ds_read_b128 v[20:23], v113 offset:1024
	s_waitcnt lgkmcnt(0)
	v_mul_f64 v[82:83], v[22:23], v[120:121]
	v_fma_f64 v[82:83], v[20:21], v[118:119], -v[82:83]
	v_add_f64 v[74:75], v[74:75], v[82:83]
	v_mul_f64 v[82:83], v[22:23], v[56:57]
	v_mul_f64 v[84:85], v[20:21], v[120:121]
	v_fma_f64 v[82:83], v[20:21], v[54:55], -v[82:83]
	v_fmac_f64_e32 v[84:85], v[22:23], v[118:119]
	v_add_f64 v[98:99], v[66:67], v[82:83]
	v_mul_f64 v[66:67], v[22:23], v[40:41]
	v_add_f64 v[76:77], v[84:85], v[76:77]
	v_mul_f64 v[84:85], v[20:21], v[56:57]
	v_fma_f64 v[66:67], v[20:21], v[38:39], -v[66:67]
	v_fmac_f64_e32 v[84:85], v[22:23], v[54:55]
	v_add_f64 v[102:103], v[58:59], v[66:67]
	v_mul_f64 v[58:59], v[22:23], v[36:37]
	v_add_f64 v[100:101], v[84:85], v[68:69]
	v_mul_f64 v[68:69], v[20:21], v[40:41]
	v_fma_f64 v[58:59], v[20:21], v[34:35], -v[58:59]
	v_mul_f64 v[20:21], v[20:21], v[36:37]
	v_fmac_f64_e32 v[20:21], v[22:23], v[34:35]
	v_fmac_f64_e32 v[68:69], v[22:23], v[38:39]
	v_add_f64 v[108:109], v[20:21], v[50:51]
	ds_read_b128 v[20:23], v113 offset:2048
	v_add_f64 v[106:107], v[46:47], v[58:59]
	v_add_f64 v[104:105], v[68:69], v[62:63]
	s_waitcnt lgkmcnt(0)
	v_mul_f64 v[46:47], v[22:23], v[120:121]
	v_fma_f64 v[46:47], v[20:21], v[118:119], -v[46:47]
	v_add_f64 v[82:83], v[70:71], v[46:47]
	v_mul_f64 v[46:47], v[22:23], v[56:57]
	v_mul_f64 v[50:51], v[20:21], v[120:121]
	v_fma_f64 v[46:47], v[20:21], v[54:55], -v[46:47]
	v_fmac_f64_e32 v[50:51], v[22:23], v[118:119]
	v_add_f64 v[86:87], v[60:61], v[46:47]
	v_mul_f64 v[46:47], v[22:23], v[40:41]
	v_add_f64 v[84:85], v[50:51], v[72:73]
	v_mul_f64 v[50:51], v[20:21], v[56:57]
	v_fma_f64 v[46:47], v[20:21], v[38:39], -v[46:47]
	v_fmac_f64_e32 v[50:51], v[22:23], v[54:55]
	v_add_f64 v[90:91], v[48:49], v[46:47]
	v_mul_f64 v[46:47], v[22:23], v[36:37]
	v_add_f64 v[88:89], v[50:51], v[64:65]
	v_mul_f64 v[50:51], v[20:21], v[40:41]
	v_fma_f64 v[46:47], v[20:21], v[34:35], -v[46:47]
	v_mul_f64 v[20:21], v[20:21], v[36:37]
	v_fmac_f64_e32 v[20:21], v[22:23], v[34:35]
	v_fmac_f64_e32 v[50:51], v[22:23], v[38:39]
	v_add_f64 v[96:97], v[20:21], v[44:45]
	ds_read_b128 v[20:23], v113 offset:3072
	v_add_f64 v[94:95], v[42:43], v[46:47]
	v_add_f64 v[92:93], v[50:51], v[52:53]
	s_waitcnt lgkmcnt(0)
	v_mul_f64 v[42:43], v[22:23], v[120:121]
	v_mul_f64 v[44:45], v[20:21], v[120:121]
	v_fma_f64 v[42:43], v[20:21], v[118:119], -v[42:43]
	v_fmac_f64_e32 v[44:45], v[22:23], v[118:119]
	v_add_f64 v[62:63], v[78:79], v[42:43]
	v_add_f64 v[64:65], v[44:45], v[80:81]
	v_mul_f64 v[42:43], v[22:23], v[56:57]
	v_mul_f64 v[44:45], v[20:21], v[56:57]
	v_fma_f64 v[42:43], v[20:21], v[54:55], -v[42:43]
	v_fmac_f64_e32 v[44:45], v[22:23], v[54:55]
	v_add_f64 v[58:59], v[16:17], v[42:43]
	v_add_f64 v[60:61], v[44:45], v[18:19]
	;; [unrolled: 6-line block ×3, first 2 shown]
	v_mul_f64 v[12:13], v[22:23], v[36:37]
	v_mul_f64 v[14:15], v[20:21], v[36:37]
	v_fma_f64 v[12:13], v[20:21], v[34:35], -v[12:13]
	v_fmac_f64_e32 v[14:15], v[22:23], v[34:35]
	ds_read_b128 v[20:23], v112 offset:1024
	ds_read_b128 v[16:19], v112 offset:1280
	v_add_f64 v[50:51], v[8:9], v[12:13]
	v_add_f64 v[52:53], v[14:15], v[10:11]
	ds_read_b128 v[12:15], v112 offset:1536
	ds_read_b128 v[78:81], v113 offset:1040
	s_waitcnt lgkmcnt(3)
	v_mul_f64 v[8:9], v[116:117], v[22:23]
	v_mul_f64 v[10:11], v[114:115], v[22:23]
	v_fma_f64 v[8:9], v[114:115], v[20:21], -v[8:9]
	v_fmac_f64_e32 v[10:11], v[116:117], v[20:21]
	v_add_f64 v[46:47], v[122:123], v[8:9]
	v_add_f64 v[48:49], v[10:11], v[124:125]
	s_waitcnt lgkmcnt(2)
	v_mul_f64 v[8:9], v[116:117], v[18:19]
	v_mul_f64 v[10:11], v[114:115], v[18:19]
	v_fma_f64 v[8:9], v[114:115], v[16:17], -v[8:9]
	v_fmac_f64_e32 v[10:11], v[116:117], v[16:17]
	v_add_f64 v[42:43], v[126:127], v[8:9]
	v_add_f64 v[44:45], v[10:11], v[128:129]
	;; [unrolled: 7-line block ×3, first 2 shown]
	ds_read_b128 v[8:11], v112 offset:1792
	s_waitcnt lgkmcnt(1)
	v_mul_f64 v[70:71], v[80:81], v[18:19]
	v_mul_f64 v[72:73], v[78:79], v[18:19]
	;; [unrolled: 1-line block ×4, first 2 shown]
	v_fma_f64 v[70:71], v[78:79], v[16:17], -v[70:71]
	v_fmac_f64_e32 v[72:73], v[80:81], v[16:17]
	v_fma_f64 v[66:67], v[78:79], v[20:21], -v[66:67]
	v_fmac_f64_e32 v[68:69], v[80:81], v[20:21]
	v_add_f64 v[70:71], v[98:99], v[70:71]
	v_add_f64 v[72:73], v[72:73], v[100:101]
	s_waitcnt lgkmcnt(0)
	v_mul_f64 v[98:99], v[80:81], v[10:11]
	v_mul_f64 v[100:101], v[78:79], v[10:11]
	v_add_f64 v[66:67], v[74:75], v[66:67]
	v_add_f64 v[68:69], v[68:69], v[76:77]
	v_mul_f64 v[74:75], v[80:81], v[14:15]
	v_mul_f64 v[76:77], v[78:79], v[14:15]
	v_fma_f64 v[98:99], v[78:79], v[8:9], -v[98:99]
	v_fmac_f64_e32 v[100:101], v[80:81], v[8:9]
	v_fma_f64 v[74:75], v[78:79], v[12:13], -v[74:75]
	v_fmac_f64_e32 v[76:77], v[80:81], v[12:13]
	v_add_f64 v[78:79], v[106:107], v[98:99]
	v_add_f64 v[80:81], v[100:101], v[108:109]
	ds_read_b128 v[98:101], v113 offset:2064
	v_add_f64 v[74:75], v[102:103], v[74:75]
	v_add_f64 v[76:77], v[76:77], v[104:105]
	v_mul_f64 v[34:35], v[116:117], v[10:11]
	v_mul_f64 v[36:37], v[114:115], v[10:11]
	s_waitcnt lgkmcnt(0)
	v_mul_f64 v[102:103], v[100:101], v[22:23]
	v_mul_f64 v[104:105], v[98:99], v[22:23]
	v_fma_f64 v[102:103], v[98:99], v[20:21], -v[102:103]
	v_fmac_f64_e32 v[104:105], v[100:101], v[20:21]
	v_add_f64 v[82:83], v[82:83], v[102:103]
	v_add_f64 v[84:85], v[104:105], v[84:85]
	v_mul_f64 v[102:103], v[100:101], v[18:19]
	v_mul_f64 v[104:105], v[98:99], v[18:19]
	v_fma_f64 v[102:103], v[98:99], v[16:17], -v[102:103]
	v_fmac_f64_e32 v[104:105], v[100:101], v[16:17]
	v_add_f64 v[86:87], v[86:87], v[102:103]
	v_add_f64 v[88:89], v[104:105], v[88:89]
	;; [unrolled: 6-line block ×4, first 2 shown]
	ds_read_b128 v[94:97], v113 offset:3088
	v_fma_f64 v[34:35], v[114:115], v[8:9], -v[34:35]
	v_fmac_f64_e32 v[36:37], v[116:117], v[8:9]
	v_add_f64 v[36:37], v[36:37], v[136:137]
	v_add_f64 v[34:35], v[134:135], v[34:35]
	s_waitcnt lgkmcnt(0)
	v_mul_f64 v[102:103], v[96:97], v[22:23]
	v_mul_f64 v[22:23], v[94:95], v[22:23]
	v_fma_f64 v[102:103], v[94:95], v[20:21], -v[102:103]
	v_fmac_f64_e32 v[22:23], v[96:97], v[20:21]
	v_mul_f64 v[20:21], v[96:97], v[18:19]
	v_mul_f64 v[18:19], v[94:95], v[18:19]
	v_fma_f64 v[20:21], v[94:95], v[16:17], -v[20:21]
	v_fmac_f64_e32 v[18:19], v[96:97], v[16:17]
	;; [unrolled: 4-line block ×3, first 2 shown]
	v_mul_f64 v[12:13], v[96:97], v[10:11]
	v_mul_f64 v[10:11], v[94:95], v[10:11]
	v_fmac_f64_e32 v[10:11], v[96:97], v[8:9]
	v_fma_f64 v[12:13], v[94:95], v[8:9], -v[12:13]
	v_add_f64 v[116:117], v[10:11], v[52:53]
	ds_read_b128 v[8:11], v112 offset:2048
	v_add_f64 v[56:57], v[14:15], v[56:57]
	v_add_f64 v[114:115], v[50:51], v[12:13]
	;; [unrolled: 1-line block ×4, first 2 shown]
	s_waitcnt lgkmcnt(0)
	v_mul_f64 v[12:13], v[6:7], v[10:11]
	v_mul_f64 v[14:15], v[4:5], v[10:11]
	v_fma_f64 v[12:13], v[4:5], v[8:9], -v[12:13]
	v_fmac_f64_e32 v[14:15], v[6:7], v[8:9]
	v_add_f64 v[118:119], v[46:47], v[12:13]
	v_add_f64 v[120:121], v[14:15], v[48:49]
	ds_read_b128 v[12:15], v112 offset:2304
	v_add_f64 v[104:105], v[22:23], v[64:65]
	v_add_f64 v[106:107], v[58:59], v[20:21]
	;; [unrolled: 1-line block ×3, first 2 shown]
	s_waitcnt lgkmcnt(0)
	v_mul_f64 v[16:17], v[6:7], v[14:15]
	v_mul_f64 v[18:19], v[4:5], v[14:15]
	v_fma_f64 v[16:17], v[4:5], v[12:13], -v[16:17]
	v_fmac_f64_e32 v[18:19], v[6:7], v[12:13]
	v_add_f64 v[122:123], v[42:43], v[16:17]
	v_add_f64 v[124:125], v[18:19], v[44:45]
	ds_read_b128 v[16:19], v112 offset:2560
	s_waitcnt lgkmcnt(0)
	v_mul_f64 v[20:21], v[6:7], v[18:19]
	v_mul_f64 v[22:23], v[4:5], v[18:19]
	v_fma_f64 v[20:21], v[4:5], v[16:17], -v[20:21]
	v_fmac_f64_e32 v[22:23], v[6:7], v[16:17]
	v_add_f64 v[126:127], v[38:39], v[20:21]
	v_add_f64 v[128:129], v[22:23], v[40:41]
	ds_read_b128 v[20:23], v112 offset:2816
	s_waitcnt lgkmcnt(0)
	v_mul_f64 v[38:39], v[6:7], v[22:23]
	v_fma_f64 v[38:39], v[4:5], v[20:21], -v[38:39]
	v_mul_f64 v[4:5], v[4:5], v[22:23]
	v_fmac_f64_e32 v[4:5], v[6:7], v[20:21]
	v_add_f64 v[132:133], v[4:5], v[36:37]
	ds_read_b128 v[4:7], v113 offset:1056
	v_add_f64 v[130:131], v[34:35], v[38:39]
	s_waitcnt lgkmcnt(0)
	v_mul_f64 v[34:35], v[6:7], v[10:11]
	v_fma_f64 v[34:35], v[4:5], v[8:9], -v[34:35]
	v_add_f64 v[46:47], v[66:67], v[34:35]
	v_mul_f64 v[34:35], v[6:7], v[14:15]
	v_mul_f64 v[36:37], v[4:5], v[10:11]
	v_fma_f64 v[34:35], v[4:5], v[12:13], -v[34:35]
	v_fmac_f64_e32 v[36:37], v[6:7], v[8:9]
	v_add_f64 v[58:59], v[70:71], v[34:35]
	v_mul_f64 v[34:35], v[6:7], v[18:19]
	v_add_f64 v[50:51], v[36:37], v[68:69]
	v_mul_f64 v[36:37], v[4:5], v[14:15]
	v_fma_f64 v[34:35], v[4:5], v[16:17], -v[34:35]
	v_fmac_f64_e32 v[36:37], v[6:7], v[12:13]
	v_add_f64 v[62:63], v[74:75], v[34:35]
	v_mul_f64 v[34:35], v[6:7], v[22:23]
	v_add_f64 v[60:61], v[36:37], v[72:73]
	v_mul_f64 v[36:37], v[4:5], v[18:19]
	v_fma_f64 v[34:35], v[4:5], v[20:21], -v[34:35]
	v_mul_f64 v[4:5], v[4:5], v[22:23]
	v_fmac_f64_e32 v[4:5], v[6:7], v[20:21]
	v_fmac_f64_e32 v[36:37], v[6:7], v[16:17]
	v_add_f64 v[72:73], v[4:5], v[80:81]
	ds_read_b128 v[4:7], v113 offset:2080
	v_add_f64 v[70:71], v[78:79], v[34:35]
	v_add_f64 v[64:65], v[36:37], v[76:77]
	s_waitcnt lgkmcnt(0)
	v_mul_f64 v[34:35], v[6:7], v[10:11]
	v_fma_f64 v[34:35], v[4:5], v[8:9], -v[34:35]
	v_add_f64 v[42:43], v[82:83], v[34:35]
	v_mul_f64 v[34:35], v[6:7], v[14:15]
	v_mul_f64 v[36:37], v[4:5], v[10:11]
	v_fma_f64 v[34:35], v[4:5], v[12:13], -v[34:35]
	v_fmac_f64_e32 v[36:37], v[6:7], v[8:9]
	v_add_f64 v[48:49], v[86:87], v[34:35]
	v_mul_f64 v[34:35], v[6:7], v[18:19]
	v_add_f64 v[44:45], v[36:37], v[84:85]
	v_mul_f64 v[36:37], v[4:5], v[14:15]
	v_fma_f64 v[34:35], v[4:5], v[16:17], -v[34:35]
	v_fmac_f64_e32 v[36:37], v[6:7], v[12:13]
	v_add_f64 v[94:95], v[90:91], v[34:35]
	v_mul_f64 v[34:35], v[6:7], v[22:23]
	v_add_f64 v[52:53], v[36:37], v[88:89]
	v_mul_f64 v[36:37], v[4:5], v[18:19]
	v_fma_f64 v[34:35], v[4:5], v[20:21], -v[34:35]
	v_mul_f64 v[4:5], v[4:5], v[22:23]
	v_fmac_f64_e32 v[4:5], v[6:7], v[20:21]
	v_fmac_f64_e32 v[36:37], v[6:7], v[16:17]
	v_add_f64 v[100:101], v[4:5], v[100:101]
	ds_read_b128 v[4:7], v113 offset:3104
	v_add_f64 v[98:99], v[98:99], v[34:35]
	v_add_f64 v[96:97], v[36:37], v[92:93]
	s_waitcnt lgkmcnt(0)
	v_mul_f64 v[34:35], v[6:7], v[10:11]
	v_mul_f64 v[10:11], v[4:5], v[10:11]
	v_fmac_f64_e32 v[10:11], v[6:7], v[8:9]
	v_fma_f64 v[34:35], v[4:5], v[8:9], -v[34:35]
	v_add_f64 v[80:81], v[10:11], v[104:105]
	v_mul_f64 v[8:9], v[6:7], v[14:15]
	v_mul_f64 v[10:11], v[4:5], v[14:15]
	v_fma_f64 v[8:9], v[4:5], v[12:13], -v[8:9]
	v_fmac_f64_e32 v[10:11], v[6:7], v[12:13]
	v_add_f64 v[90:91], v[106:107], v[8:9]
	v_add_f64 v[92:93], v[10:11], v[108:109]
	v_mul_f64 v[8:9], v[6:7], v[18:19]
	v_mul_f64 v[10:11], v[4:5], v[18:19]
	v_fma_f64 v[8:9], v[4:5], v[16:17], -v[8:9]
	v_fmac_f64_e32 v[10:11], v[6:7], v[16:17]
	ds_read_b128 v[16:19], v112 offset:3072
	ds_read_b128 v[12:15], v112 offset:3328
	v_add_f64 v[86:87], v[54:55], v[8:9]
	v_mul_f64 v[8:9], v[6:7], v[22:23]
	v_fma_f64 v[8:9], v[4:5], v[20:21], -v[8:9]
	v_mul_f64 v[4:5], v[4:5], v[22:23]
	v_add_f64 v[88:89], v[10:11], v[56:57]
	v_fmac_f64_e32 v[4:5], v[6:7], v[20:21]
	v_add_f64 v[82:83], v[114:115], v[8:9]
	ds_read_b128 v[8:11], v112 offset:3584
	v_add_f64 v[84:85], v[4:5], v[116:117]
	s_waitcnt lgkmcnt(2)
	v_mul_f64 v[4:5], v[2:3], v[18:19]
	v_mul_f64 v[6:7], v[0:1], v[18:19]
	v_fma_f64 v[4:5], v[0:1], v[16:17], -v[4:5]
	v_fmac_f64_e32 v[6:7], v[2:3], v[16:17]
	v_add_f64 v[54:55], v[118:119], v[4:5]
	v_add_f64 v[56:57], v[6:7], v[120:121]
	s_waitcnt lgkmcnt(1)
	v_mul_f64 v[4:5], v[2:3], v[14:15]
	v_mul_f64 v[6:7], v[0:1], v[14:15]
	v_fma_f64 v[4:5], v[0:1], v[12:13], -v[4:5]
	v_fmac_f64_e32 v[6:7], v[2:3], v[12:13]
	v_add_f64 v[38:39], v[122:123], v[4:5]
	;; [unrolled: 7-line block ×3, first 2 shown]
	v_add_f64 v[34:35], v[126:127], v[4:5]
	v_add_f64 v[36:37], v[6:7], v[128:129]
	ds_read_b128 v[4:7], v112 offset:3840
	s_waitcnt lgkmcnt(0)
	v_mul_f64 v[20:21], v[2:3], v[6:7]
	v_fma_f64 v[20:21], v[0:1], v[4:5], -v[20:21]
	v_mul_f64 v[0:1], v[0:1], v[6:7]
	v_fmac_f64_e32 v[0:1], v[2:3], v[4:5]
	v_add_f64 v[22:23], v[0:1], v[132:133]
	ds_read_b128 v[0:3], v113 offset:1072
	v_add_f64 v[20:21], v[130:131], v[20:21]
	s_waitcnt lgkmcnt(0)
	v_mul_f64 v[66:67], v[2:3], v[18:19]
	v_fma_f64 v[66:67], v[0:1], v[16:17], -v[66:67]
	v_add_f64 v[74:75], v[46:47], v[66:67]
	v_mul_f64 v[46:47], v[2:3], v[14:15]
	v_mul_f64 v[68:69], v[0:1], v[18:19]
	v_fma_f64 v[46:47], v[0:1], v[12:13], -v[46:47]
	v_fmac_f64_e32 v[68:69], v[2:3], v[16:17]
	v_add_f64 v[66:67], v[58:59], v[46:47]
	v_mul_f64 v[46:47], v[2:3], v[10:11]
	v_add_f64 v[76:77], v[68:69], v[50:51]
	v_mul_f64 v[50:51], v[0:1], v[14:15]
	v_fma_f64 v[46:47], v[0:1], v[8:9], -v[46:47]
	v_fmac_f64_e32 v[50:51], v[2:3], v[12:13]
	v_add_f64 v[58:59], v[62:63], v[46:47]
	v_mul_f64 v[46:47], v[2:3], v[6:7]
	v_add_f64 v[68:69], v[50:51], v[60:61]
	v_mul_f64 v[50:51], v[0:1], v[10:11]
	v_fma_f64 v[46:47], v[0:1], v[4:5], -v[46:47]
	v_mul_f64 v[0:1], v[0:1], v[6:7]
	v_fmac_f64_e32 v[50:51], v[2:3], v[8:9]
	v_fmac_f64_e32 v[0:1], v[2:3], v[4:5]
	v_add_f64 v[62:63], v[50:51], v[64:65]
	v_add_f64 v[50:51], v[0:1], v[72:73]
	ds_read_b128 v[0:3], v113 offset:2096
	v_add_f64 v[46:47], v[70:71], v[46:47]
	s_waitcnt lgkmcnt(0)
	v_mul_f64 v[60:61], v[2:3], v[18:19]
	v_fma_f64 v[60:61], v[0:1], v[16:17], -v[60:61]
	v_add_f64 v[70:71], v[42:43], v[60:61]
	v_mul_f64 v[42:43], v[2:3], v[14:15]
	v_mul_f64 v[64:65], v[0:1], v[18:19]
	v_fma_f64 v[42:43], v[0:1], v[12:13], -v[42:43]
	v_fmac_f64_e32 v[64:65], v[2:3], v[16:17]
	v_add_f64 v[60:61], v[48:49], v[42:43]
	v_mul_f64 v[42:43], v[2:3], v[10:11]
	v_add_f64 v[72:73], v[64:65], v[44:45]
	v_mul_f64 v[44:45], v[0:1], v[14:15]
	v_fma_f64 v[42:43], v[0:1], v[8:9], -v[42:43]
	v_fmac_f64_e32 v[44:45], v[2:3], v[12:13]
	v_add_f64 v[48:49], v[94:95], v[42:43]
	v_mul_f64 v[42:43], v[2:3], v[6:7]
	v_add_f64 v[64:65], v[44:45], v[52:53]
	v_mul_f64 v[44:45], v[0:1], v[10:11]
	v_fma_f64 v[42:43], v[0:1], v[4:5], -v[42:43]
	v_mul_f64 v[0:1], v[0:1], v[6:7]
	v_fmac_f64_e32 v[44:45], v[2:3], v[8:9]
	v_fmac_f64_e32 v[0:1], v[2:3], v[4:5]
	v_add_f64 v[52:53], v[44:45], v[96:97]
	v_add_f64 v[44:45], v[0:1], v[100:101]
	ds_read_b128 v[0:3], v113 offset:3120
	v_add_f64 v[42:43], v[98:99], v[42:43]
	s_waitcnt lgkmcnt(0)
	s_barrier
	v_mul_f64 v[94:95], v[2:3], v[18:19]
	v_mul_f64 v[18:19], v[0:1], v[18:19]
	v_fma_f64 v[94:95], v[0:1], v[16:17], -v[94:95]
	v_fmac_f64_e32 v[18:19], v[2:3], v[16:17]
	v_mul_f64 v[16:17], v[2:3], v[14:15]
	v_mul_f64 v[14:15], v[0:1], v[14:15]
	v_fma_f64 v[16:17], v[0:1], v[12:13], -v[16:17]
	v_fmac_f64_e32 v[14:15], v[2:3], v[12:13]
	;; [unrolled: 4-line block ×3, first 2 shown]
	v_mul_f64 v[8:9], v[2:3], v[6:7]
	v_fma_f64 v[8:9], v[0:1], v[4:5], -v[8:9]
	v_mul_f64 v[0:1], v[0:1], v[6:7]
	v_fmac_f64_e32 v[0:1], v[2:3], v[4:5]
	v_add_f64 v[78:79], v[78:79], v[94:95]
	v_add_f64 v[80:81], v[18:19], v[80:81]
	;; [unrolled: 1-line block ×8, first 2 shown]
	s_cbranch_vccnz .LBB120_2
	s_branch .LBB120_4
.LBB120_3:
	v_mov_b64_e32 v[54:55], 0
	v_mov_b64_e32 v[56:57], 0
	;; [unrolled: 1-line block ×32, first 2 shown]
.LBB120_4:
	s_load_dwordx2 s[0:1], s[0:1], 0x90
	v_cmp_neq_f64_e64 s[8:9], s[10:11], 0
	v_lshl_add_u64 v[2:3], s[6:7], 0, v[26:27]
	s_mov_b64 s[6:7], 0
	v_lshl_add_u64 v[0:1], s[2:3], 0, v[24:25]
	s_waitcnt lgkmcnt(0)
	s_mul_i32 s1, s1, s4
	s_mul_hi_u32 s5, s0, s4
	s_mul_i32 s0, s0, s4
	s_add_i32 s1, s5, s1
	s_lshl_b64 s[0:1], s[0:1], 4
	s_add_u32 s0, s20, s0
	s_addc_u32 s1, s21, s1
	v_cmp_neq_f64_e64 s[20:21], s[12:13], 0
	s_or_b64 s[8:9], s[8:9], s[20:21]
	s_and_b64 vcc, exec, s[8:9]
	s_cbranch_vccnz .LBB120_6
; %bb.5:
	v_mul_lo_u32 v6, v3, s22
	v_mul_lo_u32 v7, v2, s23
	v_mad_u64_u32 v[4:5], s[2:3], v2, s22, 0
	v_add3_u32 v5, v5, v7, v6
	v_lshl_add_u64 v[24:25], v[4:5], 4, s[0:1]
	v_mul_f64 v[4:5], s[40:41], v[56:57]
	v_mul_f64 v[6:7], s[38:39], v[56:57]
	v_lshlrev_b64 v[26:27], 4, v[0:1]
	v_fma_f64 v[4:5], s[38:39], v[54:55], -v[4:5]
	v_fmac_f64_e32 v[6:7], s[40:41], v[54:55]
	v_lshl_add_u64 v[28:29], v[24:25], 0, v[26:27]
	global_store_dwordx4 v[28:29], v[4:7], off
	s_lshl_b64 s[2:3], s[22:23], 8
	v_lshl_add_u64 v[24:25], v[24:25], 0, s[2:3]
	v_mul_f64 v[4:5], s[40:41], v[40:41]
	v_mul_f64 v[6:7], s[38:39], v[40:41]
	v_fma_f64 v[4:5], s[38:39], v[38:39], -v[4:5]
	v_fmac_f64_e32 v[6:7], s[40:41], v[38:39]
	global_store_dwordx4 v[28:29], v[4:7], off offset:256
	s_nop 1
	v_mul_f64 v[4:5], s[40:41], v[36:37]
	v_mul_f64 v[6:7], s[38:39], v[36:37]
	v_fma_f64 v[4:5], s[38:39], v[34:35], -v[4:5]
	v_fmac_f64_e32 v[6:7], s[40:41], v[34:35]
	global_store_dwordx4 v[28:29], v[4:7], off offset:512
	s_nop 1
	v_mul_f64 v[4:5], s[40:41], v[22:23]
	v_mul_f64 v[6:7], s[38:39], v[22:23]
	v_fma_f64 v[4:5], s[38:39], v[20:21], -v[4:5]
	v_fmac_f64_e32 v[6:7], s[40:41], v[20:21]
	global_store_dwordx4 v[28:29], v[4:7], off offset:768
	v_lshl_add_u64 v[28:29], v[24:25], 0, v[26:27]
	v_lshl_add_u64 v[24:25], v[24:25], 0, s[2:3]
	v_mul_f64 v[4:5], s[40:41], v[76:77]
	v_mul_f64 v[6:7], s[38:39], v[76:77]
	v_fma_f64 v[4:5], s[38:39], v[74:75], -v[4:5]
	v_fmac_f64_e32 v[6:7], s[40:41], v[74:75]
	global_store_dwordx4 v[28:29], v[4:7], off
	s_nop 1
	v_mul_f64 v[4:5], s[40:41], v[68:69]
	v_mul_f64 v[6:7], s[38:39], v[68:69]
	v_fma_f64 v[4:5], s[38:39], v[66:67], -v[4:5]
	v_fmac_f64_e32 v[6:7], s[40:41], v[66:67]
	global_store_dwordx4 v[28:29], v[4:7], off offset:256
	s_nop 1
	v_mul_f64 v[4:5], s[40:41], v[62:63]
	v_mul_f64 v[6:7], s[38:39], v[62:63]
	v_fma_f64 v[4:5], s[38:39], v[58:59], -v[4:5]
	v_fmac_f64_e32 v[6:7], s[40:41], v[58:59]
	global_store_dwordx4 v[28:29], v[4:7], off offset:512
	;; [unrolled: 6-line block ×3, first 2 shown]
	v_lshl_add_u64 v[28:29], v[24:25], 0, v[26:27]
	v_lshl_add_u64 v[24:25], v[24:25], 0, s[2:3]
	v_mul_f64 v[4:5], s[40:41], v[72:73]
	v_mul_f64 v[6:7], s[38:39], v[72:73]
	v_fma_f64 v[4:5], s[38:39], v[70:71], -v[4:5]
	v_fmac_f64_e32 v[6:7], s[40:41], v[70:71]
	global_store_dwordx4 v[28:29], v[4:7], off
	v_lshl_add_u64 v[24:25], v[24:25], 0, v[26:27]
	s_mov_b64 s[2:3], 0x300
	v_mul_f64 v[4:5], s[40:41], v[64:65]
	v_mul_f64 v[6:7], s[38:39], v[64:65]
	v_fma_f64 v[4:5], s[38:39], v[60:61], -v[4:5]
	v_fmac_f64_e32 v[6:7], s[40:41], v[60:61]
	global_store_dwordx4 v[28:29], v[4:7], off offset:256
	s_nop 1
	v_mul_f64 v[4:5], s[40:41], v[52:53]
	v_mul_f64 v[6:7], s[38:39], v[52:53]
	v_fma_f64 v[4:5], s[38:39], v[48:49], -v[4:5]
	v_fmac_f64_e32 v[6:7], s[40:41], v[48:49]
	global_store_dwordx4 v[28:29], v[4:7], off offset:512
	s_nop 1
	;; [unrolled: 6-line block ×3, first 2 shown]
	v_mul_f64 v[4:5], s[40:41], v[80:81]
	v_mul_f64 v[6:7], s[38:39], v[80:81]
	v_fma_f64 v[4:5], s[38:39], v[78:79], -v[4:5]
	v_fmac_f64_e32 v[6:7], s[40:41], v[78:79]
	global_store_dwordx4 v[24:25], v[4:7], off
	s_nop 1
	v_mul_f64 v[4:5], s[40:41], v[18:19]
	v_mul_f64 v[6:7], s[38:39], v[18:19]
	v_fma_f64 v[4:5], s[38:39], v[16:17], -v[4:5]
	v_fmac_f64_e32 v[6:7], s[40:41], v[16:17]
	global_store_dwordx4 v[24:25], v[4:7], off offset:256
	s_nop 1
	v_mul_f64 v[4:5], s[40:41], v[14:15]
	v_mul_f64 v[6:7], s[38:39], v[14:15]
	v_fma_f64 v[4:5], s[38:39], v[12:13], -v[4:5]
	v_fmac_f64_e32 v[6:7], s[40:41], v[12:13]
	global_store_dwordx4 v[24:25], v[4:7], off offset:512
	s_nop 1
	v_mul_f64 v[4:5], s[40:41], v[10:11]
	v_fma_f64 v[26:27], s[38:39], v[8:9], -v[4:5]
	v_mul_f64 v[4:5], s[38:39], v[10:11]
	v_fmac_f64_e32 v[4:5], s[40:41], v[8:9]
	v_lshl_add_u64 v[6:7], v[24:25], 0, s[2:3]
	global_store_dwordx2 v[24:25], v[26:27], off offset:768
	s_andn2_b64 vcc, exec, s[6:7]
	s_cbranch_vccz .LBB120_7
	s_branch .LBB120_8
.LBB120_6:
                                        ; implicit-def: $vgpr4_vgpr5
                                        ; implicit-def: $vgpr6_vgpr7
.LBB120_7:
	s_mul_i32 s2, s19, s4
	s_mul_hi_u32 s3, s18, s4
	s_add_i32 s3, s3, s2
	s_mul_i32 s2, s18, s4
	s_lshl_b64 s[2:3], s[2:3], 4
	s_add_u32 s2, s14, s2
	v_mul_lo_u32 v6, v3, s16
	v_mul_lo_u32 v7, v2, s17
	v_mad_u64_u32 v[4:5], s[4:5], v2, s16, 0
	s_addc_u32 s3, s15, s3
	v_add3_u32 v5, v5, v7, v6
	v_lshl_add_u64 v[24:25], v[4:5], 4, s[2:3]
	v_lshlrev_b64 v[0:1], 4, v[0:1]
	v_lshl_add_u64 v[26:27], v[24:25], 0, v[0:1]
	global_load_dwordx4 v[4:7], v[26:27], off
	v_mul_lo_u32 v32, v3, s22
	v_mul_lo_u32 v33, v2, s23
	v_mad_u64_u32 v[2:3], s[2:3], v2, s22, 0
	v_add3_u32 v3, v3, v33, v32
	v_mul_f64 v[28:29], s[40:41], v[56:57]
	v_mul_f64 v[30:31], s[38:39], v[56:57]
	v_lshl_add_u64 v[32:33], v[2:3], 4, s[0:1]
	v_fma_f64 v[28:29], s[38:39], v[54:55], -v[28:29]
	v_fmac_f64_e32 v[30:31], s[40:41], v[54:55]
	v_lshl_add_u64 v[54:55], v[32:33], 0, v[0:1]
	s_lshl_b64 s[0:1], s[16:17], 8
	s_lshl_b64 s[2:3], s[22:23], 8
	s_waitcnt vmcnt(0)
	v_mul_f64 v[2:3], s[12:13], v[6:7]
	v_mul_f64 v[6:7], s[10:11], v[6:7]
	v_fma_f64 v[2:3], s[10:11], v[4:5], -v[2:3]
	v_fmac_f64_e32 v[6:7], s[12:13], v[4:5]
	v_add_f64 v[2:3], v[28:29], v[2:3]
	v_add_f64 v[4:5], v[30:31], v[6:7]
	global_store_dwordx4 v[54:55], v[2:5], off
	global_load_dwordx4 v[2:5], v[26:27], off offset:256
	v_mul_f64 v[6:7], s[40:41], v[40:41]
	v_mul_f64 v[28:29], s[38:39], v[40:41]
	v_fma_f64 v[6:7], s[38:39], v[38:39], -v[6:7]
	v_fmac_f64_e32 v[28:29], s[40:41], v[38:39]
	s_waitcnt vmcnt(0)
	v_mul_f64 v[30:31], s[12:13], v[4:5]
	v_mul_f64 v[4:5], s[10:11], v[4:5]
	v_fma_f64 v[30:31], s[10:11], v[2:3], -v[30:31]
	v_fmac_f64_e32 v[4:5], s[12:13], v[2:3]
	v_add_f64 v[2:3], v[6:7], v[30:31]
	v_add_f64 v[4:5], v[28:29], v[4:5]
	global_store_dwordx4 v[54:55], v[2:5], off offset:256
	global_load_dwordx4 v[2:5], v[26:27], off offset:512
	v_mul_f64 v[6:7], s[40:41], v[36:37]
	v_mul_f64 v[28:29], s[38:39], v[36:37]
	v_fma_f64 v[6:7], s[38:39], v[34:35], -v[6:7]
	v_fmac_f64_e32 v[28:29], s[40:41], v[34:35]
	s_waitcnt vmcnt(0)
	v_mul_f64 v[30:31], s[12:13], v[4:5]
	v_mul_f64 v[4:5], s[10:11], v[4:5]
	v_fma_f64 v[30:31], s[10:11], v[2:3], -v[30:31]
	v_fmac_f64_e32 v[4:5], s[12:13], v[2:3]
	v_add_f64 v[2:3], v[6:7], v[30:31]
	v_add_f64 v[4:5], v[28:29], v[4:5]
	global_store_dwordx4 v[54:55], v[2:5], off offset:512
	global_load_dwordx4 v[2:5], v[26:27], off offset:768
	v_mul_f64 v[6:7], s[40:41], v[22:23]
	v_mul_f64 v[22:23], s[38:39], v[22:23]
	v_fma_f64 v[6:7], s[38:39], v[20:21], -v[6:7]
	v_fmac_f64_e32 v[22:23], s[40:41], v[20:21]
	v_lshl_add_u64 v[20:21], v[24:25], 0, s[0:1]
	v_lshl_add_u64 v[24:25], v[20:21], 0, v[0:1]
	;; [unrolled: 1-line block ×3, first 2 shown]
	s_waitcnt vmcnt(0)
	v_mul_f64 v[26:27], s[12:13], v[4:5]
	v_mul_f64 v[4:5], s[10:11], v[4:5]
	v_fma_f64 v[26:27], s[10:11], v[2:3], -v[26:27]
	v_fmac_f64_e32 v[4:5], s[12:13], v[2:3]
	v_add_f64 v[2:3], v[6:7], v[26:27]
	v_add_f64 v[4:5], v[22:23], v[4:5]
	global_store_dwordx4 v[54:55], v[2:5], off offset:768
	global_load_dwordx4 v[2:5], v[24:25], off
	v_mul_f64 v[6:7], s[40:41], v[76:77]
	v_mul_f64 v[22:23], s[38:39], v[76:77]
	v_fma_f64 v[6:7], s[38:39], v[74:75], -v[6:7]
	v_fmac_f64_e32 v[22:23], s[40:41], v[74:75]
	v_lshl_add_u64 v[26:27], v[32:33], 0, s[2:3]
	v_lshl_add_u64 v[28:29], v[26:27], 0, v[0:1]
	;; [unrolled: 1-line block ×3, first 2 shown]
	s_waitcnt vmcnt(0)
	v_mul_f64 v[30:31], s[12:13], v[4:5]
	v_mul_f64 v[4:5], s[10:11], v[4:5]
	v_fma_f64 v[30:31], s[10:11], v[2:3], -v[30:31]
	v_fmac_f64_e32 v[4:5], s[12:13], v[2:3]
	v_add_f64 v[2:3], v[6:7], v[30:31]
	v_add_f64 v[4:5], v[22:23], v[4:5]
	global_store_dwordx4 v[28:29], v[2:5], off
	global_load_dwordx4 v[2:5], v[24:25], off offset:256
	v_mul_f64 v[6:7], s[40:41], v[68:69]
	v_mul_f64 v[22:23], s[38:39], v[68:69]
	v_fma_f64 v[6:7], s[38:39], v[66:67], -v[6:7]
	v_fmac_f64_e32 v[22:23], s[40:41], v[66:67]
	s_waitcnt vmcnt(0)
	v_mul_f64 v[30:31], s[12:13], v[4:5]
	v_mul_f64 v[4:5], s[10:11], v[4:5]
	v_fma_f64 v[30:31], s[10:11], v[2:3], -v[30:31]
	v_fmac_f64_e32 v[4:5], s[12:13], v[2:3]
	v_add_f64 v[2:3], v[6:7], v[30:31]
	v_add_f64 v[4:5], v[22:23], v[4:5]
	global_store_dwordx4 v[28:29], v[2:5], off offset:256
	global_load_dwordx4 v[2:5], v[24:25], off offset:512
	v_mul_f64 v[6:7], s[40:41], v[62:63]
	v_mul_f64 v[22:23], s[38:39], v[62:63]
	v_fma_f64 v[6:7], s[38:39], v[58:59], -v[6:7]
	v_fmac_f64_e32 v[22:23], s[40:41], v[58:59]
	s_waitcnt vmcnt(0)
	v_mul_f64 v[30:31], s[12:13], v[4:5]
	v_mul_f64 v[4:5], s[10:11], v[4:5]
	v_fma_f64 v[30:31], s[10:11], v[2:3], -v[30:31]
	v_fmac_f64_e32 v[4:5], s[12:13], v[2:3]
	v_add_f64 v[2:3], v[6:7], v[30:31]
	v_add_f64 v[4:5], v[22:23], v[4:5]
	global_store_dwordx4 v[28:29], v[2:5], off offset:512
	global_load_dwordx4 v[2:5], v[24:25], off offset:768
	v_mul_f64 v[6:7], s[40:41], v[50:51]
	v_mul_f64 v[22:23], s[38:39], v[50:51]
	v_fma_f64 v[6:7], s[38:39], v[46:47], -v[6:7]
	v_fmac_f64_e32 v[22:23], s[40:41], v[46:47]
	v_lshl_add_u64 v[24:25], v[20:21], 0, v[0:1]
	v_lshl_add_u64 v[20:21], v[20:21], 0, s[0:1]
	;; [unrolled: 1-line block ×3, first 2 shown]
	s_mov_b64 s[0:1], 0x300
	s_waitcnt vmcnt(0)
	v_mul_f64 v[30:31], s[12:13], v[4:5]
	v_mul_f64 v[4:5], s[10:11], v[4:5]
	v_fma_f64 v[30:31], s[10:11], v[2:3], -v[30:31]
	v_fmac_f64_e32 v[4:5], s[12:13], v[2:3]
	v_add_f64 v[2:3], v[6:7], v[30:31]
	v_add_f64 v[4:5], v[22:23], v[4:5]
	global_store_dwordx4 v[28:29], v[2:5], off offset:768
	global_load_dwordx4 v[2:5], v[24:25], off
	v_mul_f64 v[6:7], s[40:41], v[72:73]
	v_mul_f64 v[22:23], s[38:39], v[72:73]
	v_fma_f64 v[6:7], s[38:39], v[70:71], -v[6:7]
	v_fmac_f64_e32 v[22:23], s[40:41], v[70:71]
	v_lshl_add_u64 v[28:29], v[26:27], 0, v[0:1]
	s_waitcnt vmcnt(0)
	v_mul_f64 v[30:31], s[12:13], v[4:5]
	v_mul_f64 v[4:5], s[10:11], v[4:5]
	v_fma_f64 v[30:31], s[10:11], v[2:3], -v[30:31]
	v_fmac_f64_e32 v[4:5], s[12:13], v[2:3]
	v_add_f64 v[2:3], v[6:7], v[30:31]
	v_add_f64 v[4:5], v[22:23], v[4:5]
	global_store_dwordx4 v[28:29], v[2:5], off
	global_load_dwordx4 v[2:5], v[24:25], off offset:256
	v_mul_f64 v[6:7], s[40:41], v[64:65]
	v_mul_f64 v[22:23], s[38:39], v[64:65]
	v_fma_f64 v[6:7], s[38:39], v[60:61], -v[6:7]
	v_fmac_f64_e32 v[22:23], s[40:41], v[60:61]
	s_waitcnt vmcnt(0)
	v_mul_f64 v[30:31], s[12:13], v[4:5]
	v_mul_f64 v[4:5], s[10:11], v[4:5]
	v_fma_f64 v[30:31], s[10:11], v[2:3], -v[30:31]
	v_fmac_f64_e32 v[4:5], s[12:13], v[2:3]
	v_add_f64 v[2:3], v[6:7], v[30:31]
	v_add_f64 v[4:5], v[22:23], v[4:5]
	global_store_dwordx4 v[28:29], v[2:5], off offset:256
	global_load_dwordx4 v[2:5], v[24:25], off offset:512
	v_mul_f64 v[6:7], s[40:41], v[52:53]
	v_mul_f64 v[22:23], s[38:39], v[52:53]
	v_fma_f64 v[6:7], s[38:39], v[48:49], -v[6:7]
	v_fmac_f64_e32 v[22:23], s[40:41], v[48:49]
	s_waitcnt vmcnt(0)
	v_mul_f64 v[30:31], s[12:13], v[4:5]
	v_mul_f64 v[4:5], s[10:11], v[4:5]
	v_fma_f64 v[30:31], s[10:11], v[2:3], -v[30:31]
	v_fmac_f64_e32 v[4:5], s[12:13], v[2:3]
	v_add_f64 v[2:3], v[6:7], v[30:31]
	v_add_f64 v[4:5], v[22:23], v[4:5]
	global_store_dwordx4 v[28:29], v[2:5], off offset:512
	;; [unrolled: 13-line block ×3, first 2 shown]
	global_load_dwordx4 v[2:5], v[20:21], off
	v_lshl_add_u64 v[24:25], v[26:27], 0, s[2:3]
	v_mul_f64 v[6:7], s[40:41], v[80:81]
	v_mul_f64 v[22:23], s[38:39], v[80:81]
	v_lshl_add_u64 v[24:25], v[24:25], 0, v[0:1]
	v_fma_f64 v[6:7], s[38:39], v[78:79], -v[6:7]
	v_fmac_f64_e32 v[22:23], s[40:41], v[78:79]
	s_waitcnt vmcnt(0)
	v_mul_f64 v[0:1], s[12:13], v[4:5]
	v_mul_f64 v[4:5], s[10:11], v[4:5]
	v_fma_f64 v[0:1], s[10:11], v[2:3], -v[0:1]
	v_fmac_f64_e32 v[4:5], s[12:13], v[2:3]
	v_add_f64 v[0:1], v[6:7], v[0:1]
	v_add_f64 v[2:3], v[22:23], v[4:5]
	global_store_dwordx4 v[24:25], v[0:3], off
	global_load_dwordx4 v[0:3], v[20:21], off offset:256
	v_mul_f64 v[4:5], s[40:41], v[18:19]
	v_mul_f64 v[6:7], s[38:39], v[18:19]
	v_fma_f64 v[4:5], s[38:39], v[16:17], -v[4:5]
	v_fmac_f64_e32 v[6:7], s[40:41], v[16:17]
	s_waitcnt vmcnt(0)
	v_mul_f64 v[16:17], s[12:13], v[2:3]
	v_mul_f64 v[2:3], s[10:11], v[2:3]
	v_fma_f64 v[16:17], s[10:11], v[0:1], -v[16:17]
	v_fmac_f64_e32 v[2:3], s[12:13], v[0:1]
	v_add_f64 v[0:1], v[4:5], v[16:17]
	v_add_f64 v[2:3], v[6:7], v[2:3]
	global_store_dwordx4 v[24:25], v[0:3], off offset:256
	global_load_dwordx4 v[0:3], v[20:21], off offset:512
	v_mul_f64 v[4:5], s[40:41], v[14:15]
	v_mul_f64 v[6:7], s[38:39], v[14:15]
	v_fma_f64 v[4:5], s[38:39], v[12:13], -v[4:5]
	v_fmac_f64_e32 v[6:7], s[40:41], v[12:13]
	s_waitcnt vmcnt(0)
	v_mul_f64 v[12:13], s[12:13], v[2:3]
	v_mul_f64 v[2:3], s[10:11], v[2:3]
	v_fma_f64 v[12:13], s[10:11], v[0:1], -v[12:13]
	v_fmac_f64_e32 v[2:3], s[12:13], v[0:1]
	v_add_f64 v[0:1], v[4:5], v[12:13]
	v_add_f64 v[2:3], v[6:7], v[2:3]
	global_store_dwordx4 v[24:25], v[0:3], off offset:512
	global_load_dwordx4 v[0:3], v[20:21], off offset:768
	v_mul_f64 v[4:5], s[40:41], v[10:11]
	v_mul_f64 v[6:7], s[38:39], v[10:11]
	v_fma_f64 v[4:5], s[38:39], v[8:9], -v[4:5]
	v_fmac_f64_e32 v[6:7], s[40:41], v[8:9]
	s_waitcnt vmcnt(0)
	v_mul_f64 v[8:9], s[12:13], v[2:3]
	v_mul_f64 v[2:3], s[10:11], v[2:3]
	v_fma_f64 v[8:9], s[10:11], v[0:1], -v[8:9]
	v_fmac_f64_e32 v[2:3], s[12:13], v[0:1]
	v_add_f64 v[0:1], v[4:5], v[8:9]
	v_add_f64 v[4:5], v[6:7], v[2:3]
	v_lshl_add_u64 v[6:7], v[24:25], 0, s[0:1]
	global_store_dwordx2 v[24:25], v[0:1], off offset:768
.LBB120_8:
	global_store_dwordx2 v[6:7], v[4:5], off offset:8
	s_endpgm
	.section	.rodata,"a",@progbits
	.p2align	6, 0x0
	.amdhsa_kernel _ZN12_GLOBAL__N_127rocblas_gemm_batched_kernelI19rocblas_complex_numIdELi16ELi16ELi64ELi64ELi4ELi64ELi4ELi4ELi64ELc78ELc84EKS2_S3_S2_EEvlllT_PT11_llS6_llS4_PT12_llPT13_lli
		.amdhsa_group_segment_fixed_size 8192
		.amdhsa_private_segment_fixed_size 0
		.amdhsa_kernarg_size 156
		.amdhsa_user_sgpr_count 2
		.amdhsa_user_sgpr_dispatch_ptr 0
		.amdhsa_user_sgpr_queue_ptr 0
		.amdhsa_user_sgpr_kernarg_segment_ptr 1
		.amdhsa_user_sgpr_dispatch_id 0
		.amdhsa_user_sgpr_kernarg_preload_length 0
		.amdhsa_user_sgpr_kernarg_preload_offset 0
		.amdhsa_user_sgpr_private_segment_size 0
		.amdhsa_uses_dynamic_stack 0
		.amdhsa_enable_private_segment 0
		.amdhsa_system_sgpr_workgroup_id_x 1
		.amdhsa_system_sgpr_workgroup_id_y 1
		.amdhsa_system_sgpr_workgroup_id_z 1
		.amdhsa_system_sgpr_workgroup_info 0
		.amdhsa_system_vgpr_workitem_id 1
		.amdhsa_next_free_vgpr 138
		.amdhsa_next_free_sgpr 52
		.amdhsa_accum_offset 140
		.amdhsa_reserve_vcc 1
		.amdhsa_float_round_mode_32 0
		.amdhsa_float_round_mode_16_64 0
		.amdhsa_float_denorm_mode_32 3
		.amdhsa_float_denorm_mode_16_64 3
		.amdhsa_dx10_clamp 1
		.amdhsa_ieee_mode 1
		.amdhsa_fp16_overflow 0
		.amdhsa_tg_split 0
		.amdhsa_exception_fp_ieee_invalid_op 0
		.amdhsa_exception_fp_denorm_src 0
		.amdhsa_exception_fp_ieee_div_zero 0
		.amdhsa_exception_fp_ieee_overflow 0
		.amdhsa_exception_fp_ieee_underflow 0
		.amdhsa_exception_fp_ieee_inexact 0
		.amdhsa_exception_int_div_zero 0
	.end_amdhsa_kernel
	.section	.text._ZN12_GLOBAL__N_127rocblas_gemm_batched_kernelI19rocblas_complex_numIdELi16ELi16ELi64ELi64ELi4ELi64ELi4ELi4ELi64ELc78ELc84EKS2_S3_S2_EEvlllT_PT11_llS6_llS4_PT12_llPT13_lli,"axG",@progbits,_ZN12_GLOBAL__N_127rocblas_gemm_batched_kernelI19rocblas_complex_numIdELi16ELi16ELi64ELi64ELi4ELi64ELi4ELi4ELi64ELc78ELc84EKS2_S3_S2_EEvlllT_PT11_llS6_llS4_PT12_llPT13_lli,comdat
.Lfunc_end120:
	.size	_ZN12_GLOBAL__N_127rocblas_gemm_batched_kernelI19rocblas_complex_numIdELi16ELi16ELi64ELi64ELi4ELi64ELi4ELi4ELi64ELc78ELc84EKS2_S3_S2_EEvlllT_PT11_llS6_llS4_PT12_llPT13_lli, .Lfunc_end120-_ZN12_GLOBAL__N_127rocblas_gemm_batched_kernelI19rocblas_complex_numIdELi16ELi16ELi64ELi64ELi4ELi64ELi4ELi4ELi64ELc78ELc84EKS2_S3_S2_EEvlllT_PT11_llS6_llS4_PT12_llPT13_lli
                                        ; -- End function
	.set _ZN12_GLOBAL__N_127rocblas_gemm_batched_kernelI19rocblas_complex_numIdELi16ELi16ELi64ELi64ELi4ELi64ELi4ELi4ELi64ELc78ELc84EKS2_S3_S2_EEvlllT_PT11_llS6_llS4_PT12_llPT13_lli.num_vgpr, 138
	.set _ZN12_GLOBAL__N_127rocblas_gemm_batched_kernelI19rocblas_complex_numIdELi16ELi16ELi64ELi64ELi4ELi64ELi4ELi4ELi64ELc78ELc84EKS2_S3_S2_EEvlllT_PT11_llS6_llS4_PT12_llPT13_lli.num_agpr, 0
	.set _ZN12_GLOBAL__N_127rocblas_gemm_batched_kernelI19rocblas_complex_numIdELi16ELi16ELi64ELi64ELi4ELi64ELi4ELi4ELi64ELc78ELc84EKS2_S3_S2_EEvlllT_PT11_llS6_llS4_PT12_llPT13_lli.numbered_sgpr, 52
	.set _ZN12_GLOBAL__N_127rocblas_gemm_batched_kernelI19rocblas_complex_numIdELi16ELi16ELi64ELi64ELi4ELi64ELi4ELi4ELi64ELc78ELc84EKS2_S3_S2_EEvlllT_PT11_llS6_llS4_PT12_llPT13_lli.num_named_barrier, 0
	.set _ZN12_GLOBAL__N_127rocblas_gemm_batched_kernelI19rocblas_complex_numIdELi16ELi16ELi64ELi64ELi4ELi64ELi4ELi4ELi64ELc78ELc84EKS2_S3_S2_EEvlllT_PT11_llS6_llS4_PT12_llPT13_lli.private_seg_size, 0
	.set _ZN12_GLOBAL__N_127rocblas_gemm_batched_kernelI19rocblas_complex_numIdELi16ELi16ELi64ELi64ELi4ELi64ELi4ELi4ELi64ELc78ELc84EKS2_S3_S2_EEvlllT_PT11_llS6_llS4_PT12_llPT13_lli.uses_vcc, 1
	.set _ZN12_GLOBAL__N_127rocblas_gemm_batched_kernelI19rocblas_complex_numIdELi16ELi16ELi64ELi64ELi4ELi64ELi4ELi4ELi64ELc78ELc84EKS2_S3_S2_EEvlllT_PT11_llS6_llS4_PT12_llPT13_lli.uses_flat_scratch, 0
	.set _ZN12_GLOBAL__N_127rocblas_gemm_batched_kernelI19rocblas_complex_numIdELi16ELi16ELi64ELi64ELi4ELi64ELi4ELi4ELi64ELc78ELc84EKS2_S3_S2_EEvlllT_PT11_llS6_llS4_PT12_llPT13_lli.has_dyn_sized_stack, 0
	.set _ZN12_GLOBAL__N_127rocblas_gemm_batched_kernelI19rocblas_complex_numIdELi16ELi16ELi64ELi64ELi4ELi64ELi4ELi4ELi64ELc78ELc84EKS2_S3_S2_EEvlllT_PT11_llS6_llS4_PT12_llPT13_lli.has_recursion, 0
	.set _ZN12_GLOBAL__N_127rocblas_gemm_batched_kernelI19rocblas_complex_numIdELi16ELi16ELi64ELi64ELi4ELi64ELi4ELi4ELi64ELc78ELc84EKS2_S3_S2_EEvlllT_PT11_llS6_llS4_PT12_llPT13_lli.has_indirect_call, 0
	.section	.AMDGPU.csdata,"",@progbits
; Kernel info:
; codeLenInByte = 6432
; TotalNumSgprs: 58
; NumVgprs: 138
; NumAgprs: 0
; TotalNumVgprs: 138
; ScratchSize: 0
; MemoryBound: 0
; FloatMode: 240
; IeeeMode: 1
; LDSByteSize: 8192 bytes/workgroup (compile time only)
; SGPRBlocks: 7
; VGPRBlocks: 17
; NumSGPRsForWavesPerEU: 58
; NumVGPRsForWavesPerEU: 138
; AccumOffset: 140
; Occupancy: 3
; WaveLimiterHint : 1
; COMPUTE_PGM_RSRC2:SCRATCH_EN: 0
; COMPUTE_PGM_RSRC2:USER_SGPR: 2
; COMPUTE_PGM_RSRC2:TRAP_HANDLER: 0
; COMPUTE_PGM_RSRC2:TGID_X_EN: 1
; COMPUTE_PGM_RSRC2:TGID_Y_EN: 1
; COMPUTE_PGM_RSRC2:TGID_Z_EN: 1
; COMPUTE_PGM_RSRC2:TIDIG_COMP_CNT: 1
; COMPUTE_PGM_RSRC3_GFX90A:ACCUM_OFFSET: 34
; COMPUTE_PGM_RSRC3_GFX90A:TG_SPLIT: 0
	.section	.text._ZN12_GLOBAL__N_127rocblas_gemm_batched_kernelI19rocblas_complex_numIdELi16ELi16ELi64ELi64ELi4ELi64ELi4ELi4ELi64ELc84ELc84EKS2_S3_S2_EEvlllT_PT11_llS6_llS4_PT12_llPT13_lli,"axG",@progbits,_ZN12_GLOBAL__N_127rocblas_gemm_batched_kernelI19rocblas_complex_numIdELi16ELi16ELi64ELi64ELi4ELi64ELi4ELi4ELi64ELc84ELc84EKS2_S3_S2_EEvlllT_PT11_llS6_llS4_PT12_llPT13_lli,comdat
	.globl	_ZN12_GLOBAL__N_127rocblas_gemm_batched_kernelI19rocblas_complex_numIdELi16ELi16ELi64ELi64ELi4ELi64ELi4ELi4ELi64ELc84ELc84EKS2_S3_S2_EEvlllT_PT11_llS6_llS4_PT12_llPT13_lli ; -- Begin function _ZN12_GLOBAL__N_127rocblas_gemm_batched_kernelI19rocblas_complex_numIdELi16ELi16ELi64ELi64ELi4ELi64ELi4ELi4ELi64ELc84ELc84EKS2_S3_S2_EEvlllT_PT11_llS6_llS4_PT12_llPT13_lli
	.p2align	8
	.type	_ZN12_GLOBAL__N_127rocblas_gemm_batched_kernelI19rocblas_complex_numIdELi16ELi16ELi64ELi64ELi4ELi64ELi4ELi4ELi64ELc84ELc84EKS2_S3_S2_EEvlllT_PT11_llS6_llS4_PT12_llPT13_lli,@function
_ZN12_GLOBAL__N_127rocblas_gemm_batched_kernelI19rocblas_complex_numIdELi16ELi16ELi64ELi64ELi4ELi64ELi4ELi4ELi64ELc84ELc84EKS2_S3_S2_EEvlllT_PT11_llS6_llS4_PT12_llPT13_lli: ; @_ZN12_GLOBAL__N_127rocblas_gemm_batched_kernelI19rocblas_complex_numIdELi16ELi16ELi64ELi64ELi4ELi64ELi4ELi4ELi64ELc84ELc84EKS2_S3_S2_EEvlllT_PT11_llS6_llS4_PT12_llPT13_lli
; %bb.0:
	s_load_dwordx16 s[36:51], s[0:1], 0x10
	s_load_dwordx16 s[8:23], s[0:1], 0x50
	s_mov_b32 s6, s3
	v_mov_b32_e32 v27, 0
	s_ashr_i32 s3, s2, 31
	s_ashr_i32 s7, s6, 31
	s_waitcnt lgkmcnt(0)
	v_cmp_lt_i64_e64 s[24:25], s[36:37], 1
	v_bfe_u32 v26, v0, 10, 10
	v_and_b32_e32 v24, 0x3ff, v0
	v_mov_b32_e32 v25, v27
	s_lshl_b64 s[2:3], s[2:3], 6
	s_lshl_b64 s[6:7], s[6:7], 6
	s_and_b64 vcc, exec, s[24:25]
	s_cbranch_vccnz .LBB121_3
; %bb.1:
	v_lshl_add_u32 v6, v26, 4, v24
	v_lshrrev_b32_e32 v0, 2, v6
	v_mov_b32_e32 v1, v27
	v_lshl_add_u64 v[2:3], v[0:1], 0, s[6:7]
	v_and_b32_e32 v1, 3, v24
	v_mad_u64_u32 v[2:3], s[24:25], s50, v1, v[2:3]
	v_mov_b32_e32 v4, v3
	v_mad_u64_u32 v[4:5], s[24:25], s51, v1, v[4:5]
	v_lshlrev_b32_e32 v1, 4, v1
	v_lshl_or_b32 v0, v0, 6, v1
	v_mov_b32_e32 v3, v4
	v_and_b32_e32 v4, 63, v6
	v_mov_b32_e32 v5, v27
	v_add_u32_e32 v111, 0x1000, v0
	v_mov_b32_e32 v0, 0x1000
	v_lshl_add_u32 v113, v26, 6, v0
	v_lshl_add_u64 v[0:1], s[2:3], 0, v[4:5]
	v_lshlrev_b32_e32 v7, 4, v4
	v_mul_lo_u32 v4, s45, v0
	v_mul_lo_u32 v5, s44, v1
	v_mad_u64_u32 v[0:1], s[24:25], s44, v0, 0
	s_mul_i32 s5, s47, s4
	s_mul_hi_u32 s24, s46, s4
	s_add_i32 s25, s24, s5
	s_mul_i32 s5, s9, s4
	s_mul_hi_u32 s9, s8, s4
	s_mul_i32 s24, s46, s4
	s_add_i32 s9, s9, s5
	s_mul_i32 s8, s8, s4
	v_lshrrev_b32_e32 v6, 6, v6
	v_add3_u32 v1, v1, v5, v4
	s_lshl_b64 s[24:25], s[24:25], 4
	s_lshl_b64 s[8:9], s[8:9], 4
	v_lshl_add_u64 v[0:1], v[0:1], 4, s[24:25]
	v_lshlrev_b32_e32 v4, 4, v6
	v_mov_b32_e32 v5, v27
	s_add_u32 s8, s48, s8
	v_lshl_add_u64 v[0:1], v[0:1], 0, v[4:5]
	s_addc_u32 s9, s49, s9
	v_lshl_or_b32 v110, v6, 10, v7
	v_lshlrev_b32_e32 v112, 4, v24
	v_lshl_add_u64 v[28:29], s[42:43], 0, v[0:1]
	v_lshl_add_u64 v[30:31], v[2:3], 4, s[8:9]
	s_lshl_b64 s[8:9], s[50:51], 6
	s_mov_b64 s[24:25], 0
	v_mov_b64_e32 v[10:11], 0
	v_mov_b64_e32 v[32:33], s[36:37]
	;; [unrolled: 1-line block ×33, first 2 shown]
.LBB121_2:                              ; =>This Inner Loop Header: Depth=1
	global_load_dwordx4 v[0:3], v[28:29], off
	s_add_u32 s24, s24, 4
	s_addc_u32 s25, s25, 0
	v_cmp_lt_i64_e32 vcc, s[24:25], v[32:33]
	v_lshl_add_u64 v[28:29], v[28:29], 0, 64
	s_and_b64 vcc, exec, vcc
	s_waitcnt vmcnt(0)
	ds_write2_b64 v110, v[0:1], v[2:3] offset1:1
	global_load_dwordx4 v[0:3], v[30:31], off
	v_lshl_add_u64 v[30:31], v[30:31], 0, s[8:9]
	s_waitcnt vmcnt(0)
	ds_write2_b64 v111, v[0:1], v[2:3] offset1:1
	s_waitcnt lgkmcnt(0)
	s_barrier
	ds_read_b128 v[82:85], v113
	ds_read_b128 v[114:117], v113 offset:16
	ds_read_b128 v[4:7], v113 offset:32
	;; [unrolled: 1-line block ×3, first 2 shown]
	ds_read_b128 v[118:121], v112
	s_waitcnt lgkmcnt(0)
	v_mul_f64 v[86:87], v[84:85], v[120:121]
	v_mul_f64 v[88:89], v[82:83], v[120:121]
	v_fma_f64 v[86:87], v[82:83], v[118:119], -v[86:87]
	v_fmac_f64_e32 v[88:89], v[84:85], v[118:119]
	v_add_f64 v[122:123], v[54:55], v[86:87]
	v_add_f64 v[124:125], v[88:89], v[56:57]
	ds_read_b128 v[54:57], v112 offset:256
	s_waitcnt lgkmcnt(0)
	v_mul_f64 v[86:87], v[84:85], v[56:57]
	v_mul_f64 v[88:89], v[82:83], v[56:57]
	v_fma_f64 v[86:87], v[82:83], v[54:55], -v[86:87]
	v_fmac_f64_e32 v[88:89], v[84:85], v[54:55]
	v_add_f64 v[126:127], v[38:39], v[86:87]
	v_add_f64 v[128:129], v[88:89], v[40:41]
	ds_read_b128 v[38:41], v112 offset:512
	;; [unrolled: 8-line block ×3, first 2 shown]
	s_waitcnt lgkmcnt(0)
	v_mul_f64 v[86:87], v[84:85], v[36:37]
	v_fma_f64 v[86:87], v[82:83], v[34:35], -v[86:87]
	v_mul_f64 v[82:83], v[82:83], v[36:37]
	v_fmac_f64_e32 v[82:83], v[84:85], v[34:35]
	v_add_f64 v[134:135], v[20:21], v[86:87]
	v_add_f64 v[136:137], v[82:83], v[22:23]
	ds_read_b128 v[20:23], v113 offset:1024
	s_waitcnt lgkmcnt(0)
	v_mul_f64 v[82:83], v[22:23], v[120:121]
	v_fma_f64 v[82:83], v[20:21], v[118:119], -v[82:83]
	v_add_f64 v[74:75], v[74:75], v[82:83]
	v_mul_f64 v[82:83], v[22:23], v[56:57]
	v_mul_f64 v[84:85], v[20:21], v[120:121]
	v_fma_f64 v[82:83], v[20:21], v[54:55], -v[82:83]
	v_fmac_f64_e32 v[84:85], v[22:23], v[118:119]
	v_add_f64 v[98:99], v[66:67], v[82:83]
	v_mul_f64 v[66:67], v[22:23], v[40:41]
	v_add_f64 v[76:77], v[84:85], v[76:77]
	v_mul_f64 v[84:85], v[20:21], v[56:57]
	v_fma_f64 v[66:67], v[20:21], v[38:39], -v[66:67]
	v_fmac_f64_e32 v[84:85], v[22:23], v[54:55]
	v_add_f64 v[102:103], v[58:59], v[66:67]
	v_mul_f64 v[58:59], v[22:23], v[36:37]
	v_add_f64 v[100:101], v[84:85], v[68:69]
	v_mul_f64 v[68:69], v[20:21], v[40:41]
	v_fma_f64 v[58:59], v[20:21], v[34:35], -v[58:59]
	v_mul_f64 v[20:21], v[20:21], v[36:37]
	v_fmac_f64_e32 v[20:21], v[22:23], v[34:35]
	v_fmac_f64_e32 v[68:69], v[22:23], v[38:39]
	v_add_f64 v[108:109], v[20:21], v[50:51]
	ds_read_b128 v[20:23], v113 offset:2048
	v_add_f64 v[106:107], v[46:47], v[58:59]
	v_add_f64 v[104:105], v[68:69], v[62:63]
	s_waitcnt lgkmcnt(0)
	v_mul_f64 v[46:47], v[22:23], v[120:121]
	v_fma_f64 v[46:47], v[20:21], v[118:119], -v[46:47]
	v_add_f64 v[82:83], v[70:71], v[46:47]
	v_mul_f64 v[46:47], v[22:23], v[56:57]
	v_mul_f64 v[50:51], v[20:21], v[120:121]
	v_fma_f64 v[46:47], v[20:21], v[54:55], -v[46:47]
	v_fmac_f64_e32 v[50:51], v[22:23], v[118:119]
	v_add_f64 v[86:87], v[60:61], v[46:47]
	v_mul_f64 v[46:47], v[22:23], v[40:41]
	v_add_f64 v[84:85], v[50:51], v[72:73]
	v_mul_f64 v[50:51], v[20:21], v[56:57]
	v_fma_f64 v[46:47], v[20:21], v[38:39], -v[46:47]
	v_fmac_f64_e32 v[50:51], v[22:23], v[54:55]
	v_add_f64 v[90:91], v[48:49], v[46:47]
	v_mul_f64 v[46:47], v[22:23], v[36:37]
	v_add_f64 v[88:89], v[50:51], v[64:65]
	v_mul_f64 v[50:51], v[20:21], v[40:41]
	v_fma_f64 v[46:47], v[20:21], v[34:35], -v[46:47]
	v_mul_f64 v[20:21], v[20:21], v[36:37]
	v_fmac_f64_e32 v[20:21], v[22:23], v[34:35]
	v_fmac_f64_e32 v[50:51], v[22:23], v[38:39]
	v_add_f64 v[96:97], v[20:21], v[44:45]
	ds_read_b128 v[20:23], v113 offset:3072
	v_add_f64 v[94:95], v[42:43], v[46:47]
	v_add_f64 v[92:93], v[50:51], v[52:53]
	s_waitcnt lgkmcnt(0)
	v_mul_f64 v[42:43], v[22:23], v[120:121]
	v_mul_f64 v[44:45], v[20:21], v[120:121]
	v_fma_f64 v[42:43], v[20:21], v[118:119], -v[42:43]
	v_fmac_f64_e32 v[44:45], v[22:23], v[118:119]
	v_add_f64 v[62:63], v[78:79], v[42:43]
	v_add_f64 v[64:65], v[44:45], v[80:81]
	v_mul_f64 v[42:43], v[22:23], v[56:57]
	v_mul_f64 v[44:45], v[20:21], v[56:57]
	v_fma_f64 v[42:43], v[20:21], v[54:55], -v[42:43]
	v_fmac_f64_e32 v[44:45], v[22:23], v[54:55]
	v_add_f64 v[58:59], v[16:17], v[42:43]
	v_add_f64 v[60:61], v[44:45], v[18:19]
	;; [unrolled: 6-line block ×3, first 2 shown]
	v_mul_f64 v[12:13], v[22:23], v[36:37]
	v_mul_f64 v[14:15], v[20:21], v[36:37]
	v_fma_f64 v[12:13], v[20:21], v[34:35], -v[12:13]
	v_fmac_f64_e32 v[14:15], v[22:23], v[34:35]
	ds_read_b128 v[20:23], v112 offset:1024
	ds_read_b128 v[16:19], v112 offset:1280
	v_add_f64 v[50:51], v[8:9], v[12:13]
	v_add_f64 v[52:53], v[14:15], v[10:11]
	ds_read_b128 v[12:15], v112 offset:1536
	ds_read_b128 v[78:81], v113 offset:1040
	s_waitcnt lgkmcnt(3)
	v_mul_f64 v[8:9], v[116:117], v[22:23]
	v_mul_f64 v[10:11], v[114:115], v[22:23]
	v_fma_f64 v[8:9], v[114:115], v[20:21], -v[8:9]
	v_fmac_f64_e32 v[10:11], v[116:117], v[20:21]
	v_add_f64 v[46:47], v[122:123], v[8:9]
	v_add_f64 v[48:49], v[10:11], v[124:125]
	s_waitcnt lgkmcnt(2)
	v_mul_f64 v[8:9], v[116:117], v[18:19]
	v_mul_f64 v[10:11], v[114:115], v[18:19]
	v_fma_f64 v[8:9], v[114:115], v[16:17], -v[8:9]
	v_fmac_f64_e32 v[10:11], v[116:117], v[16:17]
	v_add_f64 v[42:43], v[126:127], v[8:9]
	v_add_f64 v[44:45], v[10:11], v[128:129]
	;; [unrolled: 7-line block ×3, first 2 shown]
	ds_read_b128 v[8:11], v112 offset:1792
	s_waitcnt lgkmcnt(1)
	v_mul_f64 v[70:71], v[80:81], v[18:19]
	v_mul_f64 v[72:73], v[78:79], v[18:19]
	;; [unrolled: 1-line block ×4, first 2 shown]
	v_fma_f64 v[70:71], v[78:79], v[16:17], -v[70:71]
	v_fmac_f64_e32 v[72:73], v[80:81], v[16:17]
	v_fma_f64 v[66:67], v[78:79], v[20:21], -v[66:67]
	v_fmac_f64_e32 v[68:69], v[80:81], v[20:21]
	v_add_f64 v[70:71], v[98:99], v[70:71]
	v_add_f64 v[72:73], v[72:73], v[100:101]
	s_waitcnt lgkmcnt(0)
	v_mul_f64 v[98:99], v[80:81], v[10:11]
	v_mul_f64 v[100:101], v[78:79], v[10:11]
	v_add_f64 v[66:67], v[74:75], v[66:67]
	v_add_f64 v[68:69], v[68:69], v[76:77]
	v_mul_f64 v[74:75], v[80:81], v[14:15]
	v_mul_f64 v[76:77], v[78:79], v[14:15]
	v_fma_f64 v[98:99], v[78:79], v[8:9], -v[98:99]
	v_fmac_f64_e32 v[100:101], v[80:81], v[8:9]
	v_fma_f64 v[74:75], v[78:79], v[12:13], -v[74:75]
	v_fmac_f64_e32 v[76:77], v[80:81], v[12:13]
	v_add_f64 v[78:79], v[106:107], v[98:99]
	v_add_f64 v[80:81], v[100:101], v[108:109]
	ds_read_b128 v[98:101], v113 offset:2064
	v_add_f64 v[74:75], v[102:103], v[74:75]
	v_add_f64 v[76:77], v[76:77], v[104:105]
	v_mul_f64 v[34:35], v[116:117], v[10:11]
	v_mul_f64 v[36:37], v[114:115], v[10:11]
	s_waitcnt lgkmcnt(0)
	v_mul_f64 v[102:103], v[100:101], v[22:23]
	v_mul_f64 v[104:105], v[98:99], v[22:23]
	v_fma_f64 v[102:103], v[98:99], v[20:21], -v[102:103]
	v_fmac_f64_e32 v[104:105], v[100:101], v[20:21]
	v_add_f64 v[82:83], v[82:83], v[102:103]
	v_add_f64 v[84:85], v[104:105], v[84:85]
	v_mul_f64 v[102:103], v[100:101], v[18:19]
	v_mul_f64 v[104:105], v[98:99], v[18:19]
	v_fma_f64 v[102:103], v[98:99], v[16:17], -v[102:103]
	v_fmac_f64_e32 v[104:105], v[100:101], v[16:17]
	v_add_f64 v[86:87], v[86:87], v[102:103]
	v_add_f64 v[88:89], v[104:105], v[88:89]
	;; [unrolled: 6-line block ×4, first 2 shown]
	ds_read_b128 v[94:97], v113 offset:3088
	v_fma_f64 v[34:35], v[114:115], v[8:9], -v[34:35]
	v_fmac_f64_e32 v[36:37], v[116:117], v[8:9]
	v_add_f64 v[36:37], v[36:37], v[136:137]
	v_add_f64 v[34:35], v[134:135], v[34:35]
	s_waitcnt lgkmcnt(0)
	v_mul_f64 v[102:103], v[96:97], v[22:23]
	v_mul_f64 v[22:23], v[94:95], v[22:23]
	v_fma_f64 v[102:103], v[94:95], v[20:21], -v[102:103]
	v_fmac_f64_e32 v[22:23], v[96:97], v[20:21]
	v_mul_f64 v[20:21], v[96:97], v[18:19]
	v_mul_f64 v[18:19], v[94:95], v[18:19]
	v_fma_f64 v[20:21], v[94:95], v[16:17], -v[20:21]
	v_fmac_f64_e32 v[18:19], v[96:97], v[16:17]
	;; [unrolled: 4-line block ×3, first 2 shown]
	v_mul_f64 v[12:13], v[96:97], v[10:11]
	v_mul_f64 v[10:11], v[94:95], v[10:11]
	v_fmac_f64_e32 v[10:11], v[96:97], v[8:9]
	v_fma_f64 v[12:13], v[94:95], v[8:9], -v[12:13]
	v_add_f64 v[116:117], v[10:11], v[52:53]
	ds_read_b128 v[8:11], v112 offset:2048
	v_add_f64 v[56:57], v[14:15], v[56:57]
	v_add_f64 v[114:115], v[50:51], v[12:13]
	;; [unrolled: 1-line block ×4, first 2 shown]
	s_waitcnt lgkmcnt(0)
	v_mul_f64 v[12:13], v[6:7], v[10:11]
	v_mul_f64 v[14:15], v[4:5], v[10:11]
	v_fma_f64 v[12:13], v[4:5], v[8:9], -v[12:13]
	v_fmac_f64_e32 v[14:15], v[6:7], v[8:9]
	v_add_f64 v[118:119], v[46:47], v[12:13]
	v_add_f64 v[120:121], v[14:15], v[48:49]
	ds_read_b128 v[12:15], v112 offset:2304
	v_add_f64 v[104:105], v[22:23], v[64:65]
	v_add_f64 v[106:107], v[58:59], v[20:21]
	;; [unrolled: 1-line block ×3, first 2 shown]
	s_waitcnt lgkmcnt(0)
	v_mul_f64 v[16:17], v[6:7], v[14:15]
	v_mul_f64 v[18:19], v[4:5], v[14:15]
	v_fma_f64 v[16:17], v[4:5], v[12:13], -v[16:17]
	v_fmac_f64_e32 v[18:19], v[6:7], v[12:13]
	v_add_f64 v[122:123], v[42:43], v[16:17]
	v_add_f64 v[124:125], v[18:19], v[44:45]
	ds_read_b128 v[16:19], v112 offset:2560
	s_waitcnt lgkmcnt(0)
	v_mul_f64 v[20:21], v[6:7], v[18:19]
	v_mul_f64 v[22:23], v[4:5], v[18:19]
	v_fma_f64 v[20:21], v[4:5], v[16:17], -v[20:21]
	v_fmac_f64_e32 v[22:23], v[6:7], v[16:17]
	v_add_f64 v[126:127], v[38:39], v[20:21]
	v_add_f64 v[128:129], v[22:23], v[40:41]
	ds_read_b128 v[20:23], v112 offset:2816
	s_waitcnt lgkmcnt(0)
	v_mul_f64 v[38:39], v[6:7], v[22:23]
	v_fma_f64 v[38:39], v[4:5], v[20:21], -v[38:39]
	v_mul_f64 v[4:5], v[4:5], v[22:23]
	v_fmac_f64_e32 v[4:5], v[6:7], v[20:21]
	v_add_f64 v[132:133], v[4:5], v[36:37]
	ds_read_b128 v[4:7], v113 offset:1056
	v_add_f64 v[130:131], v[34:35], v[38:39]
	s_waitcnt lgkmcnt(0)
	v_mul_f64 v[34:35], v[6:7], v[10:11]
	v_fma_f64 v[34:35], v[4:5], v[8:9], -v[34:35]
	v_add_f64 v[46:47], v[66:67], v[34:35]
	v_mul_f64 v[34:35], v[6:7], v[14:15]
	v_mul_f64 v[36:37], v[4:5], v[10:11]
	v_fma_f64 v[34:35], v[4:5], v[12:13], -v[34:35]
	v_fmac_f64_e32 v[36:37], v[6:7], v[8:9]
	v_add_f64 v[58:59], v[70:71], v[34:35]
	v_mul_f64 v[34:35], v[6:7], v[18:19]
	v_add_f64 v[50:51], v[36:37], v[68:69]
	v_mul_f64 v[36:37], v[4:5], v[14:15]
	v_fma_f64 v[34:35], v[4:5], v[16:17], -v[34:35]
	v_fmac_f64_e32 v[36:37], v[6:7], v[12:13]
	v_add_f64 v[62:63], v[74:75], v[34:35]
	v_mul_f64 v[34:35], v[6:7], v[22:23]
	v_add_f64 v[60:61], v[36:37], v[72:73]
	v_mul_f64 v[36:37], v[4:5], v[18:19]
	v_fma_f64 v[34:35], v[4:5], v[20:21], -v[34:35]
	v_mul_f64 v[4:5], v[4:5], v[22:23]
	v_fmac_f64_e32 v[4:5], v[6:7], v[20:21]
	v_fmac_f64_e32 v[36:37], v[6:7], v[16:17]
	v_add_f64 v[72:73], v[4:5], v[80:81]
	ds_read_b128 v[4:7], v113 offset:2080
	v_add_f64 v[70:71], v[78:79], v[34:35]
	v_add_f64 v[64:65], v[36:37], v[76:77]
	s_waitcnt lgkmcnt(0)
	v_mul_f64 v[34:35], v[6:7], v[10:11]
	v_fma_f64 v[34:35], v[4:5], v[8:9], -v[34:35]
	v_add_f64 v[42:43], v[82:83], v[34:35]
	v_mul_f64 v[34:35], v[6:7], v[14:15]
	v_mul_f64 v[36:37], v[4:5], v[10:11]
	v_fma_f64 v[34:35], v[4:5], v[12:13], -v[34:35]
	v_fmac_f64_e32 v[36:37], v[6:7], v[8:9]
	v_add_f64 v[48:49], v[86:87], v[34:35]
	v_mul_f64 v[34:35], v[6:7], v[18:19]
	v_add_f64 v[44:45], v[36:37], v[84:85]
	v_mul_f64 v[36:37], v[4:5], v[14:15]
	v_fma_f64 v[34:35], v[4:5], v[16:17], -v[34:35]
	v_fmac_f64_e32 v[36:37], v[6:7], v[12:13]
	v_add_f64 v[94:95], v[90:91], v[34:35]
	v_mul_f64 v[34:35], v[6:7], v[22:23]
	v_add_f64 v[52:53], v[36:37], v[88:89]
	v_mul_f64 v[36:37], v[4:5], v[18:19]
	v_fma_f64 v[34:35], v[4:5], v[20:21], -v[34:35]
	v_mul_f64 v[4:5], v[4:5], v[22:23]
	v_fmac_f64_e32 v[4:5], v[6:7], v[20:21]
	v_fmac_f64_e32 v[36:37], v[6:7], v[16:17]
	v_add_f64 v[100:101], v[4:5], v[100:101]
	ds_read_b128 v[4:7], v113 offset:3104
	v_add_f64 v[98:99], v[98:99], v[34:35]
	v_add_f64 v[96:97], v[36:37], v[92:93]
	s_waitcnt lgkmcnt(0)
	v_mul_f64 v[34:35], v[6:7], v[10:11]
	v_mul_f64 v[10:11], v[4:5], v[10:11]
	v_fmac_f64_e32 v[10:11], v[6:7], v[8:9]
	v_fma_f64 v[34:35], v[4:5], v[8:9], -v[34:35]
	v_add_f64 v[80:81], v[10:11], v[104:105]
	v_mul_f64 v[8:9], v[6:7], v[14:15]
	v_mul_f64 v[10:11], v[4:5], v[14:15]
	v_fma_f64 v[8:9], v[4:5], v[12:13], -v[8:9]
	v_fmac_f64_e32 v[10:11], v[6:7], v[12:13]
	v_add_f64 v[90:91], v[106:107], v[8:9]
	v_add_f64 v[92:93], v[10:11], v[108:109]
	v_mul_f64 v[8:9], v[6:7], v[18:19]
	v_mul_f64 v[10:11], v[4:5], v[18:19]
	v_fma_f64 v[8:9], v[4:5], v[16:17], -v[8:9]
	v_fmac_f64_e32 v[10:11], v[6:7], v[16:17]
	ds_read_b128 v[16:19], v112 offset:3072
	ds_read_b128 v[12:15], v112 offset:3328
	v_add_f64 v[86:87], v[54:55], v[8:9]
	v_mul_f64 v[8:9], v[6:7], v[22:23]
	v_fma_f64 v[8:9], v[4:5], v[20:21], -v[8:9]
	v_mul_f64 v[4:5], v[4:5], v[22:23]
	v_add_f64 v[88:89], v[10:11], v[56:57]
	v_fmac_f64_e32 v[4:5], v[6:7], v[20:21]
	v_add_f64 v[82:83], v[114:115], v[8:9]
	ds_read_b128 v[8:11], v112 offset:3584
	v_add_f64 v[84:85], v[4:5], v[116:117]
	s_waitcnt lgkmcnt(2)
	v_mul_f64 v[4:5], v[2:3], v[18:19]
	v_mul_f64 v[6:7], v[0:1], v[18:19]
	v_fma_f64 v[4:5], v[0:1], v[16:17], -v[4:5]
	v_fmac_f64_e32 v[6:7], v[2:3], v[16:17]
	v_add_f64 v[54:55], v[118:119], v[4:5]
	v_add_f64 v[56:57], v[6:7], v[120:121]
	s_waitcnt lgkmcnt(1)
	v_mul_f64 v[4:5], v[2:3], v[14:15]
	v_mul_f64 v[6:7], v[0:1], v[14:15]
	v_fma_f64 v[4:5], v[0:1], v[12:13], -v[4:5]
	v_fmac_f64_e32 v[6:7], v[2:3], v[12:13]
	v_add_f64 v[38:39], v[122:123], v[4:5]
	;; [unrolled: 7-line block ×3, first 2 shown]
	v_add_f64 v[34:35], v[126:127], v[4:5]
	v_add_f64 v[36:37], v[6:7], v[128:129]
	ds_read_b128 v[4:7], v112 offset:3840
	s_waitcnt lgkmcnt(0)
	v_mul_f64 v[20:21], v[2:3], v[6:7]
	v_fma_f64 v[20:21], v[0:1], v[4:5], -v[20:21]
	v_mul_f64 v[0:1], v[0:1], v[6:7]
	v_fmac_f64_e32 v[0:1], v[2:3], v[4:5]
	v_add_f64 v[22:23], v[0:1], v[132:133]
	ds_read_b128 v[0:3], v113 offset:1072
	v_add_f64 v[20:21], v[130:131], v[20:21]
	s_waitcnt lgkmcnt(0)
	v_mul_f64 v[66:67], v[2:3], v[18:19]
	v_fma_f64 v[66:67], v[0:1], v[16:17], -v[66:67]
	v_add_f64 v[74:75], v[46:47], v[66:67]
	v_mul_f64 v[46:47], v[2:3], v[14:15]
	v_mul_f64 v[68:69], v[0:1], v[18:19]
	v_fma_f64 v[46:47], v[0:1], v[12:13], -v[46:47]
	v_fmac_f64_e32 v[68:69], v[2:3], v[16:17]
	v_add_f64 v[66:67], v[58:59], v[46:47]
	v_mul_f64 v[46:47], v[2:3], v[10:11]
	v_add_f64 v[76:77], v[68:69], v[50:51]
	v_mul_f64 v[50:51], v[0:1], v[14:15]
	v_fma_f64 v[46:47], v[0:1], v[8:9], -v[46:47]
	v_fmac_f64_e32 v[50:51], v[2:3], v[12:13]
	v_add_f64 v[58:59], v[62:63], v[46:47]
	v_mul_f64 v[46:47], v[2:3], v[6:7]
	v_add_f64 v[68:69], v[50:51], v[60:61]
	v_mul_f64 v[50:51], v[0:1], v[10:11]
	v_fma_f64 v[46:47], v[0:1], v[4:5], -v[46:47]
	v_mul_f64 v[0:1], v[0:1], v[6:7]
	v_fmac_f64_e32 v[50:51], v[2:3], v[8:9]
	v_fmac_f64_e32 v[0:1], v[2:3], v[4:5]
	v_add_f64 v[62:63], v[50:51], v[64:65]
	v_add_f64 v[50:51], v[0:1], v[72:73]
	ds_read_b128 v[0:3], v113 offset:2096
	v_add_f64 v[46:47], v[70:71], v[46:47]
	s_waitcnt lgkmcnt(0)
	v_mul_f64 v[60:61], v[2:3], v[18:19]
	v_fma_f64 v[60:61], v[0:1], v[16:17], -v[60:61]
	v_add_f64 v[70:71], v[42:43], v[60:61]
	v_mul_f64 v[42:43], v[2:3], v[14:15]
	v_mul_f64 v[64:65], v[0:1], v[18:19]
	v_fma_f64 v[42:43], v[0:1], v[12:13], -v[42:43]
	v_fmac_f64_e32 v[64:65], v[2:3], v[16:17]
	v_add_f64 v[60:61], v[48:49], v[42:43]
	v_mul_f64 v[42:43], v[2:3], v[10:11]
	v_add_f64 v[72:73], v[64:65], v[44:45]
	v_mul_f64 v[44:45], v[0:1], v[14:15]
	v_fma_f64 v[42:43], v[0:1], v[8:9], -v[42:43]
	v_fmac_f64_e32 v[44:45], v[2:3], v[12:13]
	v_add_f64 v[48:49], v[94:95], v[42:43]
	v_mul_f64 v[42:43], v[2:3], v[6:7]
	v_add_f64 v[64:65], v[44:45], v[52:53]
	v_mul_f64 v[44:45], v[0:1], v[10:11]
	v_fma_f64 v[42:43], v[0:1], v[4:5], -v[42:43]
	v_mul_f64 v[0:1], v[0:1], v[6:7]
	v_fmac_f64_e32 v[44:45], v[2:3], v[8:9]
	v_fmac_f64_e32 v[0:1], v[2:3], v[4:5]
	v_add_f64 v[52:53], v[44:45], v[96:97]
	v_add_f64 v[44:45], v[0:1], v[100:101]
	ds_read_b128 v[0:3], v113 offset:3120
	v_add_f64 v[42:43], v[98:99], v[42:43]
	s_waitcnt lgkmcnt(0)
	s_barrier
	v_mul_f64 v[94:95], v[2:3], v[18:19]
	v_mul_f64 v[18:19], v[0:1], v[18:19]
	v_fma_f64 v[94:95], v[0:1], v[16:17], -v[94:95]
	v_fmac_f64_e32 v[18:19], v[2:3], v[16:17]
	v_mul_f64 v[16:17], v[2:3], v[14:15]
	v_mul_f64 v[14:15], v[0:1], v[14:15]
	v_fma_f64 v[16:17], v[0:1], v[12:13], -v[16:17]
	v_fmac_f64_e32 v[14:15], v[2:3], v[12:13]
	;; [unrolled: 4-line block ×3, first 2 shown]
	v_mul_f64 v[8:9], v[2:3], v[6:7]
	v_fma_f64 v[8:9], v[0:1], v[4:5], -v[8:9]
	v_mul_f64 v[0:1], v[0:1], v[6:7]
	v_fmac_f64_e32 v[0:1], v[2:3], v[4:5]
	v_add_f64 v[78:79], v[78:79], v[94:95]
	v_add_f64 v[80:81], v[18:19], v[80:81]
	;; [unrolled: 1-line block ×8, first 2 shown]
	s_cbranch_vccnz .LBB121_2
	s_branch .LBB121_4
.LBB121_3:
	v_mov_b64_e32 v[54:55], 0
	v_mov_b64_e32 v[56:57], 0
	;; [unrolled: 1-line block ×32, first 2 shown]
.LBB121_4:
	s_load_dwordx2 s[0:1], s[0:1], 0x90
	v_cmp_neq_f64_e64 s[8:9], s[10:11], 0
	v_lshl_add_u64 v[2:3], s[6:7], 0, v[26:27]
	s_mov_b64 s[6:7], 0
	v_lshl_add_u64 v[0:1], s[2:3], 0, v[24:25]
	s_waitcnt lgkmcnt(0)
	s_mul_i32 s1, s1, s4
	s_mul_hi_u32 s5, s0, s4
	s_mul_i32 s0, s0, s4
	s_add_i32 s1, s5, s1
	s_lshl_b64 s[0:1], s[0:1], 4
	s_add_u32 s0, s20, s0
	s_addc_u32 s1, s21, s1
	v_cmp_neq_f64_e64 s[20:21], s[12:13], 0
	s_or_b64 s[8:9], s[8:9], s[20:21]
	s_and_b64 vcc, exec, s[8:9]
	s_cbranch_vccnz .LBB121_6
; %bb.5:
	v_mul_lo_u32 v6, v3, s22
	v_mul_lo_u32 v7, v2, s23
	v_mad_u64_u32 v[4:5], s[2:3], v2, s22, 0
	v_add3_u32 v5, v5, v7, v6
	v_lshl_add_u64 v[24:25], v[4:5], 4, s[0:1]
	v_mul_f64 v[4:5], s[40:41], v[56:57]
	v_mul_f64 v[6:7], s[38:39], v[56:57]
	v_lshlrev_b64 v[26:27], 4, v[0:1]
	v_fma_f64 v[4:5], s[38:39], v[54:55], -v[4:5]
	v_fmac_f64_e32 v[6:7], s[40:41], v[54:55]
	v_lshl_add_u64 v[28:29], v[24:25], 0, v[26:27]
	global_store_dwordx4 v[28:29], v[4:7], off
	s_lshl_b64 s[2:3], s[22:23], 8
	v_lshl_add_u64 v[24:25], v[24:25], 0, s[2:3]
	v_mul_f64 v[4:5], s[40:41], v[40:41]
	v_mul_f64 v[6:7], s[38:39], v[40:41]
	v_fma_f64 v[4:5], s[38:39], v[38:39], -v[4:5]
	v_fmac_f64_e32 v[6:7], s[40:41], v[38:39]
	global_store_dwordx4 v[28:29], v[4:7], off offset:256
	s_nop 1
	v_mul_f64 v[4:5], s[40:41], v[36:37]
	v_mul_f64 v[6:7], s[38:39], v[36:37]
	v_fma_f64 v[4:5], s[38:39], v[34:35], -v[4:5]
	v_fmac_f64_e32 v[6:7], s[40:41], v[34:35]
	global_store_dwordx4 v[28:29], v[4:7], off offset:512
	s_nop 1
	v_mul_f64 v[4:5], s[40:41], v[22:23]
	v_mul_f64 v[6:7], s[38:39], v[22:23]
	v_fma_f64 v[4:5], s[38:39], v[20:21], -v[4:5]
	v_fmac_f64_e32 v[6:7], s[40:41], v[20:21]
	global_store_dwordx4 v[28:29], v[4:7], off offset:768
	v_lshl_add_u64 v[28:29], v[24:25], 0, v[26:27]
	v_lshl_add_u64 v[24:25], v[24:25], 0, s[2:3]
	v_mul_f64 v[4:5], s[40:41], v[76:77]
	v_mul_f64 v[6:7], s[38:39], v[76:77]
	v_fma_f64 v[4:5], s[38:39], v[74:75], -v[4:5]
	v_fmac_f64_e32 v[6:7], s[40:41], v[74:75]
	global_store_dwordx4 v[28:29], v[4:7], off
	s_nop 1
	v_mul_f64 v[4:5], s[40:41], v[68:69]
	v_mul_f64 v[6:7], s[38:39], v[68:69]
	v_fma_f64 v[4:5], s[38:39], v[66:67], -v[4:5]
	v_fmac_f64_e32 v[6:7], s[40:41], v[66:67]
	global_store_dwordx4 v[28:29], v[4:7], off offset:256
	s_nop 1
	v_mul_f64 v[4:5], s[40:41], v[62:63]
	v_mul_f64 v[6:7], s[38:39], v[62:63]
	v_fma_f64 v[4:5], s[38:39], v[58:59], -v[4:5]
	v_fmac_f64_e32 v[6:7], s[40:41], v[58:59]
	global_store_dwordx4 v[28:29], v[4:7], off offset:512
	;; [unrolled: 6-line block ×3, first 2 shown]
	v_lshl_add_u64 v[28:29], v[24:25], 0, v[26:27]
	v_lshl_add_u64 v[24:25], v[24:25], 0, s[2:3]
	v_mul_f64 v[4:5], s[40:41], v[72:73]
	v_mul_f64 v[6:7], s[38:39], v[72:73]
	v_fma_f64 v[4:5], s[38:39], v[70:71], -v[4:5]
	v_fmac_f64_e32 v[6:7], s[40:41], v[70:71]
	global_store_dwordx4 v[28:29], v[4:7], off
	v_lshl_add_u64 v[24:25], v[24:25], 0, v[26:27]
	s_mov_b64 s[2:3], 0x300
	v_mul_f64 v[4:5], s[40:41], v[64:65]
	v_mul_f64 v[6:7], s[38:39], v[64:65]
	v_fma_f64 v[4:5], s[38:39], v[60:61], -v[4:5]
	v_fmac_f64_e32 v[6:7], s[40:41], v[60:61]
	global_store_dwordx4 v[28:29], v[4:7], off offset:256
	s_nop 1
	v_mul_f64 v[4:5], s[40:41], v[52:53]
	v_mul_f64 v[6:7], s[38:39], v[52:53]
	v_fma_f64 v[4:5], s[38:39], v[48:49], -v[4:5]
	v_fmac_f64_e32 v[6:7], s[40:41], v[48:49]
	global_store_dwordx4 v[28:29], v[4:7], off offset:512
	s_nop 1
	;; [unrolled: 6-line block ×3, first 2 shown]
	v_mul_f64 v[4:5], s[40:41], v[80:81]
	v_mul_f64 v[6:7], s[38:39], v[80:81]
	v_fma_f64 v[4:5], s[38:39], v[78:79], -v[4:5]
	v_fmac_f64_e32 v[6:7], s[40:41], v[78:79]
	global_store_dwordx4 v[24:25], v[4:7], off
	s_nop 1
	v_mul_f64 v[4:5], s[40:41], v[18:19]
	v_mul_f64 v[6:7], s[38:39], v[18:19]
	v_fma_f64 v[4:5], s[38:39], v[16:17], -v[4:5]
	v_fmac_f64_e32 v[6:7], s[40:41], v[16:17]
	global_store_dwordx4 v[24:25], v[4:7], off offset:256
	s_nop 1
	v_mul_f64 v[4:5], s[40:41], v[14:15]
	v_mul_f64 v[6:7], s[38:39], v[14:15]
	v_fma_f64 v[4:5], s[38:39], v[12:13], -v[4:5]
	v_fmac_f64_e32 v[6:7], s[40:41], v[12:13]
	global_store_dwordx4 v[24:25], v[4:7], off offset:512
	s_nop 1
	v_mul_f64 v[4:5], s[40:41], v[10:11]
	v_fma_f64 v[26:27], s[38:39], v[8:9], -v[4:5]
	v_mul_f64 v[4:5], s[38:39], v[10:11]
	v_fmac_f64_e32 v[4:5], s[40:41], v[8:9]
	v_lshl_add_u64 v[6:7], v[24:25], 0, s[2:3]
	global_store_dwordx2 v[24:25], v[26:27], off offset:768
	s_andn2_b64 vcc, exec, s[6:7]
	s_cbranch_vccz .LBB121_7
	s_branch .LBB121_8
.LBB121_6:
                                        ; implicit-def: $vgpr4_vgpr5
                                        ; implicit-def: $vgpr6_vgpr7
.LBB121_7:
	s_mul_i32 s2, s19, s4
	s_mul_hi_u32 s3, s18, s4
	s_add_i32 s3, s3, s2
	s_mul_i32 s2, s18, s4
	s_lshl_b64 s[2:3], s[2:3], 4
	s_add_u32 s2, s14, s2
	v_mul_lo_u32 v6, v3, s16
	v_mul_lo_u32 v7, v2, s17
	v_mad_u64_u32 v[4:5], s[4:5], v2, s16, 0
	s_addc_u32 s3, s15, s3
	v_add3_u32 v5, v5, v7, v6
	v_lshl_add_u64 v[24:25], v[4:5], 4, s[2:3]
	v_lshlrev_b64 v[0:1], 4, v[0:1]
	v_lshl_add_u64 v[26:27], v[24:25], 0, v[0:1]
	global_load_dwordx4 v[4:7], v[26:27], off
	v_mul_lo_u32 v32, v3, s22
	v_mul_lo_u32 v33, v2, s23
	v_mad_u64_u32 v[2:3], s[2:3], v2, s22, 0
	v_add3_u32 v3, v3, v33, v32
	v_mul_f64 v[28:29], s[40:41], v[56:57]
	v_mul_f64 v[30:31], s[38:39], v[56:57]
	v_lshl_add_u64 v[32:33], v[2:3], 4, s[0:1]
	v_fma_f64 v[28:29], s[38:39], v[54:55], -v[28:29]
	v_fmac_f64_e32 v[30:31], s[40:41], v[54:55]
	v_lshl_add_u64 v[54:55], v[32:33], 0, v[0:1]
	s_lshl_b64 s[0:1], s[16:17], 8
	s_lshl_b64 s[2:3], s[22:23], 8
	s_waitcnt vmcnt(0)
	v_mul_f64 v[2:3], s[12:13], v[6:7]
	v_mul_f64 v[6:7], s[10:11], v[6:7]
	v_fma_f64 v[2:3], s[10:11], v[4:5], -v[2:3]
	v_fmac_f64_e32 v[6:7], s[12:13], v[4:5]
	v_add_f64 v[2:3], v[28:29], v[2:3]
	v_add_f64 v[4:5], v[30:31], v[6:7]
	global_store_dwordx4 v[54:55], v[2:5], off
	global_load_dwordx4 v[2:5], v[26:27], off offset:256
	v_mul_f64 v[6:7], s[40:41], v[40:41]
	v_mul_f64 v[28:29], s[38:39], v[40:41]
	v_fma_f64 v[6:7], s[38:39], v[38:39], -v[6:7]
	v_fmac_f64_e32 v[28:29], s[40:41], v[38:39]
	s_waitcnt vmcnt(0)
	v_mul_f64 v[30:31], s[12:13], v[4:5]
	v_mul_f64 v[4:5], s[10:11], v[4:5]
	v_fma_f64 v[30:31], s[10:11], v[2:3], -v[30:31]
	v_fmac_f64_e32 v[4:5], s[12:13], v[2:3]
	v_add_f64 v[2:3], v[6:7], v[30:31]
	v_add_f64 v[4:5], v[28:29], v[4:5]
	global_store_dwordx4 v[54:55], v[2:5], off offset:256
	global_load_dwordx4 v[2:5], v[26:27], off offset:512
	v_mul_f64 v[6:7], s[40:41], v[36:37]
	v_mul_f64 v[28:29], s[38:39], v[36:37]
	v_fma_f64 v[6:7], s[38:39], v[34:35], -v[6:7]
	v_fmac_f64_e32 v[28:29], s[40:41], v[34:35]
	s_waitcnt vmcnt(0)
	v_mul_f64 v[30:31], s[12:13], v[4:5]
	v_mul_f64 v[4:5], s[10:11], v[4:5]
	v_fma_f64 v[30:31], s[10:11], v[2:3], -v[30:31]
	v_fmac_f64_e32 v[4:5], s[12:13], v[2:3]
	v_add_f64 v[2:3], v[6:7], v[30:31]
	v_add_f64 v[4:5], v[28:29], v[4:5]
	global_store_dwordx4 v[54:55], v[2:5], off offset:512
	global_load_dwordx4 v[2:5], v[26:27], off offset:768
	v_mul_f64 v[6:7], s[40:41], v[22:23]
	v_mul_f64 v[22:23], s[38:39], v[22:23]
	v_fma_f64 v[6:7], s[38:39], v[20:21], -v[6:7]
	v_fmac_f64_e32 v[22:23], s[40:41], v[20:21]
	v_lshl_add_u64 v[20:21], v[24:25], 0, s[0:1]
	v_lshl_add_u64 v[24:25], v[20:21], 0, v[0:1]
	;; [unrolled: 1-line block ×3, first 2 shown]
	s_waitcnt vmcnt(0)
	v_mul_f64 v[26:27], s[12:13], v[4:5]
	v_mul_f64 v[4:5], s[10:11], v[4:5]
	v_fma_f64 v[26:27], s[10:11], v[2:3], -v[26:27]
	v_fmac_f64_e32 v[4:5], s[12:13], v[2:3]
	v_add_f64 v[2:3], v[6:7], v[26:27]
	v_add_f64 v[4:5], v[22:23], v[4:5]
	global_store_dwordx4 v[54:55], v[2:5], off offset:768
	global_load_dwordx4 v[2:5], v[24:25], off
	v_mul_f64 v[6:7], s[40:41], v[76:77]
	v_mul_f64 v[22:23], s[38:39], v[76:77]
	v_fma_f64 v[6:7], s[38:39], v[74:75], -v[6:7]
	v_fmac_f64_e32 v[22:23], s[40:41], v[74:75]
	v_lshl_add_u64 v[26:27], v[32:33], 0, s[2:3]
	v_lshl_add_u64 v[28:29], v[26:27], 0, v[0:1]
	;; [unrolled: 1-line block ×3, first 2 shown]
	s_waitcnt vmcnt(0)
	v_mul_f64 v[30:31], s[12:13], v[4:5]
	v_mul_f64 v[4:5], s[10:11], v[4:5]
	v_fma_f64 v[30:31], s[10:11], v[2:3], -v[30:31]
	v_fmac_f64_e32 v[4:5], s[12:13], v[2:3]
	v_add_f64 v[2:3], v[6:7], v[30:31]
	v_add_f64 v[4:5], v[22:23], v[4:5]
	global_store_dwordx4 v[28:29], v[2:5], off
	global_load_dwordx4 v[2:5], v[24:25], off offset:256
	v_mul_f64 v[6:7], s[40:41], v[68:69]
	v_mul_f64 v[22:23], s[38:39], v[68:69]
	v_fma_f64 v[6:7], s[38:39], v[66:67], -v[6:7]
	v_fmac_f64_e32 v[22:23], s[40:41], v[66:67]
	s_waitcnt vmcnt(0)
	v_mul_f64 v[30:31], s[12:13], v[4:5]
	v_mul_f64 v[4:5], s[10:11], v[4:5]
	v_fma_f64 v[30:31], s[10:11], v[2:3], -v[30:31]
	v_fmac_f64_e32 v[4:5], s[12:13], v[2:3]
	v_add_f64 v[2:3], v[6:7], v[30:31]
	v_add_f64 v[4:5], v[22:23], v[4:5]
	global_store_dwordx4 v[28:29], v[2:5], off offset:256
	global_load_dwordx4 v[2:5], v[24:25], off offset:512
	v_mul_f64 v[6:7], s[40:41], v[62:63]
	v_mul_f64 v[22:23], s[38:39], v[62:63]
	v_fma_f64 v[6:7], s[38:39], v[58:59], -v[6:7]
	v_fmac_f64_e32 v[22:23], s[40:41], v[58:59]
	s_waitcnt vmcnt(0)
	v_mul_f64 v[30:31], s[12:13], v[4:5]
	v_mul_f64 v[4:5], s[10:11], v[4:5]
	v_fma_f64 v[30:31], s[10:11], v[2:3], -v[30:31]
	v_fmac_f64_e32 v[4:5], s[12:13], v[2:3]
	v_add_f64 v[2:3], v[6:7], v[30:31]
	v_add_f64 v[4:5], v[22:23], v[4:5]
	global_store_dwordx4 v[28:29], v[2:5], off offset:512
	global_load_dwordx4 v[2:5], v[24:25], off offset:768
	v_mul_f64 v[6:7], s[40:41], v[50:51]
	v_mul_f64 v[22:23], s[38:39], v[50:51]
	v_fma_f64 v[6:7], s[38:39], v[46:47], -v[6:7]
	v_fmac_f64_e32 v[22:23], s[40:41], v[46:47]
	v_lshl_add_u64 v[24:25], v[20:21], 0, v[0:1]
	v_lshl_add_u64 v[20:21], v[20:21], 0, s[0:1]
	;; [unrolled: 1-line block ×3, first 2 shown]
	s_mov_b64 s[0:1], 0x300
	s_waitcnt vmcnt(0)
	v_mul_f64 v[30:31], s[12:13], v[4:5]
	v_mul_f64 v[4:5], s[10:11], v[4:5]
	v_fma_f64 v[30:31], s[10:11], v[2:3], -v[30:31]
	v_fmac_f64_e32 v[4:5], s[12:13], v[2:3]
	v_add_f64 v[2:3], v[6:7], v[30:31]
	v_add_f64 v[4:5], v[22:23], v[4:5]
	global_store_dwordx4 v[28:29], v[2:5], off offset:768
	global_load_dwordx4 v[2:5], v[24:25], off
	v_mul_f64 v[6:7], s[40:41], v[72:73]
	v_mul_f64 v[22:23], s[38:39], v[72:73]
	v_fma_f64 v[6:7], s[38:39], v[70:71], -v[6:7]
	v_fmac_f64_e32 v[22:23], s[40:41], v[70:71]
	v_lshl_add_u64 v[28:29], v[26:27], 0, v[0:1]
	s_waitcnt vmcnt(0)
	v_mul_f64 v[30:31], s[12:13], v[4:5]
	v_mul_f64 v[4:5], s[10:11], v[4:5]
	v_fma_f64 v[30:31], s[10:11], v[2:3], -v[30:31]
	v_fmac_f64_e32 v[4:5], s[12:13], v[2:3]
	v_add_f64 v[2:3], v[6:7], v[30:31]
	v_add_f64 v[4:5], v[22:23], v[4:5]
	global_store_dwordx4 v[28:29], v[2:5], off
	global_load_dwordx4 v[2:5], v[24:25], off offset:256
	v_mul_f64 v[6:7], s[40:41], v[64:65]
	v_mul_f64 v[22:23], s[38:39], v[64:65]
	v_fma_f64 v[6:7], s[38:39], v[60:61], -v[6:7]
	v_fmac_f64_e32 v[22:23], s[40:41], v[60:61]
	s_waitcnt vmcnt(0)
	v_mul_f64 v[30:31], s[12:13], v[4:5]
	v_mul_f64 v[4:5], s[10:11], v[4:5]
	v_fma_f64 v[30:31], s[10:11], v[2:3], -v[30:31]
	v_fmac_f64_e32 v[4:5], s[12:13], v[2:3]
	v_add_f64 v[2:3], v[6:7], v[30:31]
	v_add_f64 v[4:5], v[22:23], v[4:5]
	global_store_dwordx4 v[28:29], v[2:5], off offset:256
	global_load_dwordx4 v[2:5], v[24:25], off offset:512
	v_mul_f64 v[6:7], s[40:41], v[52:53]
	v_mul_f64 v[22:23], s[38:39], v[52:53]
	v_fma_f64 v[6:7], s[38:39], v[48:49], -v[6:7]
	v_fmac_f64_e32 v[22:23], s[40:41], v[48:49]
	s_waitcnt vmcnt(0)
	v_mul_f64 v[30:31], s[12:13], v[4:5]
	v_mul_f64 v[4:5], s[10:11], v[4:5]
	v_fma_f64 v[30:31], s[10:11], v[2:3], -v[30:31]
	v_fmac_f64_e32 v[4:5], s[12:13], v[2:3]
	v_add_f64 v[2:3], v[6:7], v[30:31]
	v_add_f64 v[4:5], v[22:23], v[4:5]
	global_store_dwordx4 v[28:29], v[2:5], off offset:512
	;; [unrolled: 13-line block ×3, first 2 shown]
	global_load_dwordx4 v[2:5], v[20:21], off
	v_lshl_add_u64 v[24:25], v[26:27], 0, s[2:3]
	v_mul_f64 v[6:7], s[40:41], v[80:81]
	v_mul_f64 v[22:23], s[38:39], v[80:81]
	v_lshl_add_u64 v[24:25], v[24:25], 0, v[0:1]
	v_fma_f64 v[6:7], s[38:39], v[78:79], -v[6:7]
	v_fmac_f64_e32 v[22:23], s[40:41], v[78:79]
	s_waitcnt vmcnt(0)
	v_mul_f64 v[0:1], s[12:13], v[4:5]
	v_mul_f64 v[4:5], s[10:11], v[4:5]
	v_fma_f64 v[0:1], s[10:11], v[2:3], -v[0:1]
	v_fmac_f64_e32 v[4:5], s[12:13], v[2:3]
	v_add_f64 v[0:1], v[6:7], v[0:1]
	v_add_f64 v[2:3], v[22:23], v[4:5]
	global_store_dwordx4 v[24:25], v[0:3], off
	global_load_dwordx4 v[0:3], v[20:21], off offset:256
	v_mul_f64 v[4:5], s[40:41], v[18:19]
	v_mul_f64 v[6:7], s[38:39], v[18:19]
	v_fma_f64 v[4:5], s[38:39], v[16:17], -v[4:5]
	v_fmac_f64_e32 v[6:7], s[40:41], v[16:17]
	s_waitcnt vmcnt(0)
	v_mul_f64 v[16:17], s[12:13], v[2:3]
	v_mul_f64 v[2:3], s[10:11], v[2:3]
	v_fma_f64 v[16:17], s[10:11], v[0:1], -v[16:17]
	v_fmac_f64_e32 v[2:3], s[12:13], v[0:1]
	v_add_f64 v[0:1], v[4:5], v[16:17]
	v_add_f64 v[2:3], v[6:7], v[2:3]
	global_store_dwordx4 v[24:25], v[0:3], off offset:256
	global_load_dwordx4 v[0:3], v[20:21], off offset:512
	v_mul_f64 v[4:5], s[40:41], v[14:15]
	v_mul_f64 v[6:7], s[38:39], v[14:15]
	v_fma_f64 v[4:5], s[38:39], v[12:13], -v[4:5]
	v_fmac_f64_e32 v[6:7], s[40:41], v[12:13]
	s_waitcnt vmcnt(0)
	v_mul_f64 v[12:13], s[12:13], v[2:3]
	v_mul_f64 v[2:3], s[10:11], v[2:3]
	v_fma_f64 v[12:13], s[10:11], v[0:1], -v[12:13]
	v_fmac_f64_e32 v[2:3], s[12:13], v[0:1]
	v_add_f64 v[0:1], v[4:5], v[12:13]
	v_add_f64 v[2:3], v[6:7], v[2:3]
	global_store_dwordx4 v[24:25], v[0:3], off offset:512
	global_load_dwordx4 v[0:3], v[20:21], off offset:768
	v_mul_f64 v[4:5], s[40:41], v[10:11]
	v_mul_f64 v[6:7], s[38:39], v[10:11]
	v_fma_f64 v[4:5], s[38:39], v[8:9], -v[4:5]
	v_fmac_f64_e32 v[6:7], s[40:41], v[8:9]
	s_waitcnt vmcnt(0)
	v_mul_f64 v[8:9], s[12:13], v[2:3]
	v_mul_f64 v[2:3], s[10:11], v[2:3]
	v_fma_f64 v[8:9], s[10:11], v[0:1], -v[8:9]
	v_fmac_f64_e32 v[2:3], s[12:13], v[0:1]
	v_add_f64 v[0:1], v[4:5], v[8:9]
	v_add_f64 v[4:5], v[6:7], v[2:3]
	v_lshl_add_u64 v[6:7], v[24:25], 0, s[0:1]
	global_store_dwordx2 v[24:25], v[0:1], off offset:768
.LBB121_8:
	global_store_dwordx2 v[6:7], v[4:5], off offset:8
	s_endpgm
	.section	.rodata,"a",@progbits
	.p2align	6, 0x0
	.amdhsa_kernel _ZN12_GLOBAL__N_127rocblas_gemm_batched_kernelI19rocblas_complex_numIdELi16ELi16ELi64ELi64ELi4ELi64ELi4ELi4ELi64ELc84ELc84EKS2_S3_S2_EEvlllT_PT11_llS6_llS4_PT12_llPT13_lli
		.amdhsa_group_segment_fixed_size 8192
		.amdhsa_private_segment_fixed_size 0
		.amdhsa_kernarg_size 156
		.amdhsa_user_sgpr_count 2
		.amdhsa_user_sgpr_dispatch_ptr 0
		.amdhsa_user_sgpr_queue_ptr 0
		.amdhsa_user_sgpr_kernarg_segment_ptr 1
		.amdhsa_user_sgpr_dispatch_id 0
		.amdhsa_user_sgpr_kernarg_preload_length 0
		.amdhsa_user_sgpr_kernarg_preload_offset 0
		.amdhsa_user_sgpr_private_segment_size 0
		.amdhsa_uses_dynamic_stack 0
		.amdhsa_enable_private_segment 0
		.amdhsa_system_sgpr_workgroup_id_x 1
		.amdhsa_system_sgpr_workgroup_id_y 1
		.amdhsa_system_sgpr_workgroup_id_z 1
		.amdhsa_system_sgpr_workgroup_info 0
		.amdhsa_system_vgpr_workitem_id 1
		.amdhsa_next_free_vgpr 138
		.amdhsa_next_free_sgpr 52
		.amdhsa_accum_offset 140
		.amdhsa_reserve_vcc 1
		.amdhsa_float_round_mode_32 0
		.amdhsa_float_round_mode_16_64 0
		.amdhsa_float_denorm_mode_32 3
		.amdhsa_float_denorm_mode_16_64 3
		.amdhsa_dx10_clamp 1
		.amdhsa_ieee_mode 1
		.amdhsa_fp16_overflow 0
		.amdhsa_tg_split 0
		.amdhsa_exception_fp_ieee_invalid_op 0
		.amdhsa_exception_fp_denorm_src 0
		.amdhsa_exception_fp_ieee_div_zero 0
		.amdhsa_exception_fp_ieee_overflow 0
		.amdhsa_exception_fp_ieee_underflow 0
		.amdhsa_exception_fp_ieee_inexact 0
		.amdhsa_exception_int_div_zero 0
	.end_amdhsa_kernel
	.section	.text._ZN12_GLOBAL__N_127rocblas_gemm_batched_kernelI19rocblas_complex_numIdELi16ELi16ELi64ELi64ELi4ELi64ELi4ELi4ELi64ELc84ELc84EKS2_S3_S2_EEvlllT_PT11_llS6_llS4_PT12_llPT13_lli,"axG",@progbits,_ZN12_GLOBAL__N_127rocblas_gemm_batched_kernelI19rocblas_complex_numIdELi16ELi16ELi64ELi64ELi4ELi64ELi4ELi4ELi64ELc84ELc84EKS2_S3_S2_EEvlllT_PT11_llS6_llS4_PT12_llPT13_lli,comdat
.Lfunc_end121:
	.size	_ZN12_GLOBAL__N_127rocblas_gemm_batched_kernelI19rocblas_complex_numIdELi16ELi16ELi64ELi64ELi4ELi64ELi4ELi4ELi64ELc84ELc84EKS2_S3_S2_EEvlllT_PT11_llS6_llS4_PT12_llPT13_lli, .Lfunc_end121-_ZN12_GLOBAL__N_127rocblas_gemm_batched_kernelI19rocblas_complex_numIdELi16ELi16ELi64ELi64ELi4ELi64ELi4ELi4ELi64ELc84ELc84EKS2_S3_S2_EEvlllT_PT11_llS6_llS4_PT12_llPT13_lli
                                        ; -- End function
	.set _ZN12_GLOBAL__N_127rocblas_gemm_batched_kernelI19rocblas_complex_numIdELi16ELi16ELi64ELi64ELi4ELi64ELi4ELi4ELi64ELc84ELc84EKS2_S3_S2_EEvlllT_PT11_llS6_llS4_PT12_llPT13_lli.num_vgpr, 138
	.set _ZN12_GLOBAL__N_127rocblas_gemm_batched_kernelI19rocblas_complex_numIdELi16ELi16ELi64ELi64ELi4ELi64ELi4ELi4ELi64ELc84ELc84EKS2_S3_S2_EEvlllT_PT11_llS6_llS4_PT12_llPT13_lli.num_agpr, 0
	.set _ZN12_GLOBAL__N_127rocblas_gemm_batched_kernelI19rocblas_complex_numIdELi16ELi16ELi64ELi64ELi4ELi64ELi4ELi4ELi64ELc84ELc84EKS2_S3_S2_EEvlllT_PT11_llS6_llS4_PT12_llPT13_lli.numbered_sgpr, 52
	.set _ZN12_GLOBAL__N_127rocblas_gemm_batched_kernelI19rocblas_complex_numIdELi16ELi16ELi64ELi64ELi4ELi64ELi4ELi4ELi64ELc84ELc84EKS2_S3_S2_EEvlllT_PT11_llS6_llS4_PT12_llPT13_lli.num_named_barrier, 0
	.set _ZN12_GLOBAL__N_127rocblas_gemm_batched_kernelI19rocblas_complex_numIdELi16ELi16ELi64ELi64ELi4ELi64ELi4ELi4ELi64ELc84ELc84EKS2_S3_S2_EEvlllT_PT11_llS6_llS4_PT12_llPT13_lli.private_seg_size, 0
	.set _ZN12_GLOBAL__N_127rocblas_gemm_batched_kernelI19rocblas_complex_numIdELi16ELi16ELi64ELi64ELi4ELi64ELi4ELi4ELi64ELc84ELc84EKS2_S3_S2_EEvlllT_PT11_llS6_llS4_PT12_llPT13_lli.uses_vcc, 1
	.set _ZN12_GLOBAL__N_127rocblas_gemm_batched_kernelI19rocblas_complex_numIdELi16ELi16ELi64ELi64ELi4ELi64ELi4ELi4ELi64ELc84ELc84EKS2_S3_S2_EEvlllT_PT11_llS6_llS4_PT12_llPT13_lli.uses_flat_scratch, 0
	.set _ZN12_GLOBAL__N_127rocblas_gemm_batched_kernelI19rocblas_complex_numIdELi16ELi16ELi64ELi64ELi4ELi64ELi4ELi4ELi64ELc84ELc84EKS2_S3_S2_EEvlllT_PT11_llS6_llS4_PT12_llPT13_lli.has_dyn_sized_stack, 0
	.set _ZN12_GLOBAL__N_127rocblas_gemm_batched_kernelI19rocblas_complex_numIdELi16ELi16ELi64ELi64ELi4ELi64ELi4ELi4ELi64ELc84ELc84EKS2_S3_S2_EEvlllT_PT11_llS6_llS4_PT12_llPT13_lli.has_recursion, 0
	.set _ZN12_GLOBAL__N_127rocblas_gemm_batched_kernelI19rocblas_complex_numIdELi16ELi16ELi64ELi64ELi4ELi64ELi4ELi4ELi64ELc84ELc84EKS2_S3_S2_EEvlllT_PT11_llS6_llS4_PT12_llPT13_lli.has_indirect_call, 0
	.section	.AMDGPU.csdata,"",@progbits
; Kernel info:
; codeLenInByte = 6448
; TotalNumSgprs: 58
; NumVgprs: 138
; NumAgprs: 0
; TotalNumVgprs: 138
; ScratchSize: 0
; MemoryBound: 0
; FloatMode: 240
; IeeeMode: 1
; LDSByteSize: 8192 bytes/workgroup (compile time only)
; SGPRBlocks: 7
; VGPRBlocks: 17
; NumSGPRsForWavesPerEU: 58
; NumVGPRsForWavesPerEU: 138
; AccumOffset: 140
; Occupancy: 3
; WaveLimiterHint : 1
; COMPUTE_PGM_RSRC2:SCRATCH_EN: 0
; COMPUTE_PGM_RSRC2:USER_SGPR: 2
; COMPUTE_PGM_RSRC2:TRAP_HANDLER: 0
; COMPUTE_PGM_RSRC2:TGID_X_EN: 1
; COMPUTE_PGM_RSRC2:TGID_Y_EN: 1
; COMPUTE_PGM_RSRC2:TGID_Z_EN: 1
; COMPUTE_PGM_RSRC2:TIDIG_COMP_CNT: 1
; COMPUTE_PGM_RSRC3_GFX90A:ACCUM_OFFSET: 34
; COMPUTE_PGM_RSRC3_GFX90A:TG_SPLIT: 0
	.section	.text._ZN12_GLOBAL__N_127rocblas_gemm_batched_kernelI19rocblas_complex_numIdELi16ELi16ELi64ELi64ELi4ELi64ELi4ELi4ELi64ELc67ELc67EKS2_S3_S2_EEvlllT_PT11_llS6_llS4_PT12_llPT13_lli,"axG",@progbits,_ZN12_GLOBAL__N_127rocblas_gemm_batched_kernelI19rocblas_complex_numIdELi16ELi16ELi64ELi64ELi4ELi64ELi4ELi4ELi64ELc67ELc67EKS2_S3_S2_EEvlllT_PT11_llS6_llS4_PT12_llPT13_lli,comdat
	.globl	_ZN12_GLOBAL__N_127rocblas_gemm_batched_kernelI19rocblas_complex_numIdELi16ELi16ELi64ELi64ELi4ELi64ELi4ELi4ELi64ELc67ELc67EKS2_S3_S2_EEvlllT_PT11_llS6_llS4_PT12_llPT13_lli ; -- Begin function _ZN12_GLOBAL__N_127rocblas_gemm_batched_kernelI19rocblas_complex_numIdELi16ELi16ELi64ELi64ELi4ELi64ELi4ELi4ELi64ELc67ELc67EKS2_S3_S2_EEvlllT_PT11_llS6_llS4_PT12_llPT13_lli
	.p2align	8
	.type	_ZN12_GLOBAL__N_127rocblas_gemm_batched_kernelI19rocblas_complex_numIdELi16ELi16ELi64ELi64ELi4ELi64ELi4ELi4ELi64ELc67ELc67EKS2_S3_S2_EEvlllT_PT11_llS6_llS4_PT12_llPT13_lli,@function
_ZN12_GLOBAL__N_127rocblas_gemm_batched_kernelI19rocblas_complex_numIdELi16ELi16ELi64ELi64ELi4ELi64ELi4ELi4ELi64ELc67ELc67EKS2_S3_S2_EEvlllT_PT11_llS6_llS4_PT12_llPT13_lli: ; @_ZN12_GLOBAL__N_127rocblas_gemm_batched_kernelI19rocblas_complex_numIdELi16ELi16ELi64ELi64ELi4ELi64ELi4ELi4ELi64ELc67ELc67EKS2_S3_S2_EEvlllT_PT11_llS6_llS4_PT12_llPT13_lli
; %bb.0:
	s_load_dwordx16 s[36:51], s[0:1], 0x10
	s_load_dwordx16 s[8:23], s[0:1], 0x50
	s_mov_b32 s6, s3
	v_mov_b32_e32 v27, 0
	s_ashr_i32 s3, s2, 31
	s_ashr_i32 s7, s6, 31
	s_waitcnt lgkmcnt(0)
	v_cmp_lt_i64_e64 s[24:25], s[36:37], 1
	v_bfe_u32 v26, v0, 10, 10
	v_and_b32_e32 v24, 0x3ff, v0
	v_mov_b32_e32 v25, v27
	s_lshl_b64 s[2:3], s[2:3], 6
	s_lshl_b64 s[6:7], s[6:7], 6
	s_and_b64 vcc, exec, s[24:25]
	s_cbranch_vccnz .LBB122_3
; %bb.1:
	v_lshl_add_u32 v6, v26, 4, v24
	v_lshrrev_b32_e32 v0, 2, v6
	v_mov_b32_e32 v1, v27
	v_lshl_add_u64 v[2:3], v[0:1], 0, s[6:7]
	v_and_b32_e32 v1, 3, v24
	v_mad_u64_u32 v[2:3], s[24:25], s50, v1, v[2:3]
	v_mov_b32_e32 v4, v3
	v_mad_u64_u32 v[4:5], s[24:25], s51, v1, v[4:5]
	v_lshlrev_b32_e32 v1, 4, v1
	v_lshl_or_b32 v0, v0, 6, v1
	v_mov_b32_e32 v3, v4
	v_and_b32_e32 v4, 63, v6
	v_mov_b32_e32 v5, v27
	v_add_u32_e32 v111, 0x1000, v0
	v_mov_b32_e32 v0, 0x1000
	v_lshl_add_u32 v113, v26, 6, v0
	v_lshl_add_u64 v[0:1], s[2:3], 0, v[4:5]
	v_lshlrev_b32_e32 v7, 4, v4
	v_mul_lo_u32 v4, s45, v0
	v_mul_lo_u32 v5, s44, v1
	v_mad_u64_u32 v[0:1], s[24:25], s44, v0, 0
	s_mul_i32 s5, s47, s4
	s_mul_hi_u32 s24, s46, s4
	s_add_i32 s25, s24, s5
	s_mul_i32 s24, s46, s4
	s_mul_i32 s5, s9, s4
	s_mul_hi_u32 s9, s8, s4
	v_lshrrev_b32_e32 v6, 6, v6
	v_add3_u32 v1, v1, v5, v4
	s_lshl_b64 s[24:25], s[24:25], 4
	s_add_i32 s9, s9, s5
	s_mul_i32 s8, s8, s4
	v_lshl_add_u64 v[0:1], v[0:1], 4, s[24:25]
	v_lshlrev_b32_e32 v4, 4, v6
	v_mov_b32_e32 v5, v27
	s_lshl_b64 s[8:9], s[8:9], 4
	v_lshl_add_u64 v[0:1], v[0:1], 0, v[4:5]
	s_add_u32 s8, s48, s8
	v_lshl_add_u64 v[0:1], s[42:43], 0, v[0:1]
	s_addc_u32 s9, s49, s9
	v_lshl_add_u64 v[28:29], v[0:1], 0, 8
	v_lshl_add_u64 v[0:1], v[2:3], 4, s[8:9]
	v_lshl_or_b32 v110, v6, 10, v7
	v_lshlrev_b32_e32 v112, 4, v24
	v_lshl_add_u64 v[30:31], v[0:1], 0, 8
	s_lshl_b64 s[8:9], s[50:51], 6
	s_mov_b64 s[24:25], 0
	v_mov_b64_e32 v[10:11], 0
	v_mov_b64_e32 v[32:33], s[36:37]
	;; [unrolled: 1-line block ×33, first 2 shown]
.LBB122_2:                              ; =>This Inner Loop Header: Depth=1
	global_load_dwordx4 v[0:3], v[28:29], off offset:-8
	s_add_u32 s24, s24, 4
	s_addc_u32 s25, s25, 0
	v_cmp_lt_i64_e32 vcc, s[24:25], v[32:33]
	v_lshl_add_u64 v[28:29], v[28:29], 0, 64
	s_and_b64 vcc, exec, vcc
	s_waitcnt vmcnt(0)
	v_xor_b32_e32 v3, 0x80000000, v3
	ds_write_b128 v110, v[0:3]
	global_load_dwordx4 v[0:3], v[30:31], off offset:-8
	v_lshl_add_u64 v[30:31], v[30:31], 0, s[8:9]
	s_waitcnt vmcnt(0)
	v_xor_b32_e32 v3, 0x80000000, v3
	ds_write_b128 v111, v[0:3]
	s_waitcnt lgkmcnt(0)
	s_barrier
	ds_read_b128 v[82:85], v113
	ds_read_b128 v[114:117], v113 offset:16
	ds_read_b128 v[4:7], v113 offset:32
	;; [unrolled: 1-line block ×3, first 2 shown]
	ds_read_b128 v[118:121], v112
	s_waitcnt lgkmcnt(0)
	v_mul_f64 v[86:87], v[84:85], v[120:121]
	v_mul_f64 v[88:89], v[82:83], v[120:121]
	v_fma_f64 v[86:87], v[82:83], v[118:119], -v[86:87]
	v_fmac_f64_e32 v[88:89], v[84:85], v[118:119]
	v_add_f64 v[122:123], v[54:55], v[86:87]
	v_add_f64 v[124:125], v[88:89], v[56:57]
	ds_read_b128 v[54:57], v112 offset:256
	s_waitcnt lgkmcnt(0)
	v_mul_f64 v[86:87], v[84:85], v[56:57]
	v_mul_f64 v[88:89], v[82:83], v[56:57]
	v_fma_f64 v[86:87], v[82:83], v[54:55], -v[86:87]
	v_fmac_f64_e32 v[88:89], v[84:85], v[54:55]
	v_add_f64 v[126:127], v[38:39], v[86:87]
	v_add_f64 v[128:129], v[88:89], v[40:41]
	ds_read_b128 v[38:41], v112 offset:512
	;; [unrolled: 8-line block ×3, first 2 shown]
	s_waitcnt lgkmcnt(0)
	v_mul_f64 v[86:87], v[84:85], v[36:37]
	v_fma_f64 v[86:87], v[82:83], v[34:35], -v[86:87]
	v_mul_f64 v[82:83], v[82:83], v[36:37]
	v_fmac_f64_e32 v[82:83], v[84:85], v[34:35]
	v_add_f64 v[134:135], v[20:21], v[86:87]
	v_add_f64 v[136:137], v[82:83], v[22:23]
	ds_read_b128 v[20:23], v113 offset:1024
	s_waitcnt lgkmcnt(0)
	v_mul_f64 v[82:83], v[22:23], v[120:121]
	v_fma_f64 v[82:83], v[20:21], v[118:119], -v[82:83]
	v_add_f64 v[74:75], v[74:75], v[82:83]
	v_mul_f64 v[82:83], v[22:23], v[56:57]
	v_mul_f64 v[84:85], v[20:21], v[120:121]
	v_fma_f64 v[82:83], v[20:21], v[54:55], -v[82:83]
	v_fmac_f64_e32 v[84:85], v[22:23], v[118:119]
	v_add_f64 v[98:99], v[66:67], v[82:83]
	v_mul_f64 v[66:67], v[22:23], v[40:41]
	v_add_f64 v[76:77], v[84:85], v[76:77]
	v_mul_f64 v[84:85], v[20:21], v[56:57]
	v_fma_f64 v[66:67], v[20:21], v[38:39], -v[66:67]
	v_fmac_f64_e32 v[84:85], v[22:23], v[54:55]
	v_add_f64 v[102:103], v[58:59], v[66:67]
	v_mul_f64 v[58:59], v[22:23], v[36:37]
	v_add_f64 v[100:101], v[84:85], v[68:69]
	v_mul_f64 v[68:69], v[20:21], v[40:41]
	v_fma_f64 v[58:59], v[20:21], v[34:35], -v[58:59]
	v_mul_f64 v[20:21], v[20:21], v[36:37]
	v_fmac_f64_e32 v[20:21], v[22:23], v[34:35]
	v_fmac_f64_e32 v[68:69], v[22:23], v[38:39]
	v_add_f64 v[108:109], v[20:21], v[50:51]
	ds_read_b128 v[20:23], v113 offset:2048
	v_add_f64 v[106:107], v[46:47], v[58:59]
	v_add_f64 v[104:105], v[68:69], v[62:63]
	s_waitcnt lgkmcnt(0)
	v_mul_f64 v[46:47], v[22:23], v[120:121]
	v_fma_f64 v[46:47], v[20:21], v[118:119], -v[46:47]
	v_add_f64 v[82:83], v[70:71], v[46:47]
	v_mul_f64 v[46:47], v[22:23], v[56:57]
	v_mul_f64 v[50:51], v[20:21], v[120:121]
	v_fma_f64 v[46:47], v[20:21], v[54:55], -v[46:47]
	v_fmac_f64_e32 v[50:51], v[22:23], v[118:119]
	v_add_f64 v[86:87], v[60:61], v[46:47]
	v_mul_f64 v[46:47], v[22:23], v[40:41]
	v_add_f64 v[84:85], v[50:51], v[72:73]
	v_mul_f64 v[50:51], v[20:21], v[56:57]
	v_fma_f64 v[46:47], v[20:21], v[38:39], -v[46:47]
	v_fmac_f64_e32 v[50:51], v[22:23], v[54:55]
	v_add_f64 v[90:91], v[48:49], v[46:47]
	v_mul_f64 v[46:47], v[22:23], v[36:37]
	v_add_f64 v[88:89], v[50:51], v[64:65]
	v_mul_f64 v[50:51], v[20:21], v[40:41]
	v_fma_f64 v[46:47], v[20:21], v[34:35], -v[46:47]
	v_mul_f64 v[20:21], v[20:21], v[36:37]
	v_fmac_f64_e32 v[20:21], v[22:23], v[34:35]
	v_fmac_f64_e32 v[50:51], v[22:23], v[38:39]
	v_add_f64 v[96:97], v[20:21], v[44:45]
	ds_read_b128 v[20:23], v113 offset:3072
	v_add_f64 v[94:95], v[42:43], v[46:47]
	v_add_f64 v[92:93], v[50:51], v[52:53]
	s_waitcnt lgkmcnt(0)
	v_mul_f64 v[42:43], v[22:23], v[120:121]
	v_mul_f64 v[44:45], v[20:21], v[120:121]
	v_fma_f64 v[42:43], v[20:21], v[118:119], -v[42:43]
	v_fmac_f64_e32 v[44:45], v[22:23], v[118:119]
	v_add_f64 v[62:63], v[78:79], v[42:43]
	v_add_f64 v[64:65], v[44:45], v[80:81]
	v_mul_f64 v[42:43], v[22:23], v[56:57]
	v_mul_f64 v[44:45], v[20:21], v[56:57]
	v_fma_f64 v[42:43], v[20:21], v[54:55], -v[42:43]
	v_fmac_f64_e32 v[44:45], v[22:23], v[54:55]
	v_add_f64 v[58:59], v[16:17], v[42:43]
	v_add_f64 v[60:61], v[44:45], v[18:19]
	;; [unrolled: 6-line block ×3, first 2 shown]
	v_mul_f64 v[12:13], v[22:23], v[36:37]
	v_mul_f64 v[14:15], v[20:21], v[36:37]
	v_fma_f64 v[12:13], v[20:21], v[34:35], -v[12:13]
	v_fmac_f64_e32 v[14:15], v[22:23], v[34:35]
	ds_read_b128 v[20:23], v112 offset:1024
	ds_read_b128 v[16:19], v112 offset:1280
	v_add_f64 v[50:51], v[8:9], v[12:13]
	v_add_f64 v[52:53], v[14:15], v[10:11]
	ds_read_b128 v[12:15], v112 offset:1536
	ds_read_b128 v[78:81], v113 offset:1040
	s_waitcnt lgkmcnt(3)
	v_mul_f64 v[8:9], v[116:117], v[22:23]
	v_mul_f64 v[10:11], v[114:115], v[22:23]
	v_fma_f64 v[8:9], v[114:115], v[20:21], -v[8:9]
	v_fmac_f64_e32 v[10:11], v[116:117], v[20:21]
	v_add_f64 v[46:47], v[122:123], v[8:9]
	v_add_f64 v[48:49], v[10:11], v[124:125]
	s_waitcnt lgkmcnt(2)
	v_mul_f64 v[8:9], v[116:117], v[18:19]
	v_mul_f64 v[10:11], v[114:115], v[18:19]
	v_fma_f64 v[8:9], v[114:115], v[16:17], -v[8:9]
	v_fmac_f64_e32 v[10:11], v[116:117], v[16:17]
	v_add_f64 v[42:43], v[126:127], v[8:9]
	v_add_f64 v[44:45], v[10:11], v[128:129]
	s_waitcnt lgkmcnt(1)
	v_mul_f64 v[8:9], v[116:117], v[14:15]
	v_mul_f64 v[10:11], v[114:115], v[14:15]
	v_fma_f64 v[8:9], v[114:115], v[12:13], -v[8:9]
	v_fmac_f64_e32 v[10:11], v[116:117], v[12:13]
	v_add_f64 v[38:39], v[130:131], v[8:9]
	v_add_f64 v[40:41], v[10:11], v[132:133]
	ds_read_b128 v[8:11], v112 offset:1792
	s_waitcnt lgkmcnt(1)
	v_mul_f64 v[70:71], v[80:81], v[18:19]
	v_mul_f64 v[72:73], v[78:79], v[18:19]
	;; [unrolled: 1-line block ×4, first 2 shown]
	v_fma_f64 v[70:71], v[78:79], v[16:17], -v[70:71]
	v_fmac_f64_e32 v[72:73], v[80:81], v[16:17]
	v_fma_f64 v[66:67], v[78:79], v[20:21], -v[66:67]
	v_fmac_f64_e32 v[68:69], v[80:81], v[20:21]
	v_add_f64 v[70:71], v[98:99], v[70:71]
	v_add_f64 v[72:73], v[72:73], v[100:101]
	s_waitcnt lgkmcnt(0)
	v_mul_f64 v[98:99], v[80:81], v[10:11]
	v_mul_f64 v[100:101], v[78:79], v[10:11]
	v_add_f64 v[66:67], v[74:75], v[66:67]
	v_add_f64 v[68:69], v[68:69], v[76:77]
	v_mul_f64 v[74:75], v[80:81], v[14:15]
	v_mul_f64 v[76:77], v[78:79], v[14:15]
	v_fma_f64 v[98:99], v[78:79], v[8:9], -v[98:99]
	v_fmac_f64_e32 v[100:101], v[80:81], v[8:9]
	v_fma_f64 v[74:75], v[78:79], v[12:13], -v[74:75]
	v_fmac_f64_e32 v[76:77], v[80:81], v[12:13]
	v_add_f64 v[78:79], v[106:107], v[98:99]
	v_add_f64 v[80:81], v[100:101], v[108:109]
	ds_read_b128 v[98:101], v113 offset:2064
	v_add_f64 v[74:75], v[102:103], v[74:75]
	v_add_f64 v[76:77], v[76:77], v[104:105]
	v_mul_f64 v[34:35], v[116:117], v[10:11]
	v_mul_f64 v[36:37], v[114:115], v[10:11]
	s_waitcnt lgkmcnt(0)
	v_mul_f64 v[102:103], v[100:101], v[22:23]
	v_mul_f64 v[104:105], v[98:99], v[22:23]
	v_fma_f64 v[102:103], v[98:99], v[20:21], -v[102:103]
	v_fmac_f64_e32 v[104:105], v[100:101], v[20:21]
	v_add_f64 v[82:83], v[82:83], v[102:103]
	v_add_f64 v[84:85], v[104:105], v[84:85]
	v_mul_f64 v[102:103], v[100:101], v[18:19]
	v_mul_f64 v[104:105], v[98:99], v[18:19]
	v_fma_f64 v[102:103], v[98:99], v[16:17], -v[102:103]
	v_fmac_f64_e32 v[104:105], v[100:101], v[16:17]
	v_add_f64 v[86:87], v[86:87], v[102:103]
	v_add_f64 v[88:89], v[104:105], v[88:89]
	;; [unrolled: 6-line block ×4, first 2 shown]
	ds_read_b128 v[94:97], v113 offset:3088
	v_fma_f64 v[34:35], v[114:115], v[8:9], -v[34:35]
	v_fmac_f64_e32 v[36:37], v[116:117], v[8:9]
	v_add_f64 v[36:37], v[36:37], v[136:137]
	v_add_f64 v[34:35], v[134:135], v[34:35]
	s_waitcnt lgkmcnt(0)
	v_mul_f64 v[102:103], v[96:97], v[22:23]
	v_mul_f64 v[22:23], v[94:95], v[22:23]
	v_fma_f64 v[102:103], v[94:95], v[20:21], -v[102:103]
	v_fmac_f64_e32 v[22:23], v[96:97], v[20:21]
	v_mul_f64 v[20:21], v[96:97], v[18:19]
	v_mul_f64 v[18:19], v[94:95], v[18:19]
	v_fma_f64 v[20:21], v[94:95], v[16:17], -v[20:21]
	v_fmac_f64_e32 v[18:19], v[96:97], v[16:17]
	;; [unrolled: 4-line block ×3, first 2 shown]
	v_mul_f64 v[12:13], v[96:97], v[10:11]
	v_mul_f64 v[10:11], v[94:95], v[10:11]
	v_fmac_f64_e32 v[10:11], v[96:97], v[8:9]
	v_fma_f64 v[12:13], v[94:95], v[8:9], -v[12:13]
	v_add_f64 v[116:117], v[10:11], v[52:53]
	ds_read_b128 v[8:11], v112 offset:2048
	v_add_f64 v[56:57], v[14:15], v[56:57]
	v_add_f64 v[114:115], v[50:51], v[12:13]
	;; [unrolled: 1-line block ×4, first 2 shown]
	s_waitcnt lgkmcnt(0)
	v_mul_f64 v[12:13], v[6:7], v[10:11]
	v_mul_f64 v[14:15], v[4:5], v[10:11]
	v_fma_f64 v[12:13], v[4:5], v[8:9], -v[12:13]
	v_fmac_f64_e32 v[14:15], v[6:7], v[8:9]
	v_add_f64 v[118:119], v[46:47], v[12:13]
	v_add_f64 v[120:121], v[14:15], v[48:49]
	ds_read_b128 v[12:15], v112 offset:2304
	v_add_f64 v[104:105], v[22:23], v[64:65]
	v_add_f64 v[106:107], v[58:59], v[20:21]
	;; [unrolled: 1-line block ×3, first 2 shown]
	s_waitcnt lgkmcnt(0)
	v_mul_f64 v[16:17], v[6:7], v[14:15]
	v_mul_f64 v[18:19], v[4:5], v[14:15]
	v_fma_f64 v[16:17], v[4:5], v[12:13], -v[16:17]
	v_fmac_f64_e32 v[18:19], v[6:7], v[12:13]
	v_add_f64 v[122:123], v[42:43], v[16:17]
	v_add_f64 v[124:125], v[18:19], v[44:45]
	ds_read_b128 v[16:19], v112 offset:2560
	s_waitcnt lgkmcnt(0)
	v_mul_f64 v[20:21], v[6:7], v[18:19]
	v_mul_f64 v[22:23], v[4:5], v[18:19]
	v_fma_f64 v[20:21], v[4:5], v[16:17], -v[20:21]
	v_fmac_f64_e32 v[22:23], v[6:7], v[16:17]
	v_add_f64 v[126:127], v[38:39], v[20:21]
	v_add_f64 v[128:129], v[22:23], v[40:41]
	ds_read_b128 v[20:23], v112 offset:2816
	s_waitcnt lgkmcnt(0)
	v_mul_f64 v[38:39], v[6:7], v[22:23]
	v_fma_f64 v[38:39], v[4:5], v[20:21], -v[38:39]
	v_mul_f64 v[4:5], v[4:5], v[22:23]
	v_fmac_f64_e32 v[4:5], v[6:7], v[20:21]
	v_add_f64 v[132:133], v[4:5], v[36:37]
	ds_read_b128 v[4:7], v113 offset:1056
	v_add_f64 v[130:131], v[34:35], v[38:39]
	s_waitcnt lgkmcnt(0)
	v_mul_f64 v[34:35], v[6:7], v[10:11]
	v_fma_f64 v[34:35], v[4:5], v[8:9], -v[34:35]
	v_add_f64 v[46:47], v[66:67], v[34:35]
	v_mul_f64 v[34:35], v[6:7], v[14:15]
	v_mul_f64 v[36:37], v[4:5], v[10:11]
	v_fma_f64 v[34:35], v[4:5], v[12:13], -v[34:35]
	v_fmac_f64_e32 v[36:37], v[6:7], v[8:9]
	v_add_f64 v[58:59], v[70:71], v[34:35]
	v_mul_f64 v[34:35], v[6:7], v[18:19]
	v_add_f64 v[50:51], v[36:37], v[68:69]
	v_mul_f64 v[36:37], v[4:5], v[14:15]
	v_fma_f64 v[34:35], v[4:5], v[16:17], -v[34:35]
	v_fmac_f64_e32 v[36:37], v[6:7], v[12:13]
	v_add_f64 v[62:63], v[74:75], v[34:35]
	v_mul_f64 v[34:35], v[6:7], v[22:23]
	v_add_f64 v[60:61], v[36:37], v[72:73]
	v_mul_f64 v[36:37], v[4:5], v[18:19]
	v_fma_f64 v[34:35], v[4:5], v[20:21], -v[34:35]
	v_mul_f64 v[4:5], v[4:5], v[22:23]
	v_fmac_f64_e32 v[4:5], v[6:7], v[20:21]
	v_fmac_f64_e32 v[36:37], v[6:7], v[16:17]
	v_add_f64 v[72:73], v[4:5], v[80:81]
	ds_read_b128 v[4:7], v113 offset:2080
	v_add_f64 v[70:71], v[78:79], v[34:35]
	v_add_f64 v[64:65], v[36:37], v[76:77]
	s_waitcnt lgkmcnt(0)
	v_mul_f64 v[34:35], v[6:7], v[10:11]
	v_fma_f64 v[34:35], v[4:5], v[8:9], -v[34:35]
	v_add_f64 v[42:43], v[82:83], v[34:35]
	v_mul_f64 v[34:35], v[6:7], v[14:15]
	v_mul_f64 v[36:37], v[4:5], v[10:11]
	v_fma_f64 v[34:35], v[4:5], v[12:13], -v[34:35]
	v_fmac_f64_e32 v[36:37], v[6:7], v[8:9]
	v_add_f64 v[48:49], v[86:87], v[34:35]
	v_mul_f64 v[34:35], v[6:7], v[18:19]
	v_add_f64 v[44:45], v[36:37], v[84:85]
	v_mul_f64 v[36:37], v[4:5], v[14:15]
	v_fma_f64 v[34:35], v[4:5], v[16:17], -v[34:35]
	v_fmac_f64_e32 v[36:37], v[6:7], v[12:13]
	v_add_f64 v[94:95], v[90:91], v[34:35]
	v_mul_f64 v[34:35], v[6:7], v[22:23]
	v_add_f64 v[52:53], v[36:37], v[88:89]
	v_mul_f64 v[36:37], v[4:5], v[18:19]
	v_fma_f64 v[34:35], v[4:5], v[20:21], -v[34:35]
	v_mul_f64 v[4:5], v[4:5], v[22:23]
	v_fmac_f64_e32 v[4:5], v[6:7], v[20:21]
	v_fmac_f64_e32 v[36:37], v[6:7], v[16:17]
	v_add_f64 v[100:101], v[4:5], v[100:101]
	ds_read_b128 v[4:7], v113 offset:3104
	v_add_f64 v[98:99], v[98:99], v[34:35]
	v_add_f64 v[96:97], v[36:37], v[92:93]
	s_waitcnt lgkmcnt(0)
	v_mul_f64 v[34:35], v[6:7], v[10:11]
	v_mul_f64 v[10:11], v[4:5], v[10:11]
	v_fmac_f64_e32 v[10:11], v[6:7], v[8:9]
	v_fma_f64 v[34:35], v[4:5], v[8:9], -v[34:35]
	v_add_f64 v[80:81], v[10:11], v[104:105]
	v_mul_f64 v[8:9], v[6:7], v[14:15]
	v_mul_f64 v[10:11], v[4:5], v[14:15]
	v_fma_f64 v[8:9], v[4:5], v[12:13], -v[8:9]
	v_fmac_f64_e32 v[10:11], v[6:7], v[12:13]
	v_add_f64 v[90:91], v[106:107], v[8:9]
	v_add_f64 v[92:93], v[10:11], v[108:109]
	v_mul_f64 v[8:9], v[6:7], v[18:19]
	v_mul_f64 v[10:11], v[4:5], v[18:19]
	v_fma_f64 v[8:9], v[4:5], v[16:17], -v[8:9]
	v_fmac_f64_e32 v[10:11], v[6:7], v[16:17]
	ds_read_b128 v[16:19], v112 offset:3072
	ds_read_b128 v[12:15], v112 offset:3328
	v_add_f64 v[86:87], v[54:55], v[8:9]
	v_mul_f64 v[8:9], v[6:7], v[22:23]
	v_fma_f64 v[8:9], v[4:5], v[20:21], -v[8:9]
	v_mul_f64 v[4:5], v[4:5], v[22:23]
	v_add_f64 v[88:89], v[10:11], v[56:57]
	v_fmac_f64_e32 v[4:5], v[6:7], v[20:21]
	v_add_f64 v[82:83], v[114:115], v[8:9]
	ds_read_b128 v[8:11], v112 offset:3584
	v_add_f64 v[84:85], v[4:5], v[116:117]
	s_waitcnt lgkmcnt(2)
	v_mul_f64 v[4:5], v[2:3], v[18:19]
	v_mul_f64 v[6:7], v[0:1], v[18:19]
	v_fma_f64 v[4:5], v[0:1], v[16:17], -v[4:5]
	v_fmac_f64_e32 v[6:7], v[2:3], v[16:17]
	v_add_f64 v[54:55], v[118:119], v[4:5]
	v_add_f64 v[56:57], v[6:7], v[120:121]
	s_waitcnt lgkmcnt(1)
	v_mul_f64 v[4:5], v[2:3], v[14:15]
	v_mul_f64 v[6:7], v[0:1], v[14:15]
	v_fma_f64 v[4:5], v[0:1], v[12:13], -v[4:5]
	v_fmac_f64_e32 v[6:7], v[2:3], v[12:13]
	v_add_f64 v[38:39], v[122:123], v[4:5]
	;; [unrolled: 7-line block ×3, first 2 shown]
	v_add_f64 v[34:35], v[126:127], v[4:5]
	v_add_f64 v[36:37], v[6:7], v[128:129]
	ds_read_b128 v[4:7], v112 offset:3840
	s_waitcnt lgkmcnt(0)
	v_mul_f64 v[20:21], v[2:3], v[6:7]
	v_fma_f64 v[20:21], v[0:1], v[4:5], -v[20:21]
	v_mul_f64 v[0:1], v[0:1], v[6:7]
	v_fmac_f64_e32 v[0:1], v[2:3], v[4:5]
	v_add_f64 v[22:23], v[0:1], v[132:133]
	ds_read_b128 v[0:3], v113 offset:1072
	v_add_f64 v[20:21], v[130:131], v[20:21]
	s_waitcnt lgkmcnt(0)
	v_mul_f64 v[66:67], v[2:3], v[18:19]
	v_fma_f64 v[66:67], v[0:1], v[16:17], -v[66:67]
	v_add_f64 v[74:75], v[46:47], v[66:67]
	v_mul_f64 v[46:47], v[2:3], v[14:15]
	v_mul_f64 v[68:69], v[0:1], v[18:19]
	v_fma_f64 v[46:47], v[0:1], v[12:13], -v[46:47]
	v_fmac_f64_e32 v[68:69], v[2:3], v[16:17]
	v_add_f64 v[66:67], v[58:59], v[46:47]
	v_mul_f64 v[46:47], v[2:3], v[10:11]
	v_add_f64 v[76:77], v[68:69], v[50:51]
	v_mul_f64 v[50:51], v[0:1], v[14:15]
	v_fma_f64 v[46:47], v[0:1], v[8:9], -v[46:47]
	v_fmac_f64_e32 v[50:51], v[2:3], v[12:13]
	v_add_f64 v[58:59], v[62:63], v[46:47]
	v_mul_f64 v[46:47], v[2:3], v[6:7]
	v_add_f64 v[68:69], v[50:51], v[60:61]
	v_mul_f64 v[50:51], v[0:1], v[10:11]
	v_fma_f64 v[46:47], v[0:1], v[4:5], -v[46:47]
	v_mul_f64 v[0:1], v[0:1], v[6:7]
	v_fmac_f64_e32 v[50:51], v[2:3], v[8:9]
	v_fmac_f64_e32 v[0:1], v[2:3], v[4:5]
	v_add_f64 v[62:63], v[50:51], v[64:65]
	v_add_f64 v[50:51], v[0:1], v[72:73]
	ds_read_b128 v[0:3], v113 offset:2096
	v_add_f64 v[46:47], v[70:71], v[46:47]
	s_waitcnt lgkmcnt(0)
	v_mul_f64 v[60:61], v[2:3], v[18:19]
	v_fma_f64 v[60:61], v[0:1], v[16:17], -v[60:61]
	v_add_f64 v[70:71], v[42:43], v[60:61]
	v_mul_f64 v[42:43], v[2:3], v[14:15]
	v_mul_f64 v[64:65], v[0:1], v[18:19]
	v_fma_f64 v[42:43], v[0:1], v[12:13], -v[42:43]
	v_fmac_f64_e32 v[64:65], v[2:3], v[16:17]
	v_add_f64 v[60:61], v[48:49], v[42:43]
	v_mul_f64 v[42:43], v[2:3], v[10:11]
	v_add_f64 v[72:73], v[64:65], v[44:45]
	v_mul_f64 v[44:45], v[0:1], v[14:15]
	v_fma_f64 v[42:43], v[0:1], v[8:9], -v[42:43]
	v_fmac_f64_e32 v[44:45], v[2:3], v[12:13]
	v_add_f64 v[48:49], v[94:95], v[42:43]
	v_mul_f64 v[42:43], v[2:3], v[6:7]
	v_add_f64 v[64:65], v[44:45], v[52:53]
	v_mul_f64 v[44:45], v[0:1], v[10:11]
	v_fma_f64 v[42:43], v[0:1], v[4:5], -v[42:43]
	v_mul_f64 v[0:1], v[0:1], v[6:7]
	v_fmac_f64_e32 v[44:45], v[2:3], v[8:9]
	v_fmac_f64_e32 v[0:1], v[2:3], v[4:5]
	v_add_f64 v[52:53], v[44:45], v[96:97]
	v_add_f64 v[44:45], v[0:1], v[100:101]
	ds_read_b128 v[0:3], v113 offset:3120
	v_add_f64 v[42:43], v[98:99], v[42:43]
	s_waitcnt lgkmcnt(0)
	s_barrier
	v_mul_f64 v[94:95], v[2:3], v[18:19]
	v_mul_f64 v[18:19], v[0:1], v[18:19]
	v_fma_f64 v[94:95], v[0:1], v[16:17], -v[94:95]
	v_fmac_f64_e32 v[18:19], v[2:3], v[16:17]
	v_mul_f64 v[16:17], v[2:3], v[14:15]
	v_mul_f64 v[14:15], v[0:1], v[14:15]
	v_fma_f64 v[16:17], v[0:1], v[12:13], -v[16:17]
	v_fmac_f64_e32 v[14:15], v[2:3], v[12:13]
	;; [unrolled: 4-line block ×3, first 2 shown]
	v_mul_f64 v[8:9], v[2:3], v[6:7]
	v_fma_f64 v[8:9], v[0:1], v[4:5], -v[8:9]
	v_mul_f64 v[0:1], v[0:1], v[6:7]
	v_fmac_f64_e32 v[0:1], v[2:3], v[4:5]
	v_add_f64 v[78:79], v[78:79], v[94:95]
	v_add_f64 v[80:81], v[18:19], v[80:81]
	;; [unrolled: 1-line block ×8, first 2 shown]
	s_cbranch_vccnz .LBB122_2
	s_branch .LBB122_4
.LBB122_3:
	v_mov_b64_e32 v[54:55], 0
	v_mov_b64_e32 v[56:57], 0
	;; [unrolled: 1-line block ×32, first 2 shown]
.LBB122_4:
	s_load_dwordx2 s[0:1], s[0:1], 0x90
	v_cmp_neq_f64_e64 s[8:9], s[10:11], 0
	v_lshl_add_u64 v[2:3], s[6:7], 0, v[26:27]
	s_mov_b64 s[6:7], 0
	v_lshl_add_u64 v[0:1], s[2:3], 0, v[24:25]
	s_waitcnt lgkmcnt(0)
	s_mul_i32 s1, s1, s4
	s_mul_hi_u32 s5, s0, s4
	s_mul_i32 s0, s0, s4
	s_add_i32 s1, s5, s1
	s_lshl_b64 s[0:1], s[0:1], 4
	s_add_u32 s0, s20, s0
	s_addc_u32 s1, s21, s1
	v_cmp_neq_f64_e64 s[20:21], s[12:13], 0
	s_or_b64 s[8:9], s[8:9], s[20:21]
	s_and_b64 vcc, exec, s[8:9]
	s_cbranch_vccnz .LBB122_6
; %bb.5:
	v_mul_lo_u32 v6, v3, s22
	v_mul_lo_u32 v7, v2, s23
	v_mad_u64_u32 v[4:5], s[2:3], v2, s22, 0
	v_add3_u32 v5, v5, v7, v6
	v_lshl_add_u64 v[24:25], v[4:5], 4, s[0:1]
	v_mul_f64 v[4:5], s[40:41], v[56:57]
	v_mul_f64 v[6:7], s[38:39], v[56:57]
	v_lshlrev_b64 v[26:27], 4, v[0:1]
	v_fma_f64 v[4:5], s[38:39], v[54:55], -v[4:5]
	v_fmac_f64_e32 v[6:7], s[40:41], v[54:55]
	v_lshl_add_u64 v[28:29], v[24:25], 0, v[26:27]
	global_store_dwordx4 v[28:29], v[4:7], off
	s_lshl_b64 s[2:3], s[22:23], 8
	v_lshl_add_u64 v[24:25], v[24:25], 0, s[2:3]
	v_mul_f64 v[4:5], s[40:41], v[40:41]
	v_mul_f64 v[6:7], s[38:39], v[40:41]
	v_fma_f64 v[4:5], s[38:39], v[38:39], -v[4:5]
	v_fmac_f64_e32 v[6:7], s[40:41], v[38:39]
	global_store_dwordx4 v[28:29], v[4:7], off offset:256
	s_nop 1
	v_mul_f64 v[4:5], s[40:41], v[36:37]
	v_mul_f64 v[6:7], s[38:39], v[36:37]
	v_fma_f64 v[4:5], s[38:39], v[34:35], -v[4:5]
	v_fmac_f64_e32 v[6:7], s[40:41], v[34:35]
	global_store_dwordx4 v[28:29], v[4:7], off offset:512
	s_nop 1
	v_mul_f64 v[4:5], s[40:41], v[22:23]
	v_mul_f64 v[6:7], s[38:39], v[22:23]
	v_fma_f64 v[4:5], s[38:39], v[20:21], -v[4:5]
	v_fmac_f64_e32 v[6:7], s[40:41], v[20:21]
	global_store_dwordx4 v[28:29], v[4:7], off offset:768
	v_lshl_add_u64 v[28:29], v[24:25], 0, v[26:27]
	v_lshl_add_u64 v[24:25], v[24:25], 0, s[2:3]
	v_mul_f64 v[4:5], s[40:41], v[76:77]
	v_mul_f64 v[6:7], s[38:39], v[76:77]
	v_fma_f64 v[4:5], s[38:39], v[74:75], -v[4:5]
	v_fmac_f64_e32 v[6:7], s[40:41], v[74:75]
	global_store_dwordx4 v[28:29], v[4:7], off
	s_nop 1
	v_mul_f64 v[4:5], s[40:41], v[68:69]
	v_mul_f64 v[6:7], s[38:39], v[68:69]
	v_fma_f64 v[4:5], s[38:39], v[66:67], -v[4:5]
	v_fmac_f64_e32 v[6:7], s[40:41], v[66:67]
	global_store_dwordx4 v[28:29], v[4:7], off offset:256
	s_nop 1
	v_mul_f64 v[4:5], s[40:41], v[62:63]
	v_mul_f64 v[6:7], s[38:39], v[62:63]
	v_fma_f64 v[4:5], s[38:39], v[58:59], -v[4:5]
	v_fmac_f64_e32 v[6:7], s[40:41], v[58:59]
	global_store_dwordx4 v[28:29], v[4:7], off offset:512
	;; [unrolled: 6-line block ×3, first 2 shown]
	v_lshl_add_u64 v[28:29], v[24:25], 0, v[26:27]
	v_lshl_add_u64 v[24:25], v[24:25], 0, s[2:3]
	v_mul_f64 v[4:5], s[40:41], v[72:73]
	v_mul_f64 v[6:7], s[38:39], v[72:73]
	v_fma_f64 v[4:5], s[38:39], v[70:71], -v[4:5]
	v_fmac_f64_e32 v[6:7], s[40:41], v[70:71]
	global_store_dwordx4 v[28:29], v[4:7], off
	v_lshl_add_u64 v[24:25], v[24:25], 0, v[26:27]
	s_mov_b64 s[2:3], 0x300
	v_mul_f64 v[4:5], s[40:41], v[64:65]
	v_mul_f64 v[6:7], s[38:39], v[64:65]
	v_fma_f64 v[4:5], s[38:39], v[60:61], -v[4:5]
	v_fmac_f64_e32 v[6:7], s[40:41], v[60:61]
	global_store_dwordx4 v[28:29], v[4:7], off offset:256
	s_nop 1
	v_mul_f64 v[4:5], s[40:41], v[52:53]
	v_mul_f64 v[6:7], s[38:39], v[52:53]
	v_fma_f64 v[4:5], s[38:39], v[48:49], -v[4:5]
	v_fmac_f64_e32 v[6:7], s[40:41], v[48:49]
	global_store_dwordx4 v[28:29], v[4:7], off offset:512
	s_nop 1
	;; [unrolled: 6-line block ×3, first 2 shown]
	v_mul_f64 v[4:5], s[40:41], v[80:81]
	v_mul_f64 v[6:7], s[38:39], v[80:81]
	v_fma_f64 v[4:5], s[38:39], v[78:79], -v[4:5]
	v_fmac_f64_e32 v[6:7], s[40:41], v[78:79]
	global_store_dwordx4 v[24:25], v[4:7], off
	s_nop 1
	v_mul_f64 v[4:5], s[40:41], v[18:19]
	v_mul_f64 v[6:7], s[38:39], v[18:19]
	v_fma_f64 v[4:5], s[38:39], v[16:17], -v[4:5]
	v_fmac_f64_e32 v[6:7], s[40:41], v[16:17]
	global_store_dwordx4 v[24:25], v[4:7], off offset:256
	s_nop 1
	v_mul_f64 v[4:5], s[40:41], v[14:15]
	v_mul_f64 v[6:7], s[38:39], v[14:15]
	v_fma_f64 v[4:5], s[38:39], v[12:13], -v[4:5]
	v_fmac_f64_e32 v[6:7], s[40:41], v[12:13]
	global_store_dwordx4 v[24:25], v[4:7], off offset:512
	s_nop 1
	v_mul_f64 v[4:5], s[40:41], v[10:11]
	v_fma_f64 v[26:27], s[38:39], v[8:9], -v[4:5]
	v_mul_f64 v[4:5], s[38:39], v[10:11]
	v_fmac_f64_e32 v[4:5], s[40:41], v[8:9]
	v_lshl_add_u64 v[6:7], v[24:25], 0, s[2:3]
	global_store_dwordx2 v[24:25], v[26:27], off offset:768
	s_andn2_b64 vcc, exec, s[6:7]
	s_cbranch_vccz .LBB122_7
	s_branch .LBB122_8
.LBB122_6:
                                        ; implicit-def: $vgpr4_vgpr5
                                        ; implicit-def: $vgpr6_vgpr7
.LBB122_7:
	s_mul_i32 s2, s19, s4
	s_mul_hi_u32 s3, s18, s4
	s_add_i32 s3, s3, s2
	s_mul_i32 s2, s18, s4
	s_lshl_b64 s[2:3], s[2:3], 4
	s_add_u32 s2, s14, s2
	v_mul_lo_u32 v6, v3, s16
	v_mul_lo_u32 v7, v2, s17
	v_mad_u64_u32 v[4:5], s[4:5], v2, s16, 0
	s_addc_u32 s3, s15, s3
	v_add3_u32 v5, v5, v7, v6
	v_lshl_add_u64 v[24:25], v[4:5], 4, s[2:3]
	v_lshlrev_b64 v[0:1], 4, v[0:1]
	v_lshl_add_u64 v[26:27], v[24:25], 0, v[0:1]
	global_load_dwordx4 v[4:7], v[26:27], off
	v_mul_lo_u32 v32, v3, s22
	v_mul_lo_u32 v33, v2, s23
	v_mad_u64_u32 v[2:3], s[2:3], v2, s22, 0
	v_add3_u32 v3, v3, v33, v32
	v_mul_f64 v[28:29], s[40:41], v[56:57]
	v_mul_f64 v[30:31], s[38:39], v[56:57]
	v_lshl_add_u64 v[32:33], v[2:3], 4, s[0:1]
	v_fma_f64 v[28:29], s[38:39], v[54:55], -v[28:29]
	v_fmac_f64_e32 v[30:31], s[40:41], v[54:55]
	v_lshl_add_u64 v[54:55], v[32:33], 0, v[0:1]
	s_lshl_b64 s[0:1], s[16:17], 8
	s_lshl_b64 s[2:3], s[22:23], 8
	s_waitcnt vmcnt(0)
	v_mul_f64 v[2:3], s[12:13], v[6:7]
	v_mul_f64 v[6:7], s[10:11], v[6:7]
	v_fma_f64 v[2:3], s[10:11], v[4:5], -v[2:3]
	v_fmac_f64_e32 v[6:7], s[12:13], v[4:5]
	v_add_f64 v[2:3], v[28:29], v[2:3]
	v_add_f64 v[4:5], v[30:31], v[6:7]
	global_store_dwordx4 v[54:55], v[2:5], off
	global_load_dwordx4 v[2:5], v[26:27], off offset:256
	v_mul_f64 v[6:7], s[40:41], v[40:41]
	v_mul_f64 v[28:29], s[38:39], v[40:41]
	v_fma_f64 v[6:7], s[38:39], v[38:39], -v[6:7]
	v_fmac_f64_e32 v[28:29], s[40:41], v[38:39]
	s_waitcnt vmcnt(0)
	v_mul_f64 v[30:31], s[12:13], v[4:5]
	v_mul_f64 v[4:5], s[10:11], v[4:5]
	v_fma_f64 v[30:31], s[10:11], v[2:3], -v[30:31]
	v_fmac_f64_e32 v[4:5], s[12:13], v[2:3]
	v_add_f64 v[2:3], v[6:7], v[30:31]
	v_add_f64 v[4:5], v[28:29], v[4:5]
	global_store_dwordx4 v[54:55], v[2:5], off offset:256
	global_load_dwordx4 v[2:5], v[26:27], off offset:512
	v_mul_f64 v[6:7], s[40:41], v[36:37]
	v_mul_f64 v[28:29], s[38:39], v[36:37]
	v_fma_f64 v[6:7], s[38:39], v[34:35], -v[6:7]
	v_fmac_f64_e32 v[28:29], s[40:41], v[34:35]
	s_waitcnt vmcnt(0)
	v_mul_f64 v[30:31], s[12:13], v[4:5]
	v_mul_f64 v[4:5], s[10:11], v[4:5]
	v_fma_f64 v[30:31], s[10:11], v[2:3], -v[30:31]
	v_fmac_f64_e32 v[4:5], s[12:13], v[2:3]
	v_add_f64 v[2:3], v[6:7], v[30:31]
	v_add_f64 v[4:5], v[28:29], v[4:5]
	global_store_dwordx4 v[54:55], v[2:5], off offset:512
	global_load_dwordx4 v[2:5], v[26:27], off offset:768
	v_mul_f64 v[6:7], s[40:41], v[22:23]
	v_mul_f64 v[22:23], s[38:39], v[22:23]
	v_fma_f64 v[6:7], s[38:39], v[20:21], -v[6:7]
	v_fmac_f64_e32 v[22:23], s[40:41], v[20:21]
	v_lshl_add_u64 v[20:21], v[24:25], 0, s[0:1]
	v_lshl_add_u64 v[24:25], v[20:21], 0, v[0:1]
	;; [unrolled: 1-line block ×3, first 2 shown]
	s_waitcnt vmcnt(0)
	v_mul_f64 v[26:27], s[12:13], v[4:5]
	v_mul_f64 v[4:5], s[10:11], v[4:5]
	v_fma_f64 v[26:27], s[10:11], v[2:3], -v[26:27]
	v_fmac_f64_e32 v[4:5], s[12:13], v[2:3]
	v_add_f64 v[2:3], v[6:7], v[26:27]
	v_add_f64 v[4:5], v[22:23], v[4:5]
	global_store_dwordx4 v[54:55], v[2:5], off offset:768
	global_load_dwordx4 v[2:5], v[24:25], off
	v_mul_f64 v[6:7], s[40:41], v[76:77]
	v_mul_f64 v[22:23], s[38:39], v[76:77]
	v_fma_f64 v[6:7], s[38:39], v[74:75], -v[6:7]
	v_fmac_f64_e32 v[22:23], s[40:41], v[74:75]
	v_lshl_add_u64 v[26:27], v[32:33], 0, s[2:3]
	v_lshl_add_u64 v[28:29], v[26:27], 0, v[0:1]
	;; [unrolled: 1-line block ×3, first 2 shown]
	s_waitcnt vmcnt(0)
	v_mul_f64 v[30:31], s[12:13], v[4:5]
	v_mul_f64 v[4:5], s[10:11], v[4:5]
	v_fma_f64 v[30:31], s[10:11], v[2:3], -v[30:31]
	v_fmac_f64_e32 v[4:5], s[12:13], v[2:3]
	v_add_f64 v[2:3], v[6:7], v[30:31]
	v_add_f64 v[4:5], v[22:23], v[4:5]
	global_store_dwordx4 v[28:29], v[2:5], off
	global_load_dwordx4 v[2:5], v[24:25], off offset:256
	v_mul_f64 v[6:7], s[40:41], v[68:69]
	v_mul_f64 v[22:23], s[38:39], v[68:69]
	v_fma_f64 v[6:7], s[38:39], v[66:67], -v[6:7]
	v_fmac_f64_e32 v[22:23], s[40:41], v[66:67]
	s_waitcnt vmcnt(0)
	v_mul_f64 v[30:31], s[12:13], v[4:5]
	v_mul_f64 v[4:5], s[10:11], v[4:5]
	v_fma_f64 v[30:31], s[10:11], v[2:3], -v[30:31]
	v_fmac_f64_e32 v[4:5], s[12:13], v[2:3]
	v_add_f64 v[2:3], v[6:7], v[30:31]
	v_add_f64 v[4:5], v[22:23], v[4:5]
	global_store_dwordx4 v[28:29], v[2:5], off offset:256
	global_load_dwordx4 v[2:5], v[24:25], off offset:512
	v_mul_f64 v[6:7], s[40:41], v[62:63]
	v_mul_f64 v[22:23], s[38:39], v[62:63]
	v_fma_f64 v[6:7], s[38:39], v[58:59], -v[6:7]
	v_fmac_f64_e32 v[22:23], s[40:41], v[58:59]
	s_waitcnt vmcnt(0)
	v_mul_f64 v[30:31], s[12:13], v[4:5]
	v_mul_f64 v[4:5], s[10:11], v[4:5]
	v_fma_f64 v[30:31], s[10:11], v[2:3], -v[30:31]
	v_fmac_f64_e32 v[4:5], s[12:13], v[2:3]
	v_add_f64 v[2:3], v[6:7], v[30:31]
	v_add_f64 v[4:5], v[22:23], v[4:5]
	global_store_dwordx4 v[28:29], v[2:5], off offset:512
	global_load_dwordx4 v[2:5], v[24:25], off offset:768
	v_mul_f64 v[6:7], s[40:41], v[50:51]
	v_mul_f64 v[22:23], s[38:39], v[50:51]
	v_fma_f64 v[6:7], s[38:39], v[46:47], -v[6:7]
	v_fmac_f64_e32 v[22:23], s[40:41], v[46:47]
	v_lshl_add_u64 v[24:25], v[20:21], 0, v[0:1]
	v_lshl_add_u64 v[20:21], v[20:21], 0, s[0:1]
	;; [unrolled: 1-line block ×3, first 2 shown]
	s_mov_b64 s[0:1], 0x300
	s_waitcnt vmcnt(0)
	v_mul_f64 v[30:31], s[12:13], v[4:5]
	v_mul_f64 v[4:5], s[10:11], v[4:5]
	v_fma_f64 v[30:31], s[10:11], v[2:3], -v[30:31]
	v_fmac_f64_e32 v[4:5], s[12:13], v[2:3]
	v_add_f64 v[2:3], v[6:7], v[30:31]
	v_add_f64 v[4:5], v[22:23], v[4:5]
	global_store_dwordx4 v[28:29], v[2:5], off offset:768
	global_load_dwordx4 v[2:5], v[24:25], off
	v_mul_f64 v[6:7], s[40:41], v[72:73]
	v_mul_f64 v[22:23], s[38:39], v[72:73]
	v_fma_f64 v[6:7], s[38:39], v[70:71], -v[6:7]
	v_fmac_f64_e32 v[22:23], s[40:41], v[70:71]
	v_lshl_add_u64 v[28:29], v[26:27], 0, v[0:1]
	s_waitcnt vmcnt(0)
	v_mul_f64 v[30:31], s[12:13], v[4:5]
	v_mul_f64 v[4:5], s[10:11], v[4:5]
	v_fma_f64 v[30:31], s[10:11], v[2:3], -v[30:31]
	v_fmac_f64_e32 v[4:5], s[12:13], v[2:3]
	v_add_f64 v[2:3], v[6:7], v[30:31]
	v_add_f64 v[4:5], v[22:23], v[4:5]
	global_store_dwordx4 v[28:29], v[2:5], off
	global_load_dwordx4 v[2:5], v[24:25], off offset:256
	v_mul_f64 v[6:7], s[40:41], v[64:65]
	v_mul_f64 v[22:23], s[38:39], v[64:65]
	v_fma_f64 v[6:7], s[38:39], v[60:61], -v[6:7]
	v_fmac_f64_e32 v[22:23], s[40:41], v[60:61]
	s_waitcnt vmcnt(0)
	v_mul_f64 v[30:31], s[12:13], v[4:5]
	v_mul_f64 v[4:5], s[10:11], v[4:5]
	v_fma_f64 v[30:31], s[10:11], v[2:3], -v[30:31]
	v_fmac_f64_e32 v[4:5], s[12:13], v[2:3]
	v_add_f64 v[2:3], v[6:7], v[30:31]
	v_add_f64 v[4:5], v[22:23], v[4:5]
	global_store_dwordx4 v[28:29], v[2:5], off offset:256
	global_load_dwordx4 v[2:5], v[24:25], off offset:512
	v_mul_f64 v[6:7], s[40:41], v[52:53]
	v_mul_f64 v[22:23], s[38:39], v[52:53]
	v_fma_f64 v[6:7], s[38:39], v[48:49], -v[6:7]
	v_fmac_f64_e32 v[22:23], s[40:41], v[48:49]
	s_waitcnt vmcnt(0)
	v_mul_f64 v[30:31], s[12:13], v[4:5]
	v_mul_f64 v[4:5], s[10:11], v[4:5]
	v_fma_f64 v[30:31], s[10:11], v[2:3], -v[30:31]
	v_fmac_f64_e32 v[4:5], s[12:13], v[2:3]
	v_add_f64 v[2:3], v[6:7], v[30:31]
	v_add_f64 v[4:5], v[22:23], v[4:5]
	global_store_dwordx4 v[28:29], v[2:5], off offset:512
	global_load_dwordx4 v[2:5], v[24:25], off offset:768
	v_mul_f64 v[6:7], s[40:41], v[44:45]
	v_mul_f64 v[22:23], s[38:39], v[44:45]
	v_fma_f64 v[6:7], s[38:39], v[42:43], -v[6:7]
	v_fmac_f64_e32 v[22:23], s[40:41], v[42:43]
	s_waitcnt vmcnt(0)
	v_mul_f64 v[24:25], s[12:13], v[4:5]
	v_mul_f64 v[4:5], s[10:11], v[4:5]
	v_fma_f64 v[24:25], s[10:11], v[2:3], -v[24:25]
	v_fmac_f64_e32 v[4:5], s[12:13], v[2:3]
	v_add_f64 v[2:3], v[6:7], v[24:25]
	v_add_f64 v[4:5], v[22:23], v[4:5]
	global_store_dwordx4 v[28:29], v[2:5], off offset:768
	global_load_dwordx4 v[2:5], v[20:21], off
	v_lshl_add_u64 v[24:25], v[26:27], 0, s[2:3]
	v_mul_f64 v[6:7], s[40:41], v[80:81]
	v_mul_f64 v[22:23], s[38:39], v[80:81]
	v_lshl_add_u64 v[24:25], v[24:25], 0, v[0:1]
	v_fma_f64 v[6:7], s[38:39], v[78:79], -v[6:7]
	v_fmac_f64_e32 v[22:23], s[40:41], v[78:79]
	s_waitcnt vmcnt(0)
	v_mul_f64 v[0:1], s[12:13], v[4:5]
	v_mul_f64 v[4:5], s[10:11], v[4:5]
	v_fma_f64 v[0:1], s[10:11], v[2:3], -v[0:1]
	v_fmac_f64_e32 v[4:5], s[12:13], v[2:3]
	v_add_f64 v[0:1], v[6:7], v[0:1]
	v_add_f64 v[2:3], v[22:23], v[4:5]
	global_store_dwordx4 v[24:25], v[0:3], off
	global_load_dwordx4 v[0:3], v[20:21], off offset:256
	v_mul_f64 v[4:5], s[40:41], v[18:19]
	v_mul_f64 v[6:7], s[38:39], v[18:19]
	v_fma_f64 v[4:5], s[38:39], v[16:17], -v[4:5]
	v_fmac_f64_e32 v[6:7], s[40:41], v[16:17]
	s_waitcnt vmcnt(0)
	v_mul_f64 v[16:17], s[12:13], v[2:3]
	v_mul_f64 v[2:3], s[10:11], v[2:3]
	v_fma_f64 v[16:17], s[10:11], v[0:1], -v[16:17]
	v_fmac_f64_e32 v[2:3], s[12:13], v[0:1]
	v_add_f64 v[0:1], v[4:5], v[16:17]
	v_add_f64 v[2:3], v[6:7], v[2:3]
	global_store_dwordx4 v[24:25], v[0:3], off offset:256
	global_load_dwordx4 v[0:3], v[20:21], off offset:512
	v_mul_f64 v[4:5], s[40:41], v[14:15]
	v_mul_f64 v[6:7], s[38:39], v[14:15]
	v_fma_f64 v[4:5], s[38:39], v[12:13], -v[4:5]
	v_fmac_f64_e32 v[6:7], s[40:41], v[12:13]
	s_waitcnt vmcnt(0)
	v_mul_f64 v[12:13], s[12:13], v[2:3]
	v_mul_f64 v[2:3], s[10:11], v[2:3]
	v_fma_f64 v[12:13], s[10:11], v[0:1], -v[12:13]
	v_fmac_f64_e32 v[2:3], s[12:13], v[0:1]
	v_add_f64 v[0:1], v[4:5], v[12:13]
	v_add_f64 v[2:3], v[6:7], v[2:3]
	global_store_dwordx4 v[24:25], v[0:3], off offset:512
	global_load_dwordx4 v[0:3], v[20:21], off offset:768
	v_mul_f64 v[4:5], s[40:41], v[10:11]
	v_mul_f64 v[6:7], s[38:39], v[10:11]
	v_fma_f64 v[4:5], s[38:39], v[8:9], -v[4:5]
	v_fmac_f64_e32 v[6:7], s[40:41], v[8:9]
	s_waitcnt vmcnt(0)
	v_mul_f64 v[8:9], s[12:13], v[2:3]
	v_mul_f64 v[2:3], s[10:11], v[2:3]
	v_fma_f64 v[8:9], s[10:11], v[0:1], -v[8:9]
	v_fmac_f64_e32 v[2:3], s[12:13], v[0:1]
	v_add_f64 v[0:1], v[4:5], v[8:9]
	v_add_f64 v[4:5], v[6:7], v[2:3]
	v_lshl_add_u64 v[6:7], v[24:25], 0, s[0:1]
	global_store_dwordx2 v[24:25], v[0:1], off offset:768
.LBB122_8:
	global_store_dwordx2 v[6:7], v[4:5], off offset:8
	s_endpgm
	.section	.rodata,"a",@progbits
	.p2align	6, 0x0
	.amdhsa_kernel _ZN12_GLOBAL__N_127rocblas_gemm_batched_kernelI19rocblas_complex_numIdELi16ELi16ELi64ELi64ELi4ELi64ELi4ELi4ELi64ELc67ELc67EKS2_S3_S2_EEvlllT_PT11_llS6_llS4_PT12_llPT13_lli
		.amdhsa_group_segment_fixed_size 8192
		.amdhsa_private_segment_fixed_size 0
		.amdhsa_kernarg_size 156
		.amdhsa_user_sgpr_count 2
		.amdhsa_user_sgpr_dispatch_ptr 0
		.amdhsa_user_sgpr_queue_ptr 0
		.amdhsa_user_sgpr_kernarg_segment_ptr 1
		.amdhsa_user_sgpr_dispatch_id 0
		.amdhsa_user_sgpr_kernarg_preload_length 0
		.amdhsa_user_sgpr_kernarg_preload_offset 0
		.amdhsa_user_sgpr_private_segment_size 0
		.amdhsa_uses_dynamic_stack 0
		.amdhsa_enable_private_segment 0
		.amdhsa_system_sgpr_workgroup_id_x 1
		.amdhsa_system_sgpr_workgroup_id_y 1
		.amdhsa_system_sgpr_workgroup_id_z 1
		.amdhsa_system_sgpr_workgroup_info 0
		.amdhsa_system_vgpr_workitem_id 1
		.amdhsa_next_free_vgpr 138
		.amdhsa_next_free_sgpr 52
		.amdhsa_accum_offset 140
		.amdhsa_reserve_vcc 1
		.amdhsa_float_round_mode_32 0
		.amdhsa_float_round_mode_16_64 0
		.amdhsa_float_denorm_mode_32 3
		.amdhsa_float_denorm_mode_16_64 3
		.amdhsa_dx10_clamp 1
		.amdhsa_ieee_mode 1
		.amdhsa_fp16_overflow 0
		.amdhsa_tg_split 0
		.amdhsa_exception_fp_ieee_invalid_op 0
		.amdhsa_exception_fp_denorm_src 0
		.amdhsa_exception_fp_ieee_div_zero 0
		.amdhsa_exception_fp_ieee_overflow 0
		.amdhsa_exception_fp_ieee_underflow 0
		.amdhsa_exception_fp_ieee_inexact 0
		.amdhsa_exception_int_div_zero 0
	.end_amdhsa_kernel
	.section	.text._ZN12_GLOBAL__N_127rocblas_gemm_batched_kernelI19rocblas_complex_numIdELi16ELi16ELi64ELi64ELi4ELi64ELi4ELi4ELi64ELc67ELc67EKS2_S3_S2_EEvlllT_PT11_llS6_llS4_PT12_llPT13_lli,"axG",@progbits,_ZN12_GLOBAL__N_127rocblas_gemm_batched_kernelI19rocblas_complex_numIdELi16ELi16ELi64ELi64ELi4ELi64ELi4ELi4ELi64ELc67ELc67EKS2_S3_S2_EEvlllT_PT11_llS6_llS4_PT12_llPT13_lli,comdat
.Lfunc_end122:
	.size	_ZN12_GLOBAL__N_127rocblas_gemm_batched_kernelI19rocblas_complex_numIdELi16ELi16ELi64ELi64ELi4ELi64ELi4ELi4ELi64ELc67ELc67EKS2_S3_S2_EEvlllT_PT11_llS6_llS4_PT12_llPT13_lli, .Lfunc_end122-_ZN12_GLOBAL__N_127rocblas_gemm_batched_kernelI19rocblas_complex_numIdELi16ELi16ELi64ELi64ELi4ELi64ELi4ELi4ELi64ELc67ELc67EKS2_S3_S2_EEvlllT_PT11_llS6_llS4_PT12_llPT13_lli
                                        ; -- End function
	.set _ZN12_GLOBAL__N_127rocblas_gemm_batched_kernelI19rocblas_complex_numIdELi16ELi16ELi64ELi64ELi4ELi64ELi4ELi4ELi64ELc67ELc67EKS2_S3_S2_EEvlllT_PT11_llS6_llS4_PT12_llPT13_lli.num_vgpr, 138
	.set _ZN12_GLOBAL__N_127rocblas_gemm_batched_kernelI19rocblas_complex_numIdELi16ELi16ELi64ELi64ELi4ELi64ELi4ELi4ELi64ELc67ELc67EKS2_S3_S2_EEvlllT_PT11_llS6_llS4_PT12_llPT13_lli.num_agpr, 0
	.set _ZN12_GLOBAL__N_127rocblas_gemm_batched_kernelI19rocblas_complex_numIdELi16ELi16ELi64ELi64ELi4ELi64ELi4ELi4ELi64ELc67ELc67EKS2_S3_S2_EEvlllT_PT11_llS6_llS4_PT12_llPT13_lli.numbered_sgpr, 52
	.set _ZN12_GLOBAL__N_127rocblas_gemm_batched_kernelI19rocblas_complex_numIdELi16ELi16ELi64ELi64ELi4ELi64ELi4ELi4ELi64ELc67ELc67EKS2_S3_S2_EEvlllT_PT11_llS6_llS4_PT12_llPT13_lli.num_named_barrier, 0
	.set _ZN12_GLOBAL__N_127rocblas_gemm_batched_kernelI19rocblas_complex_numIdELi16ELi16ELi64ELi64ELi4ELi64ELi4ELi4ELi64ELc67ELc67EKS2_S3_S2_EEvlllT_PT11_llS6_llS4_PT12_llPT13_lli.private_seg_size, 0
	.set _ZN12_GLOBAL__N_127rocblas_gemm_batched_kernelI19rocblas_complex_numIdELi16ELi16ELi64ELi64ELi4ELi64ELi4ELi4ELi64ELc67ELc67EKS2_S3_S2_EEvlllT_PT11_llS6_llS4_PT12_llPT13_lli.uses_vcc, 1
	.set _ZN12_GLOBAL__N_127rocblas_gemm_batched_kernelI19rocblas_complex_numIdELi16ELi16ELi64ELi64ELi4ELi64ELi4ELi4ELi64ELc67ELc67EKS2_S3_S2_EEvlllT_PT11_llS6_llS4_PT12_llPT13_lli.uses_flat_scratch, 0
	.set _ZN12_GLOBAL__N_127rocblas_gemm_batched_kernelI19rocblas_complex_numIdELi16ELi16ELi64ELi64ELi4ELi64ELi4ELi4ELi64ELc67ELc67EKS2_S3_S2_EEvlllT_PT11_llS6_llS4_PT12_llPT13_lli.has_dyn_sized_stack, 0
	.set _ZN12_GLOBAL__N_127rocblas_gemm_batched_kernelI19rocblas_complex_numIdELi16ELi16ELi64ELi64ELi4ELi64ELi4ELi4ELi64ELc67ELc67EKS2_S3_S2_EEvlllT_PT11_llS6_llS4_PT12_llPT13_lli.has_recursion, 0
	.set _ZN12_GLOBAL__N_127rocblas_gemm_batched_kernelI19rocblas_complex_numIdELi16ELi16ELi64ELi64ELi4ELi64ELi4ELi4ELi64ELc67ELc67EKS2_S3_S2_EEvlllT_PT11_llS6_llS4_PT12_llPT13_lli.has_indirect_call, 0
	.section	.AMDGPU.csdata,"",@progbits
; Kernel info:
; codeLenInByte = 6480
; TotalNumSgprs: 58
; NumVgprs: 138
; NumAgprs: 0
; TotalNumVgprs: 138
; ScratchSize: 0
; MemoryBound: 0
; FloatMode: 240
; IeeeMode: 1
; LDSByteSize: 8192 bytes/workgroup (compile time only)
; SGPRBlocks: 7
; VGPRBlocks: 17
; NumSGPRsForWavesPerEU: 58
; NumVGPRsForWavesPerEU: 138
; AccumOffset: 140
; Occupancy: 3
; WaveLimiterHint : 1
; COMPUTE_PGM_RSRC2:SCRATCH_EN: 0
; COMPUTE_PGM_RSRC2:USER_SGPR: 2
; COMPUTE_PGM_RSRC2:TRAP_HANDLER: 0
; COMPUTE_PGM_RSRC2:TGID_X_EN: 1
; COMPUTE_PGM_RSRC2:TGID_Y_EN: 1
; COMPUTE_PGM_RSRC2:TGID_Z_EN: 1
; COMPUTE_PGM_RSRC2:TIDIG_COMP_CNT: 1
; COMPUTE_PGM_RSRC3_GFX90A:ACCUM_OFFSET: 34
; COMPUTE_PGM_RSRC3_GFX90A:TG_SPLIT: 0
	.section	.text._ZN12_GLOBAL__N_127rocblas_gemm_batched_kernelI19rocblas_complex_numIdELi16ELi16ELi64ELi64ELi4ELi64ELi4ELi4ELi64ELc67ELc78EKS2_S3_S2_EEvlllT_PT11_llS6_llS4_PT12_llPT13_lli,"axG",@progbits,_ZN12_GLOBAL__N_127rocblas_gemm_batched_kernelI19rocblas_complex_numIdELi16ELi16ELi64ELi64ELi4ELi64ELi4ELi4ELi64ELc67ELc78EKS2_S3_S2_EEvlllT_PT11_llS6_llS4_PT12_llPT13_lli,comdat
	.globl	_ZN12_GLOBAL__N_127rocblas_gemm_batched_kernelI19rocblas_complex_numIdELi16ELi16ELi64ELi64ELi4ELi64ELi4ELi4ELi64ELc67ELc78EKS2_S3_S2_EEvlllT_PT11_llS6_llS4_PT12_llPT13_lli ; -- Begin function _ZN12_GLOBAL__N_127rocblas_gemm_batched_kernelI19rocblas_complex_numIdELi16ELi16ELi64ELi64ELi4ELi64ELi4ELi4ELi64ELc67ELc78EKS2_S3_S2_EEvlllT_PT11_llS6_llS4_PT12_llPT13_lli
	.p2align	8
	.type	_ZN12_GLOBAL__N_127rocblas_gemm_batched_kernelI19rocblas_complex_numIdELi16ELi16ELi64ELi64ELi4ELi64ELi4ELi4ELi64ELc67ELc78EKS2_S3_S2_EEvlllT_PT11_llS6_llS4_PT12_llPT13_lli,@function
_ZN12_GLOBAL__N_127rocblas_gemm_batched_kernelI19rocblas_complex_numIdELi16ELi16ELi64ELi64ELi4ELi64ELi4ELi4ELi64ELc67ELc78EKS2_S3_S2_EEvlllT_PT11_llS6_llS4_PT12_llPT13_lli: ; @_ZN12_GLOBAL__N_127rocblas_gemm_batched_kernelI19rocblas_complex_numIdELi16ELi16ELi64ELi64ELi4ELi64ELi4ELi4ELi64ELc67ELc78EKS2_S3_S2_EEvlllT_PT11_llS6_llS4_PT12_llPT13_lli
; %bb.0:
	s_load_dwordx16 s[36:51], s[0:1], 0x10
	s_load_dwordx16 s[8:23], s[0:1], 0x50
	s_mov_b32 s6, s3
	v_mov_b32_e32 v27, 0
	s_ashr_i32 s3, s2, 31
	s_ashr_i32 s7, s6, 31
	s_waitcnt lgkmcnt(0)
	v_cmp_lt_i64_e64 s[24:25], s[36:37], 1
	v_bfe_u32 v26, v0, 10, 10
	v_and_b32_e32 v24, 0x3ff, v0
	v_mov_b32_e32 v25, v27
	s_lshl_b64 s[2:3], s[2:3], 6
	s_lshl_b64 s[6:7], s[6:7], 6
	s_and_b64 vcc, exec, s[24:25]
	s_cbranch_vccnz .LBB123_3
; %bb.1:
	v_lshl_add_u32 v6, v26, 4, v24
	v_lshrrev_b32_e32 v0, 2, v6
	v_mov_b32_e32 v1, v27
	v_and_b32_e32 v4, 63, v6
	v_lshl_add_u64 v[2:3], v[0:1], 0, s[6:7]
	v_and_b32_e32 v1, 3, v24
	v_lshrrev_b32_e32 v7, 6, v6
	v_lshlrev_b32_e32 v6, 4, v4
	v_lshl_or_b32 v110, v7, 10, v6
	v_lshlrev_b32_e32 v6, 4, v1
	v_lshl_or_b32 v0, v0, 6, v6
	v_mov_b32_e32 v5, v27
	v_add_u32_e32 v111, 0x1000, v0
	v_mov_b32_e32 v0, 0x1000
	v_lshl_add_u32 v113, v26, 6, v0
	v_lshl_add_u64 v[0:1], s[2:3], 0, v[4:5]
	v_mul_lo_u32 v4, s45, v0
	v_mul_lo_u32 v5, s44, v1
	v_mad_u64_u32 v[0:1], s[24:25], s44, v0, 0
	s_mul_i32 s5, s47, s4
	s_mul_hi_u32 s24, s46, s4
	s_add_i32 s25, s24, s5
	s_mul_i32 s24, s46, s4
	v_add3_u32 v1, v1, v5, v4
	s_lshl_b64 s[24:25], s[24:25], 4
	v_lshl_add_u64 v[0:1], v[0:1], 4, s[24:25]
	v_lshlrev_b32_e32 v4, 4, v7
	v_mov_b32_e32 v5, v27
	v_lshl_add_u64 v[0:1], v[0:1], 0, v[4:5]
	v_lshl_add_u64 v[0:1], s[42:43], 0, v[0:1]
	s_mul_i32 s5, s9, s4
	s_mul_hi_u32 s9, s8, s4
	v_lshl_add_u64 v[28:29], v[0:1], 0, 8
	v_mul_lo_u32 v4, s51, v2
	v_mul_lo_u32 v3, s50, v3
	v_mad_u64_u32 v[0:1], s[24:25], s50, v2, 0
	s_add_i32 s9, s9, s5
	s_mul_i32 s8, s8, s4
	v_add3_u32 v1, v1, v3, v4
	s_lshl_b64 s[8:9], s[8:9], 4
	v_lshl_add_u64 v[0:1], v[0:1], 4, s[8:9]
	v_mov_b32_e32 v7, v27
	v_lshl_add_u64 v[0:1], v[0:1], 0, v[6:7]
	v_lshlrev_b32_e32 v112, 4, v24
	v_lshl_add_u64 v[30:31], s[48:49], 0, v[0:1]
	s_mov_b64 s[8:9], 0
	v_mov_b64_e32 v[10:11], 0
	v_mov_b64_e32 v[32:33], s[36:37]
	;; [unrolled: 1-line block ×33, first 2 shown]
.LBB123_2:                              ; =>This Inner Loop Header: Depth=1
	global_load_dwordx4 v[0:3], v[28:29], off offset:-8
	s_add_u32 s8, s8, 4
	s_addc_u32 s9, s9, 0
	v_cmp_lt_i64_e32 vcc, s[8:9], v[32:33]
	v_lshl_add_u64 v[28:29], v[28:29], 0, 64
	s_and_b64 vcc, exec, vcc
	s_waitcnt vmcnt(0)
	v_xor_b32_e32 v3, 0x80000000, v3
	ds_write_b128 v110, v[0:3]
	global_load_dwordx4 v[0:3], v[30:31], off
	v_lshl_add_u64 v[30:31], v[30:31], 0, 64
	s_waitcnt vmcnt(0)
	ds_write2_b64 v111, v[0:1], v[2:3] offset1:1
	s_waitcnt lgkmcnt(0)
	s_barrier
	ds_read_b128 v[82:85], v113
	ds_read_b128 v[114:117], v113 offset:16
	ds_read_b128 v[4:7], v113 offset:32
	;; [unrolled: 1-line block ×3, first 2 shown]
	ds_read_b128 v[118:121], v112
	s_waitcnt lgkmcnt(0)
	v_mul_f64 v[86:87], v[84:85], v[120:121]
	v_mul_f64 v[88:89], v[82:83], v[120:121]
	v_fma_f64 v[86:87], v[82:83], v[118:119], -v[86:87]
	v_fmac_f64_e32 v[88:89], v[84:85], v[118:119]
	v_add_f64 v[122:123], v[54:55], v[86:87]
	v_add_f64 v[124:125], v[88:89], v[56:57]
	ds_read_b128 v[54:57], v112 offset:256
	s_waitcnt lgkmcnt(0)
	v_mul_f64 v[86:87], v[84:85], v[56:57]
	v_mul_f64 v[88:89], v[82:83], v[56:57]
	v_fma_f64 v[86:87], v[82:83], v[54:55], -v[86:87]
	v_fmac_f64_e32 v[88:89], v[84:85], v[54:55]
	v_add_f64 v[126:127], v[38:39], v[86:87]
	v_add_f64 v[128:129], v[88:89], v[40:41]
	ds_read_b128 v[38:41], v112 offset:512
	;; [unrolled: 8-line block ×3, first 2 shown]
	s_waitcnt lgkmcnt(0)
	v_mul_f64 v[86:87], v[84:85], v[36:37]
	v_fma_f64 v[86:87], v[82:83], v[34:35], -v[86:87]
	v_mul_f64 v[82:83], v[82:83], v[36:37]
	v_fmac_f64_e32 v[82:83], v[84:85], v[34:35]
	v_add_f64 v[134:135], v[20:21], v[86:87]
	v_add_f64 v[136:137], v[82:83], v[22:23]
	ds_read_b128 v[20:23], v113 offset:1024
	s_waitcnt lgkmcnt(0)
	v_mul_f64 v[82:83], v[22:23], v[120:121]
	v_fma_f64 v[82:83], v[20:21], v[118:119], -v[82:83]
	v_add_f64 v[74:75], v[74:75], v[82:83]
	v_mul_f64 v[82:83], v[22:23], v[56:57]
	v_mul_f64 v[84:85], v[20:21], v[120:121]
	v_fma_f64 v[82:83], v[20:21], v[54:55], -v[82:83]
	v_fmac_f64_e32 v[84:85], v[22:23], v[118:119]
	v_add_f64 v[98:99], v[66:67], v[82:83]
	v_mul_f64 v[66:67], v[22:23], v[40:41]
	v_add_f64 v[76:77], v[84:85], v[76:77]
	v_mul_f64 v[84:85], v[20:21], v[56:57]
	v_fma_f64 v[66:67], v[20:21], v[38:39], -v[66:67]
	v_fmac_f64_e32 v[84:85], v[22:23], v[54:55]
	v_add_f64 v[102:103], v[58:59], v[66:67]
	v_mul_f64 v[58:59], v[22:23], v[36:37]
	v_add_f64 v[100:101], v[84:85], v[68:69]
	v_mul_f64 v[68:69], v[20:21], v[40:41]
	v_fma_f64 v[58:59], v[20:21], v[34:35], -v[58:59]
	v_mul_f64 v[20:21], v[20:21], v[36:37]
	v_fmac_f64_e32 v[20:21], v[22:23], v[34:35]
	v_fmac_f64_e32 v[68:69], v[22:23], v[38:39]
	v_add_f64 v[108:109], v[20:21], v[50:51]
	ds_read_b128 v[20:23], v113 offset:2048
	v_add_f64 v[106:107], v[46:47], v[58:59]
	v_add_f64 v[104:105], v[68:69], v[62:63]
	s_waitcnt lgkmcnt(0)
	v_mul_f64 v[46:47], v[22:23], v[120:121]
	v_fma_f64 v[46:47], v[20:21], v[118:119], -v[46:47]
	v_add_f64 v[82:83], v[70:71], v[46:47]
	v_mul_f64 v[46:47], v[22:23], v[56:57]
	v_mul_f64 v[50:51], v[20:21], v[120:121]
	v_fma_f64 v[46:47], v[20:21], v[54:55], -v[46:47]
	v_fmac_f64_e32 v[50:51], v[22:23], v[118:119]
	v_add_f64 v[86:87], v[60:61], v[46:47]
	v_mul_f64 v[46:47], v[22:23], v[40:41]
	v_add_f64 v[84:85], v[50:51], v[72:73]
	v_mul_f64 v[50:51], v[20:21], v[56:57]
	v_fma_f64 v[46:47], v[20:21], v[38:39], -v[46:47]
	v_fmac_f64_e32 v[50:51], v[22:23], v[54:55]
	v_add_f64 v[90:91], v[48:49], v[46:47]
	v_mul_f64 v[46:47], v[22:23], v[36:37]
	v_add_f64 v[88:89], v[50:51], v[64:65]
	v_mul_f64 v[50:51], v[20:21], v[40:41]
	v_fma_f64 v[46:47], v[20:21], v[34:35], -v[46:47]
	v_mul_f64 v[20:21], v[20:21], v[36:37]
	v_fmac_f64_e32 v[20:21], v[22:23], v[34:35]
	v_fmac_f64_e32 v[50:51], v[22:23], v[38:39]
	v_add_f64 v[96:97], v[20:21], v[44:45]
	ds_read_b128 v[20:23], v113 offset:3072
	v_add_f64 v[94:95], v[42:43], v[46:47]
	v_add_f64 v[92:93], v[50:51], v[52:53]
	s_waitcnt lgkmcnt(0)
	v_mul_f64 v[42:43], v[22:23], v[120:121]
	v_mul_f64 v[44:45], v[20:21], v[120:121]
	v_fma_f64 v[42:43], v[20:21], v[118:119], -v[42:43]
	v_fmac_f64_e32 v[44:45], v[22:23], v[118:119]
	v_add_f64 v[62:63], v[78:79], v[42:43]
	v_add_f64 v[64:65], v[44:45], v[80:81]
	v_mul_f64 v[42:43], v[22:23], v[56:57]
	v_mul_f64 v[44:45], v[20:21], v[56:57]
	v_fma_f64 v[42:43], v[20:21], v[54:55], -v[42:43]
	v_fmac_f64_e32 v[44:45], v[22:23], v[54:55]
	v_add_f64 v[58:59], v[16:17], v[42:43]
	v_add_f64 v[60:61], v[44:45], v[18:19]
	;; [unrolled: 6-line block ×3, first 2 shown]
	v_mul_f64 v[12:13], v[22:23], v[36:37]
	v_mul_f64 v[14:15], v[20:21], v[36:37]
	v_fma_f64 v[12:13], v[20:21], v[34:35], -v[12:13]
	v_fmac_f64_e32 v[14:15], v[22:23], v[34:35]
	ds_read_b128 v[20:23], v112 offset:1024
	ds_read_b128 v[16:19], v112 offset:1280
	v_add_f64 v[50:51], v[8:9], v[12:13]
	v_add_f64 v[52:53], v[14:15], v[10:11]
	ds_read_b128 v[12:15], v112 offset:1536
	ds_read_b128 v[78:81], v113 offset:1040
	s_waitcnt lgkmcnt(3)
	v_mul_f64 v[8:9], v[116:117], v[22:23]
	v_mul_f64 v[10:11], v[114:115], v[22:23]
	v_fma_f64 v[8:9], v[114:115], v[20:21], -v[8:9]
	v_fmac_f64_e32 v[10:11], v[116:117], v[20:21]
	v_add_f64 v[46:47], v[122:123], v[8:9]
	v_add_f64 v[48:49], v[10:11], v[124:125]
	s_waitcnt lgkmcnt(2)
	v_mul_f64 v[8:9], v[116:117], v[18:19]
	v_mul_f64 v[10:11], v[114:115], v[18:19]
	v_fma_f64 v[8:9], v[114:115], v[16:17], -v[8:9]
	v_fmac_f64_e32 v[10:11], v[116:117], v[16:17]
	v_add_f64 v[42:43], v[126:127], v[8:9]
	v_add_f64 v[44:45], v[10:11], v[128:129]
	s_waitcnt lgkmcnt(1)
	v_mul_f64 v[8:9], v[116:117], v[14:15]
	v_mul_f64 v[10:11], v[114:115], v[14:15]
	v_fma_f64 v[8:9], v[114:115], v[12:13], -v[8:9]
	v_fmac_f64_e32 v[10:11], v[116:117], v[12:13]
	v_add_f64 v[38:39], v[130:131], v[8:9]
	v_add_f64 v[40:41], v[10:11], v[132:133]
	ds_read_b128 v[8:11], v112 offset:1792
	s_waitcnt lgkmcnt(1)
	v_mul_f64 v[70:71], v[80:81], v[18:19]
	v_mul_f64 v[72:73], v[78:79], v[18:19]
	;; [unrolled: 1-line block ×4, first 2 shown]
	v_fma_f64 v[70:71], v[78:79], v[16:17], -v[70:71]
	v_fmac_f64_e32 v[72:73], v[80:81], v[16:17]
	v_fma_f64 v[66:67], v[78:79], v[20:21], -v[66:67]
	v_fmac_f64_e32 v[68:69], v[80:81], v[20:21]
	v_add_f64 v[70:71], v[98:99], v[70:71]
	v_add_f64 v[72:73], v[72:73], v[100:101]
	s_waitcnt lgkmcnt(0)
	v_mul_f64 v[98:99], v[80:81], v[10:11]
	v_mul_f64 v[100:101], v[78:79], v[10:11]
	v_add_f64 v[66:67], v[74:75], v[66:67]
	v_add_f64 v[68:69], v[68:69], v[76:77]
	v_mul_f64 v[74:75], v[80:81], v[14:15]
	v_mul_f64 v[76:77], v[78:79], v[14:15]
	v_fma_f64 v[98:99], v[78:79], v[8:9], -v[98:99]
	v_fmac_f64_e32 v[100:101], v[80:81], v[8:9]
	v_fma_f64 v[74:75], v[78:79], v[12:13], -v[74:75]
	v_fmac_f64_e32 v[76:77], v[80:81], v[12:13]
	v_add_f64 v[78:79], v[106:107], v[98:99]
	v_add_f64 v[80:81], v[100:101], v[108:109]
	ds_read_b128 v[98:101], v113 offset:2064
	v_add_f64 v[74:75], v[102:103], v[74:75]
	v_add_f64 v[76:77], v[76:77], v[104:105]
	v_mul_f64 v[34:35], v[116:117], v[10:11]
	v_mul_f64 v[36:37], v[114:115], v[10:11]
	s_waitcnt lgkmcnt(0)
	v_mul_f64 v[102:103], v[100:101], v[22:23]
	v_mul_f64 v[104:105], v[98:99], v[22:23]
	v_fma_f64 v[102:103], v[98:99], v[20:21], -v[102:103]
	v_fmac_f64_e32 v[104:105], v[100:101], v[20:21]
	v_add_f64 v[82:83], v[82:83], v[102:103]
	v_add_f64 v[84:85], v[104:105], v[84:85]
	v_mul_f64 v[102:103], v[100:101], v[18:19]
	v_mul_f64 v[104:105], v[98:99], v[18:19]
	v_fma_f64 v[102:103], v[98:99], v[16:17], -v[102:103]
	v_fmac_f64_e32 v[104:105], v[100:101], v[16:17]
	v_add_f64 v[86:87], v[86:87], v[102:103]
	v_add_f64 v[88:89], v[104:105], v[88:89]
	;; [unrolled: 6-line block ×4, first 2 shown]
	ds_read_b128 v[94:97], v113 offset:3088
	v_fma_f64 v[34:35], v[114:115], v[8:9], -v[34:35]
	v_fmac_f64_e32 v[36:37], v[116:117], v[8:9]
	v_add_f64 v[36:37], v[36:37], v[136:137]
	v_add_f64 v[34:35], v[134:135], v[34:35]
	s_waitcnt lgkmcnt(0)
	v_mul_f64 v[102:103], v[96:97], v[22:23]
	v_mul_f64 v[22:23], v[94:95], v[22:23]
	v_fma_f64 v[102:103], v[94:95], v[20:21], -v[102:103]
	v_fmac_f64_e32 v[22:23], v[96:97], v[20:21]
	v_mul_f64 v[20:21], v[96:97], v[18:19]
	v_mul_f64 v[18:19], v[94:95], v[18:19]
	v_fma_f64 v[20:21], v[94:95], v[16:17], -v[20:21]
	v_fmac_f64_e32 v[18:19], v[96:97], v[16:17]
	;; [unrolled: 4-line block ×3, first 2 shown]
	v_mul_f64 v[12:13], v[96:97], v[10:11]
	v_mul_f64 v[10:11], v[94:95], v[10:11]
	v_fmac_f64_e32 v[10:11], v[96:97], v[8:9]
	v_fma_f64 v[12:13], v[94:95], v[8:9], -v[12:13]
	v_add_f64 v[116:117], v[10:11], v[52:53]
	ds_read_b128 v[8:11], v112 offset:2048
	v_add_f64 v[56:57], v[14:15], v[56:57]
	v_add_f64 v[114:115], v[50:51], v[12:13]
	;; [unrolled: 1-line block ×4, first 2 shown]
	s_waitcnt lgkmcnt(0)
	v_mul_f64 v[12:13], v[6:7], v[10:11]
	v_mul_f64 v[14:15], v[4:5], v[10:11]
	v_fma_f64 v[12:13], v[4:5], v[8:9], -v[12:13]
	v_fmac_f64_e32 v[14:15], v[6:7], v[8:9]
	v_add_f64 v[118:119], v[46:47], v[12:13]
	v_add_f64 v[120:121], v[14:15], v[48:49]
	ds_read_b128 v[12:15], v112 offset:2304
	v_add_f64 v[104:105], v[22:23], v[64:65]
	v_add_f64 v[106:107], v[58:59], v[20:21]
	;; [unrolled: 1-line block ×3, first 2 shown]
	s_waitcnt lgkmcnt(0)
	v_mul_f64 v[16:17], v[6:7], v[14:15]
	v_mul_f64 v[18:19], v[4:5], v[14:15]
	v_fma_f64 v[16:17], v[4:5], v[12:13], -v[16:17]
	v_fmac_f64_e32 v[18:19], v[6:7], v[12:13]
	v_add_f64 v[122:123], v[42:43], v[16:17]
	v_add_f64 v[124:125], v[18:19], v[44:45]
	ds_read_b128 v[16:19], v112 offset:2560
	s_waitcnt lgkmcnt(0)
	v_mul_f64 v[20:21], v[6:7], v[18:19]
	v_mul_f64 v[22:23], v[4:5], v[18:19]
	v_fma_f64 v[20:21], v[4:5], v[16:17], -v[20:21]
	v_fmac_f64_e32 v[22:23], v[6:7], v[16:17]
	v_add_f64 v[126:127], v[38:39], v[20:21]
	v_add_f64 v[128:129], v[22:23], v[40:41]
	ds_read_b128 v[20:23], v112 offset:2816
	s_waitcnt lgkmcnt(0)
	v_mul_f64 v[38:39], v[6:7], v[22:23]
	v_fma_f64 v[38:39], v[4:5], v[20:21], -v[38:39]
	v_mul_f64 v[4:5], v[4:5], v[22:23]
	v_fmac_f64_e32 v[4:5], v[6:7], v[20:21]
	v_add_f64 v[132:133], v[4:5], v[36:37]
	ds_read_b128 v[4:7], v113 offset:1056
	v_add_f64 v[130:131], v[34:35], v[38:39]
	s_waitcnt lgkmcnt(0)
	v_mul_f64 v[34:35], v[6:7], v[10:11]
	v_fma_f64 v[34:35], v[4:5], v[8:9], -v[34:35]
	v_add_f64 v[46:47], v[66:67], v[34:35]
	v_mul_f64 v[34:35], v[6:7], v[14:15]
	v_mul_f64 v[36:37], v[4:5], v[10:11]
	v_fma_f64 v[34:35], v[4:5], v[12:13], -v[34:35]
	v_fmac_f64_e32 v[36:37], v[6:7], v[8:9]
	v_add_f64 v[58:59], v[70:71], v[34:35]
	v_mul_f64 v[34:35], v[6:7], v[18:19]
	v_add_f64 v[50:51], v[36:37], v[68:69]
	v_mul_f64 v[36:37], v[4:5], v[14:15]
	v_fma_f64 v[34:35], v[4:5], v[16:17], -v[34:35]
	v_fmac_f64_e32 v[36:37], v[6:7], v[12:13]
	v_add_f64 v[62:63], v[74:75], v[34:35]
	v_mul_f64 v[34:35], v[6:7], v[22:23]
	v_add_f64 v[60:61], v[36:37], v[72:73]
	v_mul_f64 v[36:37], v[4:5], v[18:19]
	v_fma_f64 v[34:35], v[4:5], v[20:21], -v[34:35]
	v_mul_f64 v[4:5], v[4:5], v[22:23]
	v_fmac_f64_e32 v[4:5], v[6:7], v[20:21]
	v_fmac_f64_e32 v[36:37], v[6:7], v[16:17]
	v_add_f64 v[72:73], v[4:5], v[80:81]
	ds_read_b128 v[4:7], v113 offset:2080
	v_add_f64 v[70:71], v[78:79], v[34:35]
	v_add_f64 v[64:65], v[36:37], v[76:77]
	s_waitcnt lgkmcnt(0)
	v_mul_f64 v[34:35], v[6:7], v[10:11]
	v_fma_f64 v[34:35], v[4:5], v[8:9], -v[34:35]
	v_add_f64 v[42:43], v[82:83], v[34:35]
	v_mul_f64 v[34:35], v[6:7], v[14:15]
	v_mul_f64 v[36:37], v[4:5], v[10:11]
	v_fma_f64 v[34:35], v[4:5], v[12:13], -v[34:35]
	v_fmac_f64_e32 v[36:37], v[6:7], v[8:9]
	v_add_f64 v[48:49], v[86:87], v[34:35]
	v_mul_f64 v[34:35], v[6:7], v[18:19]
	v_add_f64 v[44:45], v[36:37], v[84:85]
	v_mul_f64 v[36:37], v[4:5], v[14:15]
	v_fma_f64 v[34:35], v[4:5], v[16:17], -v[34:35]
	v_fmac_f64_e32 v[36:37], v[6:7], v[12:13]
	v_add_f64 v[94:95], v[90:91], v[34:35]
	v_mul_f64 v[34:35], v[6:7], v[22:23]
	v_add_f64 v[52:53], v[36:37], v[88:89]
	v_mul_f64 v[36:37], v[4:5], v[18:19]
	v_fma_f64 v[34:35], v[4:5], v[20:21], -v[34:35]
	v_mul_f64 v[4:5], v[4:5], v[22:23]
	v_fmac_f64_e32 v[4:5], v[6:7], v[20:21]
	v_fmac_f64_e32 v[36:37], v[6:7], v[16:17]
	v_add_f64 v[100:101], v[4:5], v[100:101]
	ds_read_b128 v[4:7], v113 offset:3104
	v_add_f64 v[98:99], v[98:99], v[34:35]
	v_add_f64 v[96:97], v[36:37], v[92:93]
	s_waitcnt lgkmcnt(0)
	v_mul_f64 v[34:35], v[6:7], v[10:11]
	v_mul_f64 v[10:11], v[4:5], v[10:11]
	v_fmac_f64_e32 v[10:11], v[6:7], v[8:9]
	v_fma_f64 v[34:35], v[4:5], v[8:9], -v[34:35]
	v_add_f64 v[80:81], v[10:11], v[104:105]
	v_mul_f64 v[8:9], v[6:7], v[14:15]
	v_mul_f64 v[10:11], v[4:5], v[14:15]
	v_fma_f64 v[8:9], v[4:5], v[12:13], -v[8:9]
	v_fmac_f64_e32 v[10:11], v[6:7], v[12:13]
	v_add_f64 v[90:91], v[106:107], v[8:9]
	v_add_f64 v[92:93], v[10:11], v[108:109]
	v_mul_f64 v[8:9], v[6:7], v[18:19]
	v_mul_f64 v[10:11], v[4:5], v[18:19]
	v_fma_f64 v[8:9], v[4:5], v[16:17], -v[8:9]
	v_fmac_f64_e32 v[10:11], v[6:7], v[16:17]
	ds_read_b128 v[16:19], v112 offset:3072
	ds_read_b128 v[12:15], v112 offset:3328
	v_add_f64 v[86:87], v[54:55], v[8:9]
	v_mul_f64 v[8:9], v[6:7], v[22:23]
	v_fma_f64 v[8:9], v[4:5], v[20:21], -v[8:9]
	v_mul_f64 v[4:5], v[4:5], v[22:23]
	v_add_f64 v[88:89], v[10:11], v[56:57]
	v_fmac_f64_e32 v[4:5], v[6:7], v[20:21]
	v_add_f64 v[82:83], v[114:115], v[8:9]
	ds_read_b128 v[8:11], v112 offset:3584
	v_add_f64 v[84:85], v[4:5], v[116:117]
	s_waitcnt lgkmcnt(2)
	v_mul_f64 v[4:5], v[2:3], v[18:19]
	v_mul_f64 v[6:7], v[0:1], v[18:19]
	v_fma_f64 v[4:5], v[0:1], v[16:17], -v[4:5]
	v_fmac_f64_e32 v[6:7], v[2:3], v[16:17]
	v_add_f64 v[54:55], v[118:119], v[4:5]
	v_add_f64 v[56:57], v[6:7], v[120:121]
	s_waitcnt lgkmcnt(1)
	v_mul_f64 v[4:5], v[2:3], v[14:15]
	v_mul_f64 v[6:7], v[0:1], v[14:15]
	v_fma_f64 v[4:5], v[0:1], v[12:13], -v[4:5]
	v_fmac_f64_e32 v[6:7], v[2:3], v[12:13]
	v_add_f64 v[38:39], v[122:123], v[4:5]
	;; [unrolled: 7-line block ×3, first 2 shown]
	v_add_f64 v[34:35], v[126:127], v[4:5]
	v_add_f64 v[36:37], v[6:7], v[128:129]
	ds_read_b128 v[4:7], v112 offset:3840
	s_waitcnt lgkmcnt(0)
	v_mul_f64 v[20:21], v[2:3], v[6:7]
	v_fma_f64 v[20:21], v[0:1], v[4:5], -v[20:21]
	v_mul_f64 v[0:1], v[0:1], v[6:7]
	v_fmac_f64_e32 v[0:1], v[2:3], v[4:5]
	v_add_f64 v[22:23], v[0:1], v[132:133]
	ds_read_b128 v[0:3], v113 offset:1072
	v_add_f64 v[20:21], v[130:131], v[20:21]
	s_waitcnt lgkmcnt(0)
	v_mul_f64 v[66:67], v[2:3], v[18:19]
	v_fma_f64 v[66:67], v[0:1], v[16:17], -v[66:67]
	v_add_f64 v[74:75], v[46:47], v[66:67]
	v_mul_f64 v[46:47], v[2:3], v[14:15]
	v_mul_f64 v[68:69], v[0:1], v[18:19]
	v_fma_f64 v[46:47], v[0:1], v[12:13], -v[46:47]
	v_fmac_f64_e32 v[68:69], v[2:3], v[16:17]
	v_add_f64 v[66:67], v[58:59], v[46:47]
	v_mul_f64 v[46:47], v[2:3], v[10:11]
	v_add_f64 v[76:77], v[68:69], v[50:51]
	v_mul_f64 v[50:51], v[0:1], v[14:15]
	v_fma_f64 v[46:47], v[0:1], v[8:9], -v[46:47]
	v_fmac_f64_e32 v[50:51], v[2:3], v[12:13]
	v_add_f64 v[58:59], v[62:63], v[46:47]
	v_mul_f64 v[46:47], v[2:3], v[6:7]
	v_add_f64 v[68:69], v[50:51], v[60:61]
	v_mul_f64 v[50:51], v[0:1], v[10:11]
	v_fma_f64 v[46:47], v[0:1], v[4:5], -v[46:47]
	v_mul_f64 v[0:1], v[0:1], v[6:7]
	v_fmac_f64_e32 v[50:51], v[2:3], v[8:9]
	v_fmac_f64_e32 v[0:1], v[2:3], v[4:5]
	v_add_f64 v[62:63], v[50:51], v[64:65]
	v_add_f64 v[50:51], v[0:1], v[72:73]
	ds_read_b128 v[0:3], v113 offset:2096
	v_add_f64 v[46:47], v[70:71], v[46:47]
	s_waitcnt lgkmcnt(0)
	v_mul_f64 v[60:61], v[2:3], v[18:19]
	v_fma_f64 v[60:61], v[0:1], v[16:17], -v[60:61]
	v_add_f64 v[70:71], v[42:43], v[60:61]
	v_mul_f64 v[42:43], v[2:3], v[14:15]
	v_mul_f64 v[64:65], v[0:1], v[18:19]
	v_fma_f64 v[42:43], v[0:1], v[12:13], -v[42:43]
	v_fmac_f64_e32 v[64:65], v[2:3], v[16:17]
	v_add_f64 v[60:61], v[48:49], v[42:43]
	v_mul_f64 v[42:43], v[2:3], v[10:11]
	v_add_f64 v[72:73], v[64:65], v[44:45]
	v_mul_f64 v[44:45], v[0:1], v[14:15]
	v_fma_f64 v[42:43], v[0:1], v[8:9], -v[42:43]
	v_fmac_f64_e32 v[44:45], v[2:3], v[12:13]
	v_add_f64 v[48:49], v[94:95], v[42:43]
	v_mul_f64 v[42:43], v[2:3], v[6:7]
	v_add_f64 v[64:65], v[44:45], v[52:53]
	v_mul_f64 v[44:45], v[0:1], v[10:11]
	v_fma_f64 v[42:43], v[0:1], v[4:5], -v[42:43]
	v_mul_f64 v[0:1], v[0:1], v[6:7]
	v_fmac_f64_e32 v[44:45], v[2:3], v[8:9]
	v_fmac_f64_e32 v[0:1], v[2:3], v[4:5]
	v_add_f64 v[52:53], v[44:45], v[96:97]
	v_add_f64 v[44:45], v[0:1], v[100:101]
	ds_read_b128 v[0:3], v113 offset:3120
	v_add_f64 v[42:43], v[98:99], v[42:43]
	s_waitcnt lgkmcnt(0)
	s_barrier
	v_mul_f64 v[94:95], v[2:3], v[18:19]
	v_mul_f64 v[18:19], v[0:1], v[18:19]
	v_fma_f64 v[94:95], v[0:1], v[16:17], -v[94:95]
	v_fmac_f64_e32 v[18:19], v[2:3], v[16:17]
	v_mul_f64 v[16:17], v[2:3], v[14:15]
	v_mul_f64 v[14:15], v[0:1], v[14:15]
	v_fma_f64 v[16:17], v[0:1], v[12:13], -v[16:17]
	v_fmac_f64_e32 v[14:15], v[2:3], v[12:13]
	;; [unrolled: 4-line block ×3, first 2 shown]
	v_mul_f64 v[8:9], v[2:3], v[6:7]
	v_fma_f64 v[8:9], v[0:1], v[4:5], -v[8:9]
	v_mul_f64 v[0:1], v[0:1], v[6:7]
	v_fmac_f64_e32 v[0:1], v[2:3], v[4:5]
	v_add_f64 v[78:79], v[78:79], v[94:95]
	v_add_f64 v[80:81], v[18:19], v[80:81]
	;; [unrolled: 1-line block ×8, first 2 shown]
	s_cbranch_vccnz .LBB123_2
	s_branch .LBB123_4
.LBB123_3:
	v_mov_b64_e32 v[54:55], 0
	v_mov_b64_e32 v[56:57], 0
	;; [unrolled: 1-line block ×32, first 2 shown]
.LBB123_4:
	s_load_dwordx2 s[0:1], s[0:1], 0x90
	v_cmp_neq_f64_e64 s[8:9], s[10:11], 0
	v_lshl_add_u64 v[2:3], s[6:7], 0, v[26:27]
	s_mov_b64 s[6:7], 0
	v_lshl_add_u64 v[0:1], s[2:3], 0, v[24:25]
	s_waitcnt lgkmcnt(0)
	s_mul_i32 s1, s1, s4
	s_mul_hi_u32 s5, s0, s4
	s_mul_i32 s0, s0, s4
	s_add_i32 s1, s5, s1
	s_lshl_b64 s[0:1], s[0:1], 4
	s_add_u32 s0, s20, s0
	s_addc_u32 s1, s21, s1
	v_cmp_neq_f64_e64 s[20:21], s[12:13], 0
	s_or_b64 s[8:9], s[8:9], s[20:21]
	s_and_b64 vcc, exec, s[8:9]
	s_cbranch_vccnz .LBB123_6
; %bb.5:
	v_mul_lo_u32 v6, v3, s22
	v_mul_lo_u32 v7, v2, s23
	v_mad_u64_u32 v[4:5], s[2:3], v2, s22, 0
	v_add3_u32 v5, v5, v7, v6
	v_lshl_add_u64 v[24:25], v[4:5], 4, s[0:1]
	v_mul_f64 v[4:5], s[40:41], v[56:57]
	v_mul_f64 v[6:7], s[38:39], v[56:57]
	v_lshlrev_b64 v[26:27], 4, v[0:1]
	v_fma_f64 v[4:5], s[38:39], v[54:55], -v[4:5]
	v_fmac_f64_e32 v[6:7], s[40:41], v[54:55]
	v_lshl_add_u64 v[28:29], v[24:25], 0, v[26:27]
	global_store_dwordx4 v[28:29], v[4:7], off
	s_lshl_b64 s[2:3], s[22:23], 8
	v_lshl_add_u64 v[24:25], v[24:25], 0, s[2:3]
	v_mul_f64 v[4:5], s[40:41], v[40:41]
	v_mul_f64 v[6:7], s[38:39], v[40:41]
	v_fma_f64 v[4:5], s[38:39], v[38:39], -v[4:5]
	v_fmac_f64_e32 v[6:7], s[40:41], v[38:39]
	global_store_dwordx4 v[28:29], v[4:7], off offset:256
	s_nop 1
	v_mul_f64 v[4:5], s[40:41], v[36:37]
	v_mul_f64 v[6:7], s[38:39], v[36:37]
	v_fma_f64 v[4:5], s[38:39], v[34:35], -v[4:5]
	v_fmac_f64_e32 v[6:7], s[40:41], v[34:35]
	global_store_dwordx4 v[28:29], v[4:7], off offset:512
	s_nop 1
	v_mul_f64 v[4:5], s[40:41], v[22:23]
	v_mul_f64 v[6:7], s[38:39], v[22:23]
	v_fma_f64 v[4:5], s[38:39], v[20:21], -v[4:5]
	v_fmac_f64_e32 v[6:7], s[40:41], v[20:21]
	global_store_dwordx4 v[28:29], v[4:7], off offset:768
	v_lshl_add_u64 v[28:29], v[24:25], 0, v[26:27]
	v_lshl_add_u64 v[24:25], v[24:25], 0, s[2:3]
	v_mul_f64 v[4:5], s[40:41], v[76:77]
	v_mul_f64 v[6:7], s[38:39], v[76:77]
	v_fma_f64 v[4:5], s[38:39], v[74:75], -v[4:5]
	v_fmac_f64_e32 v[6:7], s[40:41], v[74:75]
	global_store_dwordx4 v[28:29], v[4:7], off
	s_nop 1
	v_mul_f64 v[4:5], s[40:41], v[68:69]
	v_mul_f64 v[6:7], s[38:39], v[68:69]
	v_fma_f64 v[4:5], s[38:39], v[66:67], -v[4:5]
	v_fmac_f64_e32 v[6:7], s[40:41], v[66:67]
	global_store_dwordx4 v[28:29], v[4:7], off offset:256
	s_nop 1
	v_mul_f64 v[4:5], s[40:41], v[62:63]
	v_mul_f64 v[6:7], s[38:39], v[62:63]
	v_fma_f64 v[4:5], s[38:39], v[58:59], -v[4:5]
	v_fmac_f64_e32 v[6:7], s[40:41], v[58:59]
	global_store_dwordx4 v[28:29], v[4:7], off offset:512
	s_nop 1
	v_mul_f64 v[4:5], s[40:41], v[50:51]
	v_mul_f64 v[6:7], s[38:39], v[50:51]
	v_fma_f64 v[4:5], s[38:39], v[46:47], -v[4:5]
	v_fmac_f64_e32 v[6:7], s[40:41], v[46:47]
	global_store_dwordx4 v[28:29], v[4:7], off offset:768
	v_lshl_add_u64 v[28:29], v[24:25], 0, v[26:27]
	v_lshl_add_u64 v[24:25], v[24:25], 0, s[2:3]
	v_mul_f64 v[4:5], s[40:41], v[72:73]
	v_mul_f64 v[6:7], s[38:39], v[72:73]
	v_fma_f64 v[4:5], s[38:39], v[70:71], -v[4:5]
	v_fmac_f64_e32 v[6:7], s[40:41], v[70:71]
	global_store_dwordx4 v[28:29], v[4:7], off
	v_lshl_add_u64 v[24:25], v[24:25], 0, v[26:27]
	s_mov_b64 s[2:3], 0x300
	v_mul_f64 v[4:5], s[40:41], v[64:65]
	v_mul_f64 v[6:7], s[38:39], v[64:65]
	v_fma_f64 v[4:5], s[38:39], v[60:61], -v[4:5]
	v_fmac_f64_e32 v[6:7], s[40:41], v[60:61]
	global_store_dwordx4 v[28:29], v[4:7], off offset:256
	s_nop 1
	v_mul_f64 v[4:5], s[40:41], v[52:53]
	v_mul_f64 v[6:7], s[38:39], v[52:53]
	v_fma_f64 v[4:5], s[38:39], v[48:49], -v[4:5]
	v_fmac_f64_e32 v[6:7], s[40:41], v[48:49]
	global_store_dwordx4 v[28:29], v[4:7], off offset:512
	s_nop 1
	;; [unrolled: 6-line block ×3, first 2 shown]
	v_mul_f64 v[4:5], s[40:41], v[80:81]
	v_mul_f64 v[6:7], s[38:39], v[80:81]
	v_fma_f64 v[4:5], s[38:39], v[78:79], -v[4:5]
	v_fmac_f64_e32 v[6:7], s[40:41], v[78:79]
	global_store_dwordx4 v[24:25], v[4:7], off
	s_nop 1
	v_mul_f64 v[4:5], s[40:41], v[18:19]
	v_mul_f64 v[6:7], s[38:39], v[18:19]
	v_fma_f64 v[4:5], s[38:39], v[16:17], -v[4:5]
	v_fmac_f64_e32 v[6:7], s[40:41], v[16:17]
	global_store_dwordx4 v[24:25], v[4:7], off offset:256
	s_nop 1
	v_mul_f64 v[4:5], s[40:41], v[14:15]
	v_mul_f64 v[6:7], s[38:39], v[14:15]
	v_fma_f64 v[4:5], s[38:39], v[12:13], -v[4:5]
	v_fmac_f64_e32 v[6:7], s[40:41], v[12:13]
	global_store_dwordx4 v[24:25], v[4:7], off offset:512
	s_nop 1
	v_mul_f64 v[4:5], s[40:41], v[10:11]
	v_fma_f64 v[26:27], s[38:39], v[8:9], -v[4:5]
	v_mul_f64 v[4:5], s[38:39], v[10:11]
	v_fmac_f64_e32 v[4:5], s[40:41], v[8:9]
	v_lshl_add_u64 v[6:7], v[24:25], 0, s[2:3]
	global_store_dwordx2 v[24:25], v[26:27], off offset:768
	s_andn2_b64 vcc, exec, s[6:7]
	s_cbranch_vccz .LBB123_7
	s_branch .LBB123_8
.LBB123_6:
                                        ; implicit-def: $vgpr4_vgpr5
                                        ; implicit-def: $vgpr6_vgpr7
.LBB123_7:
	s_mul_i32 s2, s19, s4
	s_mul_hi_u32 s3, s18, s4
	s_add_i32 s3, s3, s2
	s_mul_i32 s2, s18, s4
	s_lshl_b64 s[2:3], s[2:3], 4
	s_add_u32 s2, s14, s2
	v_mul_lo_u32 v6, v3, s16
	v_mul_lo_u32 v7, v2, s17
	v_mad_u64_u32 v[4:5], s[4:5], v2, s16, 0
	s_addc_u32 s3, s15, s3
	v_add3_u32 v5, v5, v7, v6
	v_lshl_add_u64 v[24:25], v[4:5], 4, s[2:3]
	v_lshlrev_b64 v[0:1], 4, v[0:1]
	v_lshl_add_u64 v[26:27], v[24:25], 0, v[0:1]
	global_load_dwordx4 v[4:7], v[26:27], off
	v_mul_lo_u32 v32, v3, s22
	v_mul_lo_u32 v33, v2, s23
	v_mad_u64_u32 v[2:3], s[2:3], v2, s22, 0
	v_add3_u32 v3, v3, v33, v32
	v_mul_f64 v[28:29], s[40:41], v[56:57]
	v_mul_f64 v[30:31], s[38:39], v[56:57]
	v_lshl_add_u64 v[32:33], v[2:3], 4, s[0:1]
	v_fma_f64 v[28:29], s[38:39], v[54:55], -v[28:29]
	v_fmac_f64_e32 v[30:31], s[40:41], v[54:55]
	v_lshl_add_u64 v[54:55], v[32:33], 0, v[0:1]
	s_lshl_b64 s[0:1], s[16:17], 8
	s_lshl_b64 s[2:3], s[22:23], 8
	s_waitcnt vmcnt(0)
	v_mul_f64 v[2:3], s[12:13], v[6:7]
	v_mul_f64 v[6:7], s[10:11], v[6:7]
	v_fma_f64 v[2:3], s[10:11], v[4:5], -v[2:3]
	v_fmac_f64_e32 v[6:7], s[12:13], v[4:5]
	v_add_f64 v[2:3], v[28:29], v[2:3]
	v_add_f64 v[4:5], v[30:31], v[6:7]
	global_store_dwordx4 v[54:55], v[2:5], off
	global_load_dwordx4 v[2:5], v[26:27], off offset:256
	v_mul_f64 v[6:7], s[40:41], v[40:41]
	v_mul_f64 v[28:29], s[38:39], v[40:41]
	v_fma_f64 v[6:7], s[38:39], v[38:39], -v[6:7]
	v_fmac_f64_e32 v[28:29], s[40:41], v[38:39]
	s_waitcnt vmcnt(0)
	v_mul_f64 v[30:31], s[12:13], v[4:5]
	v_mul_f64 v[4:5], s[10:11], v[4:5]
	v_fma_f64 v[30:31], s[10:11], v[2:3], -v[30:31]
	v_fmac_f64_e32 v[4:5], s[12:13], v[2:3]
	v_add_f64 v[2:3], v[6:7], v[30:31]
	v_add_f64 v[4:5], v[28:29], v[4:5]
	global_store_dwordx4 v[54:55], v[2:5], off offset:256
	global_load_dwordx4 v[2:5], v[26:27], off offset:512
	v_mul_f64 v[6:7], s[40:41], v[36:37]
	v_mul_f64 v[28:29], s[38:39], v[36:37]
	v_fma_f64 v[6:7], s[38:39], v[34:35], -v[6:7]
	v_fmac_f64_e32 v[28:29], s[40:41], v[34:35]
	s_waitcnt vmcnt(0)
	v_mul_f64 v[30:31], s[12:13], v[4:5]
	v_mul_f64 v[4:5], s[10:11], v[4:5]
	v_fma_f64 v[30:31], s[10:11], v[2:3], -v[30:31]
	v_fmac_f64_e32 v[4:5], s[12:13], v[2:3]
	v_add_f64 v[2:3], v[6:7], v[30:31]
	v_add_f64 v[4:5], v[28:29], v[4:5]
	global_store_dwordx4 v[54:55], v[2:5], off offset:512
	global_load_dwordx4 v[2:5], v[26:27], off offset:768
	v_mul_f64 v[6:7], s[40:41], v[22:23]
	v_mul_f64 v[22:23], s[38:39], v[22:23]
	v_fma_f64 v[6:7], s[38:39], v[20:21], -v[6:7]
	v_fmac_f64_e32 v[22:23], s[40:41], v[20:21]
	v_lshl_add_u64 v[20:21], v[24:25], 0, s[0:1]
	v_lshl_add_u64 v[24:25], v[20:21], 0, v[0:1]
	;; [unrolled: 1-line block ×3, first 2 shown]
	s_waitcnt vmcnt(0)
	v_mul_f64 v[26:27], s[12:13], v[4:5]
	v_mul_f64 v[4:5], s[10:11], v[4:5]
	v_fma_f64 v[26:27], s[10:11], v[2:3], -v[26:27]
	v_fmac_f64_e32 v[4:5], s[12:13], v[2:3]
	v_add_f64 v[2:3], v[6:7], v[26:27]
	v_add_f64 v[4:5], v[22:23], v[4:5]
	global_store_dwordx4 v[54:55], v[2:5], off offset:768
	global_load_dwordx4 v[2:5], v[24:25], off
	v_mul_f64 v[6:7], s[40:41], v[76:77]
	v_mul_f64 v[22:23], s[38:39], v[76:77]
	v_fma_f64 v[6:7], s[38:39], v[74:75], -v[6:7]
	v_fmac_f64_e32 v[22:23], s[40:41], v[74:75]
	v_lshl_add_u64 v[26:27], v[32:33], 0, s[2:3]
	v_lshl_add_u64 v[28:29], v[26:27], 0, v[0:1]
	;; [unrolled: 1-line block ×3, first 2 shown]
	s_waitcnt vmcnt(0)
	v_mul_f64 v[30:31], s[12:13], v[4:5]
	v_mul_f64 v[4:5], s[10:11], v[4:5]
	v_fma_f64 v[30:31], s[10:11], v[2:3], -v[30:31]
	v_fmac_f64_e32 v[4:5], s[12:13], v[2:3]
	v_add_f64 v[2:3], v[6:7], v[30:31]
	v_add_f64 v[4:5], v[22:23], v[4:5]
	global_store_dwordx4 v[28:29], v[2:5], off
	global_load_dwordx4 v[2:5], v[24:25], off offset:256
	v_mul_f64 v[6:7], s[40:41], v[68:69]
	v_mul_f64 v[22:23], s[38:39], v[68:69]
	v_fma_f64 v[6:7], s[38:39], v[66:67], -v[6:7]
	v_fmac_f64_e32 v[22:23], s[40:41], v[66:67]
	s_waitcnt vmcnt(0)
	v_mul_f64 v[30:31], s[12:13], v[4:5]
	v_mul_f64 v[4:5], s[10:11], v[4:5]
	v_fma_f64 v[30:31], s[10:11], v[2:3], -v[30:31]
	v_fmac_f64_e32 v[4:5], s[12:13], v[2:3]
	v_add_f64 v[2:3], v[6:7], v[30:31]
	v_add_f64 v[4:5], v[22:23], v[4:5]
	global_store_dwordx4 v[28:29], v[2:5], off offset:256
	global_load_dwordx4 v[2:5], v[24:25], off offset:512
	v_mul_f64 v[6:7], s[40:41], v[62:63]
	v_mul_f64 v[22:23], s[38:39], v[62:63]
	v_fma_f64 v[6:7], s[38:39], v[58:59], -v[6:7]
	v_fmac_f64_e32 v[22:23], s[40:41], v[58:59]
	s_waitcnt vmcnt(0)
	v_mul_f64 v[30:31], s[12:13], v[4:5]
	v_mul_f64 v[4:5], s[10:11], v[4:5]
	v_fma_f64 v[30:31], s[10:11], v[2:3], -v[30:31]
	v_fmac_f64_e32 v[4:5], s[12:13], v[2:3]
	v_add_f64 v[2:3], v[6:7], v[30:31]
	v_add_f64 v[4:5], v[22:23], v[4:5]
	global_store_dwordx4 v[28:29], v[2:5], off offset:512
	global_load_dwordx4 v[2:5], v[24:25], off offset:768
	v_mul_f64 v[6:7], s[40:41], v[50:51]
	v_mul_f64 v[22:23], s[38:39], v[50:51]
	v_fma_f64 v[6:7], s[38:39], v[46:47], -v[6:7]
	v_fmac_f64_e32 v[22:23], s[40:41], v[46:47]
	v_lshl_add_u64 v[24:25], v[20:21], 0, v[0:1]
	v_lshl_add_u64 v[20:21], v[20:21], 0, s[0:1]
	;; [unrolled: 1-line block ×3, first 2 shown]
	s_mov_b64 s[0:1], 0x300
	s_waitcnt vmcnt(0)
	v_mul_f64 v[30:31], s[12:13], v[4:5]
	v_mul_f64 v[4:5], s[10:11], v[4:5]
	v_fma_f64 v[30:31], s[10:11], v[2:3], -v[30:31]
	v_fmac_f64_e32 v[4:5], s[12:13], v[2:3]
	v_add_f64 v[2:3], v[6:7], v[30:31]
	v_add_f64 v[4:5], v[22:23], v[4:5]
	global_store_dwordx4 v[28:29], v[2:5], off offset:768
	global_load_dwordx4 v[2:5], v[24:25], off
	v_mul_f64 v[6:7], s[40:41], v[72:73]
	v_mul_f64 v[22:23], s[38:39], v[72:73]
	v_fma_f64 v[6:7], s[38:39], v[70:71], -v[6:7]
	v_fmac_f64_e32 v[22:23], s[40:41], v[70:71]
	v_lshl_add_u64 v[28:29], v[26:27], 0, v[0:1]
	s_waitcnt vmcnt(0)
	v_mul_f64 v[30:31], s[12:13], v[4:5]
	v_mul_f64 v[4:5], s[10:11], v[4:5]
	v_fma_f64 v[30:31], s[10:11], v[2:3], -v[30:31]
	v_fmac_f64_e32 v[4:5], s[12:13], v[2:3]
	v_add_f64 v[2:3], v[6:7], v[30:31]
	v_add_f64 v[4:5], v[22:23], v[4:5]
	global_store_dwordx4 v[28:29], v[2:5], off
	global_load_dwordx4 v[2:5], v[24:25], off offset:256
	v_mul_f64 v[6:7], s[40:41], v[64:65]
	v_mul_f64 v[22:23], s[38:39], v[64:65]
	v_fma_f64 v[6:7], s[38:39], v[60:61], -v[6:7]
	v_fmac_f64_e32 v[22:23], s[40:41], v[60:61]
	s_waitcnt vmcnt(0)
	v_mul_f64 v[30:31], s[12:13], v[4:5]
	v_mul_f64 v[4:5], s[10:11], v[4:5]
	v_fma_f64 v[30:31], s[10:11], v[2:3], -v[30:31]
	v_fmac_f64_e32 v[4:5], s[12:13], v[2:3]
	v_add_f64 v[2:3], v[6:7], v[30:31]
	v_add_f64 v[4:5], v[22:23], v[4:5]
	global_store_dwordx4 v[28:29], v[2:5], off offset:256
	global_load_dwordx4 v[2:5], v[24:25], off offset:512
	v_mul_f64 v[6:7], s[40:41], v[52:53]
	v_mul_f64 v[22:23], s[38:39], v[52:53]
	v_fma_f64 v[6:7], s[38:39], v[48:49], -v[6:7]
	v_fmac_f64_e32 v[22:23], s[40:41], v[48:49]
	s_waitcnt vmcnt(0)
	v_mul_f64 v[30:31], s[12:13], v[4:5]
	v_mul_f64 v[4:5], s[10:11], v[4:5]
	v_fma_f64 v[30:31], s[10:11], v[2:3], -v[30:31]
	v_fmac_f64_e32 v[4:5], s[12:13], v[2:3]
	v_add_f64 v[2:3], v[6:7], v[30:31]
	v_add_f64 v[4:5], v[22:23], v[4:5]
	global_store_dwordx4 v[28:29], v[2:5], off offset:512
	;; [unrolled: 13-line block ×3, first 2 shown]
	global_load_dwordx4 v[2:5], v[20:21], off
	v_lshl_add_u64 v[24:25], v[26:27], 0, s[2:3]
	v_mul_f64 v[6:7], s[40:41], v[80:81]
	v_mul_f64 v[22:23], s[38:39], v[80:81]
	v_lshl_add_u64 v[24:25], v[24:25], 0, v[0:1]
	v_fma_f64 v[6:7], s[38:39], v[78:79], -v[6:7]
	v_fmac_f64_e32 v[22:23], s[40:41], v[78:79]
	s_waitcnt vmcnt(0)
	v_mul_f64 v[0:1], s[12:13], v[4:5]
	v_mul_f64 v[4:5], s[10:11], v[4:5]
	v_fma_f64 v[0:1], s[10:11], v[2:3], -v[0:1]
	v_fmac_f64_e32 v[4:5], s[12:13], v[2:3]
	v_add_f64 v[0:1], v[6:7], v[0:1]
	v_add_f64 v[2:3], v[22:23], v[4:5]
	global_store_dwordx4 v[24:25], v[0:3], off
	global_load_dwordx4 v[0:3], v[20:21], off offset:256
	v_mul_f64 v[4:5], s[40:41], v[18:19]
	v_mul_f64 v[6:7], s[38:39], v[18:19]
	v_fma_f64 v[4:5], s[38:39], v[16:17], -v[4:5]
	v_fmac_f64_e32 v[6:7], s[40:41], v[16:17]
	s_waitcnt vmcnt(0)
	v_mul_f64 v[16:17], s[12:13], v[2:3]
	v_mul_f64 v[2:3], s[10:11], v[2:3]
	v_fma_f64 v[16:17], s[10:11], v[0:1], -v[16:17]
	v_fmac_f64_e32 v[2:3], s[12:13], v[0:1]
	v_add_f64 v[0:1], v[4:5], v[16:17]
	v_add_f64 v[2:3], v[6:7], v[2:3]
	global_store_dwordx4 v[24:25], v[0:3], off offset:256
	global_load_dwordx4 v[0:3], v[20:21], off offset:512
	v_mul_f64 v[4:5], s[40:41], v[14:15]
	v_mul_f64 v[6:7], s[38:39], v[14:15]
	v_fma_f64 v[4:5], s[38:39], v[12:13], -v[4:5]
	v_fmac_f64_e32 v[6:7], s[40:41], v[12:13]
	s_waitcnt vmcnt(0)
	v_mul_f64 v[12:13], s[12:13], v[2:3]
	v_mul_f64 v[2:3], s[10:11], v[2:3]
	v_fma_f64 v[12:13], s[10:11], v[0:1], -v[12:13]
	v_fmac_f64_e32 v[2:3], s[12:13], v[0:1]
	v_add_f64 v[0:1], v[4:5], v[12:13]
	v_add_f64 v[2:3], v[6:7], v[2:3]
	global_store_dwordx4 v[24:25], v[0:3], off offset:512
	global_load_dwordx4 v[0:3], v[20:21], off offset:768
	v_mul_f64 v[4:5], s[40:41], v[10:11]
	v_mul_f64 v[6:7], s[38:39], v[10:11]
	v_fma_f64 v[4:5], s[38:39], v[8:9], -v[4:5]
	v_fmac_f64_e32 v[6:7], s[40:41], v[8:9]
	s_waitcnt vmcnt(0)
	v_mul_f64 v[8:9], s[12:13], v[2:3]
	v_mul_f64 v[2:3], s[10:11], v[2:3]
	v_fma_f64 v[8:9], s[10:11], v[0:1], -v[8:9]
	v_fmac_f64_e32 v[2:3], s[12:13], v[0:1]
	v_add_f64 v[0:1], v[4:5], v[8:9]
	v_add_f64 v[4:5], v[6:7], v[2:3]
	v_lshl_add_u64 v[6:7], v[24:25], 0, s[0:1]
	global_store_dwordx2 v[24:25], v[0:1], off offset:768
.LBB123_8:
	global_store_dwordx2 v[6:7], v[4:5], off offset:8
	s_endpgm
	.section	.rodata,"a",@progbits
	.p2align	6, 0x0
	.amdhsa_kernel _ZN12_GLOBAL__N_127rocblas_gemm_batched_kernelI19rocblas_complex_numIdELi16ELi16ELi64ELi64ELi4ELi64ELi4ELi4ELi64ELc67ELc78EKS2_S3_S2_EEvlllT_PT11_llS6_llS4_PT12_llPT13_lli
		.amdhsa_group_segment_fixed_size 8192
		.amdhsa_private_segment_fixed_size 0
		.amdhsa_kernarg_size 156
		.amdhsa_user_sgpr_count 2
		.amdhsa_user_sgpr_dispatch_ptr 0
		.amdhsa_user_sgpr_queue_ptr 0
		.amdhsa_user_sgpr_kernarg_segment_ptr 1
		.amdhsa_user_sgpr_dispatch_id 0
		.amdhsa_user_sgpr_kernarg_preload_length 0
		.amdhsa_user_sgpr_kernarg_preload_offset 0
		.amdhsa_user_sgpr_private_segment_size 0
		.amdhsa_uses_dynamic_stack 0
		.amdhsa_enable_private_segment 0
		.amdhsa_system_sgpr_workgroup_id_x 1
		.amdhsa_system_sgpr_workgroup_id_y 1
		.amdhsa_system_sgpr_workgroup_id_z 1
		.amdhsa_system_sgpr_workgroup_info 0
		.amdhsa_system_vgpr_workitem_id 1
		.amdhsa_next_free_vgpr 138
		.amdhsa_next_free_sgpr 52
		.amdhsa_accum_offset 140
		.amdhsa_reserve_vcc 1
		.amdhsa_float_round_mode_32 0
		.amdhsa_float_round_mode_16_64 0
		.amdhsa_float_denorm_mode_32 3
		.amdhsa_float_denorm_mode_16_64 3
		.amdhsa_dx10_clamp 1
		.amdhsa_ieee_mode 1
		.amdhsa_fp16_overflow 0
		.amdhsa_tg_split 0
		.amdhsa_exception_fp_ieee_invalid_op 0
		.amdhsa_exception_fp_denorm_src 0
		.amdhsa_exception_fp_ieee_div_zero 0
		.amdhsa_exception_fp_ieee_overflow 0
		.amdhsa_exception_fp_ieee_underflow 0
		.amdhsa_exception_fp_ieee_inexact 0
		.amdhsa_exception_int_div_zero 0
	.end_amdhsa_kernel
	.section	.text._ZN12_GLOBAL__N_127rocblas_gemm_batched_kernelI19rocblas_complex_numIdELi16ELi16ELi64ELi64ELi4ELi64ELi4ELi4ELi64ELc67ELc78EKS2_S3_S2_EEvlllT_PT11_llS6_llS4_PT12_llPT13_lli,"axG",@progbits,_ZN12_GLOBAL__N_127rocblas_gemm_batched_kernelI19rocblas_complex_numIdELi16ELi16ELi64ELi64ELi4ELi64ELi4ELi4ELi64ELc67ELc78EKS2_S3_S2_EEvlllT_PT11_llS6_llS4_PT12_llPT13_lli,comdat
.Lfunc_end123:
	.size	_ZN12_GLOBAL__N_127rocblas_gemm_batched_kernelI19rocblas_complex_numIdELi16ELi16ELi64ELi64ELi4ELi64ELi4ELi4ELi64ELc67ELc78EKS2_S3_S2_EEvlllT_PT11_llS6_llS4_PT12_llPT13_lli, .Lfunc_end123-_ZN12_GLOBAL__N_127rocblas_gemm_batched_kernelI19rocblas_complex_numIdELi16ELi16ELi64ELi64ELi4ELi64ELi4ELi4ELi64ELc67ELc78EKS2_S3_S2_EEvlllT_PT11_llS6_llS4_PT12_llPT13_lli
                                        ; -- End function
	.set _ZN12_GLOBAL__N_127rocblas_gemm_batched_kernelI19rocblas_complex_numIdELi16ELi16ELi64ELi64ELi4ELi64ELi4ELi4ELi64ELc67ELc78EKS2_S3_S2_EEvlllT_PT11_llS6_llS4_PT12_llPT13_lli.num_vgpr, 138
	.set _ZN12_GLOBAL__N_127rocblas_gemm_batched_kernelI19rocblas_complex_numIdELi16ELi16ELi64ELi64ELi4ELi64ELi4ELi4ELi64ELc67ELc78EKS2_S3_S2_EEvlllT_PT11_llS6_llS4_PT12_llPT13_lli.num_agpr, 0
	.set _ZN12_GLOBAL__N_127rocblas_gemm_batched_kernelI19rocblas_complex_numIdELi16ELi16ELi64ELi64ELi4ELi64ELi4ELi4ELi64ELc67ELc78EKS2_S3_S2_EEvlllT_PT11_llS6_llS4_PT12_llPT13_lli.numbered_sgpr, 52
	.set _ZN12_GLOBAL__N_127rocblas_gemm_batched_kernelI19rocblas_complex_numIdELi16ELi16ELi64ELi64ELi4ELi64ELi4ELi4ELi64ELc67ELc78EKS2_S3_S2_EEvlllT_PT11_llS6_llS4_PT12_llPT13_lli.num_named_barrier, 0
	.set _ZN12_GLOBAL__N_127rocblas_gemm_batched_kernelI19rocblas_complex_numIdELi16ELi16ELi64ELi64ELi4ELi64ELi4ELi4ELi64ELc67ELc78EKS2_S3_S2_EEvlllT_PT11_llS6_llS4_PT12_llPT13_lli.private_seg_size, 0
	.set _ZN12_GLOBAL__N_127rocblas_gemm_batched_kernelI19rocblas_complex_numIdELi16ELi16ELi64ELi64ELi4ELi64ELi4ELi4ELi64ELc67ELc78EKS2_S3_S2_EEvlllT_PT11_llS6_llS4_PT12_llPT13_lli.uses_vcc, 1
	.set _ZN12_GLOBAL__N_127rocblas_gemm_batched_kernelI19rocblas_complex_numIdELi16ELi16ELi64ELi64ELi4ELi64ELi4ELi4ELi64ELc67ELc78EKS2_S3_S2_EEvlllT_PT11_llS6_llS4_PT12_llPT13_lli.uses_flat_scratch, 0
	.set _ZN12_GLOBAL__N_127rocblas_gemm_batched_kernelI19rocblas_complex_numIdELi16ELi16ELi64ELi64ELi4ELi64ELi4ELi4ELi64ELc67ELc78EKS2_S3_S2_EEvlllT_PT11_llS6_llS4_PT12_llPT13_lli.has_dyn_sized_stack, 0
	.set _ZN12_GLOBAL__N_127rocblas_gemm_batched_kernelI19rocblas_complex_numIdELi16ELi16ELi64ELi64ELi4ELi64ELi4ELi4ELi64ELc67ELc78EKS2_S3_S2_EEvlllT_PT11_llS6_llS4_PT12_llPT13_lli.has_recursion, 0
	.set _ZN12_GLOBAL__N_127rocblas_gemm_batched_kernelI19rocblas_complex_numIdELi16ELi16ELi64ELi64ELi4ELi64ELi4ELi4ELi64ELc67ELc78EKS2_S3_S2_EEvlllT_PT11_llS6_llS4_PT12_llPT13_lli.has_indirect_call, 0
	.section	.AMDGPU.csdata,"",@progbits
; Kernel info:
; codeLenInByte = 6480
; TotalNumSgprs: 58
; NumVgprs: 138
; NumAgprs: 0
; TotalNumVgprs: 138
; ScratchSize: 0
; MemoryBound: 0
; FloatMode: 240
; IeeeMode: 1
; LDSByteSize: 8192 bytes/workgroup (compile time only)
; SGPRBlocks: 7
; VGPRBlocks: 17
; NumSGPRsForWavesPerEU: 58
; NumVGPRsForWavesPerEU: 138
; AccumOffset: 140
; Occupancy: 3
; WaveLimiterHint : 1
; COMPUTE_PGM_RSRC2:SCRATCH_EN: 0
; COMPUTE_PGM_RSRC2:USER_SGPR: 2
; COMPUTE_PGM_RSRC2:TRAP_HANDLER: 0
; COMPUTE_PGM_RSRC2:TGID_X_EN: 1
; COMPUTE_PGM_RSRC2:TGID_Y_EN: 1
; COMPUTE_PGM_RSRC2:TGID_Z_EN: 1
; COMPUTE_PGM_RSRC2:TIDIG_COMP_CNT: 1
; COMPUTE_PGM_RSRC3_GFX90A:ACCUM_OFFSET: 34
; COMPUTE_PGM_RSRC3_GFX90A:TG_SPLIT: 0
	.section	.text._ZN12_GLOBAL__N_127rocblas_gemm_batched_kernelI19rocblas_complex_numIdELi16ELi16ELi64ELi64ELi4ELi64ELi4ELi4ELi64ELc67ELc84EKS2_S3_S2_EEvlllT_PT11_llS6_llS4_PT12_llPT13_lli,"axG",@progbits,_ZN12_GLOBAL__N_127rocblas_gemm_batched_kernelI19rocblas_complex_numIdELi16ELi16ELi64ELi64ELi4ELi64ELi4ELi4ELi64ELc67ELc84EKS2_S3_S2_EEvlllT_PT11_llS6_llS4_PT12_llPT13_lli,comdat
	.globl	_ZN12_GLOBAL__N_127rocblas_gemm_batched_kernelI19rocblas_complex_numIdELi16ELi16ELi64ELi64ELi4ELi64ELi4ELi4ELi64ELc67ELc84EKS2_S3_S2_EEvlllT_PT11_llS6_llS4_PT12_llPT13_lli ; -- Begin function _ZN12_GLOBAL__N_127rocblas_gemm_batched_kernelI19rocblas_complex_numIdELi16ELi16ELi64ELi64ELi4ELi64ELi4ELi4ELi64ELc67ELc84EKS2_S3_S2_EEvlllT_PT11_llS6_llS4_PT12_llPT13_lli
	.p2align	8
	.type	_ZN12_GLOBAL__N_127rocblas_gemm_batched_kernelI19rocblas_complex_numIdELi16ELi16ELi64ELi64ELi4ELi64ELi4ELi4ELi64ELc67ELc84EKS2_S3_S2_EEvlllT_PT11_llS6_llS4_PT12_llPT13_lli,@function
_ZN12_GLOBAL__N_127rocblas_gemm_batched_kernelI19rocblas_complex_numIdELi16ELi16ELi64ELi64ELi4ELi64ELi4ELi4ELi64ELc67ELc84EKS2_S3_S2_EEvlllT_PT11_llS6_llS4_PT12_llPT13_lli: ; @_ZN12_GLOBAL__N_127rocblas_gemm_batched_kernelI19rocblas_complex_numIdELi16ELi16ELi64ELi64ELi4ELi64ELi4ELi4ELi64ELc67ELc84EKS2_S3_S2_EEvlllT_PT11_llS6_llS4_PT12_llPT13_lli
; %bb.0:
	s_load_dwordx16 s[36:51], s[0:1], 0x10
	s_load_dwordx16 s[8:23], s[0:1], 0x50
	s_mov_b32 s6, s3
	v_mov_b32_e32 v27, 0
	s_ashr_i32 s3, s2, 31
	s_ashr_i32 s7, s6, 31
	s_waitcnt lgkmcnt(0)
	v_cmp_lt_i64_e64 s[24:25], s[36:37], 1
	v_bfe_u32 v26, v0, 10, 10
	v_and_b32_e32 v24, 0x3ff, v0
	v_mov_b32_e32 v25, v27
	s_lshl_b64 s[2:3], s[2:3], 6
	s_lshl_b64 s[6:7], s[6:7], 6
	s_and_b64 vcc, exec, s[24:25]
	s_cbranch_vccnz .LBB124_3
; %bb.1:
	v_lshl_add_u32 v6, v26, 4, v24
	v_lshrrev_b32_e32 v0, 2, v6
	v_mov_b32_e32 v1, v27
	v_lshl_add_u64 v[2:3], v[0:1], 0, s[6:7]
	v_and_b32_e32 v1, 3, v24
	v_mad_u64_u32 v[2:3], s[24:25], s50, v1, v[2:3]
	v_mov_b32_e32 v4, v3
	v_mad_u64_u32 v[4:5], s[24:25], s51, v1, v[4:5]
	v_lshlrev_b32_e32 v1, 4, v1
	v_lshl_or_b32 v0, v0, 6, v1
	v_mov_b32_e32 v3, v4
	v_and_b32_e32 v4, 63, v6
	v_mov_b32_e32 v5, v27
	v_add_u32_e32 v111, 0x1000, v0
	v_mov_b32_e32 v0, 0x1000
	v_lshl_add_u32 v113, v26, 6, v0
	v_lshl_add_u64 v[0:1], s[2:3], 0, v[4:5]
	v_lshlrev_b32_e32 v7, 4, v4
	v_mul_lo_u32 v4, s45, v0
	v_mul_lo_u32 v5, s44, v1
	v_mad_u64_u32 v[0:1], s[24:25], s44, v0, 0
	s_mul_i32 s5, s47, s4
	s_mul_hi_u32 s24, s46, s4
	s_add_i32 s25, s24, s5
	s_mul_i32 s24, s46, s4
	s_mul_i32 s5, s9, s4
	s_mul_hi_u32 s9, s8, s4
	v_lshrrev_b32_e32 v6, 6, v6
	v_add3_u32 v1, v1, v5, v4
	s_lshl_b64 s[24:25], s[24:25], 4
	s_add_i32 s9, s9, s5
	s_mul_i32 s8, s8, s4
	v_lshl_add_u64 v[0:1], v[0:1], 4, s[24:25]
	v_lshlrev_b32_e32 v4, 4, v6
	v_mov_b32_e32 v5, v27
	s_lshl_b64 s[8:9], s[8:9], 4
	v_lshl_add_u64 v[0:1], v[0:1], 0, v[4:5]
	s_add_u32 s8, s48, s8
	v_lshl_add_u64 v[0:1], s[42:43], 0, v[0:1]
	s_addc_u32 s9, s49, s9
	v_lshl_or_b32 v110, v6, 10, v7
	v_lshlrev_b32_e32 v112, 4, v24
	v_lshl_add_u64 v[28:29], v[0:1], 0, 8
	v_lshl_add_u64 v[30:31], v[2:3], 4, s[8:9]
	s_lshl_b64 s[8:9], s[50:51], 6
	s_mov_b64 s[24:25], 0
	v_mov_b64_e32 v[10:11], 0
	v_mov_b64_e32 v[32:33], s[36:37]
	;; [unrolled: 1-line block ×33, first 2 shown]
.LBB124_2:                              ; =>This Inner Loop Header: Depth=1
	global_load_dwordx4 v[0:3], v[28:29], off offset:-8
	s_add_u32 s24, s24, 4
	s_addc_u32 s25, s25, 0
	v_cmp_lt_i64_e32 vcc, s[24:25], v[32:33]
	v_lshl_add_u64 v[28:29], v[28:29], 0, 64
	s_and_b64 vcc, exec, vcc
	s_waitcnt vmcnt(0)
	v_xor_b32_e32 v3, 0x80000000, v3
	ds_write_b128 v110, v[0:3]
	global_load_dwordx4 v[0:3], v[30:31], off
	v_lshl_add_u64 v[30:31], v[30:31], 0, s[8:9]
	s_waitcnt vmcnt(0)
	ds_write2_b64 v111, v[0:1], v[2:3] offset1:1
	s_waitcnt lgkmcnt(0)
	s_barrier
	ds_read_b128 v[82:85], v113
	ds_read_b128 v[114:117], v113 offset:16
	ds_read_b128 v[4:7], v113 offset:32
	;; [unrolled: 1-line block ×3, first 2 shown]
	ds_read_b128 v[118:121], v112
	s_waitcnt lgkmcnt(0)
	v_mul_f64 v[86:87], v[84:85], v[120:121]
	v_mul_f64 v[88:89], v[82:83], v[120:121]
	v_fma_f64 v[86:87], v[82:83], v[118:119], -v[86:87]
	v_fmac_f64_e32 v[88:89], v[84:85], v[118:119]
	v_add_f64 v[122:123], v[54:55], v[86:87]
	v_add_f64 v[124:125], v[88:89], v[56:57]
	ds_read_b128 v[54:57], v112 offset:256
	s_waitcnt lgkmcnt(0)
	v_mul_f64 v[86:87], v[84:85], v[56:57]
	v_mul_f64 v[88:89], v[82:83], v[56:57]
	v_fma_f64 v[86:87], v[82:83], v[54:55], -v[86:87]
	v_fmac_f64_e32 v[88:89], v[84:85], v[54:55]
	v_add_f64 v[126:127], v[38:39], v[86:87]
	v_add_f64 v[128:129], v[88:89], v[40:41]
	ds_read_b128 v[38:41], v112 offset:512
	;; [unrolled: 8-line block ×3, first 2 shown]
	s_waitcnt lgkmcnt(0)
	v_mul_f64 v[86:87], v[84:85], v[36:37]
	v_fma_f64 v[86:87], v[82:83], v[34:35], -v[86:87]
	v_mul_f64 v[82:83], v[82:83], v[36:37]
	v_fmac_f64_e32 v[82:83], v[84:85], v[34:35]
	v_add_f64 v[134:135], v[20:21], v[86:87]
	v_add_f64 v[136:137], v[82:83], v[22:23]
	ds_read_b128 v[20:23], v113 offset:1024
	s_waitcnt lgkmcnt(0)
	v_mul_f64 v[82:83], v[22:23], v[120:121]
	v_fma_f64 v[82:83], v[20:21], v[118:119], -v[82:83]
	v_add_f64 v[74:75], v[74:75], v[82:83]
	v_mul_f64 v[82:83], v[22:23], v[56:57]
	v_mul_f64 v[84:85], v[20:21], v[120:121]
	v_fma_f64 v[82:83], v[20:21], v[54:55], -v[82:83]
	v_fmac_f64_e32 v[84:85], v[22:23], v[118:119]
	v_add_f64 v[98:99], v[66:67], v[82:83]
	v_mul_f64 v[66:67], v[22:23], v[40:41]
	v_add_f64 v[76:77], v[84:85], v[76:77]
	v_mul_f64 v[84:85], v[20:21], v[56:57]
	v_fma_f64 v[66:67], v[20:21], v[38:39], -v[66:67]
	v_fmac_f64_e32 v[84:85], v[22:23], v[54:55]
	v_add_f64 v[102:103], v[58:59], v[66:67]
	v_mul_f64 v[58:59], v[22:23], v[36:37]
	v_add_f64 v[100:101], v[84:85], v[68:69]
	v_mul_f64 v[68:69], v[20:21], v[40:41]
	v_fma_f64 v[58:59], v[20:21], v[34:35], -v[58:59]
	v_mul_f64 v[20:21], v[20:21], v[36:37]
	v_fmac_f64_e32 v[20:21], v[22:23], v[34:35]
	v_fmac_f64_e32 v[68:69], v[22:23], v[38:39]
	v_add_f64 v[108:109], v[20:21], v[50:51]
	ds_read_b128 v[20:23], v113 offset:2048
	v_add_f64 v[106:107], v[46:47], v[58:59]
	v_add_f64 v[104:105], v[68:69], v[62:63]
	s_waitcnt lgkmcnt(0)
	v_mul_f64 v[46:47], v[22:23], v[120:121]
	v_fma_f64 v[46:47], v[20:21], v[118:119], -v[46:47]
	v_add_f64 v[82:83], v[70:71], v[46:47]
	v_mul_f64 v[46:47], v[22:23], v[56:57]
	v_mul_f64 v[50:51], v[20:21], v[120:121]
	v_fma_f64 v[46:47], v[20:21], v[54:55], -v[46:47]
	v_fmac_f64_e32 v[50:51], v[22:23], v[118:119]
	v_add_f64 v[86:87], v[60:61], v[46:47]
	v_mul_f64 v[46:47], v[22:23], v[40:41]
	v_add_f64 v[84:85], v[50:51], v[72:73]
	v_mul_f64 v[50:51], v[20:21], v[56:57]
	v_fma_f64 v[46:47], v[20:21], v[38:39], -v[46:47]
	v_fmac_f64_e32 v[50:51], v[22:23], v[54:55]
	v_add_f64 v[90:91], v[48:49], v[46:47]
	v_mul_f64 v[46:47], v[22:23], v[36:37]
	v_add_f64 v[88:89], v[50:51], v[64:65]
	v_mul_f64 v[50:51], v[20:21], v[40:41]
	v_fma_f64 v[46:47], v[20:21], v[34:35], -v[46:47]
	v_mul_f64 v[20:21], v[20:21], v[36:37]
	v_fmac_f64_e32 v[20:21], v[22:23], v[34:35]
	v_fmac_f64_e32 v[50:51], v[22:23], v[38:39]
	v_add_f64 v[96:97], v[20:21], v[44:45]
	ds_read_b128 v[20:23], v113 offset:3072
	v_add_f64 v[94:95], v[42:43], v[46:47]
	v_add_f64 v[92:93], v[50:51], v[52:53]
	s_waitcnt lgkmcnt(0)
	v_mul_f64 v[42:43], v[22:23], v[120:121]
	v_mul_f64 v[44:45], v[20:21], v[120:121]
	v_fma_f64 v[42:43], v[20:21], v[118:119], -v[42:43]
	v_fmac_f64_e32 v[44:45], v[22:23], v[118:119]
	v_add_f64 v[62:63], v[78:79], v[42:43]
	v_add_f64 v[64:65], v[44:45], v[80:81]
	v_mul_f64 v[42:43], v[22:23], v[56:57]
	v_mul_f64 v[44:45], v[20:21], v[56:57]
	v_fma_f64 v[42:43], v[20:21], v[54:55], -v[42:43]
	v_fmac_f64_e32 v[44:45], v[22:23], v[54:55]
	v_add_f64 v[58:59], v[16:17], v[42:43]
	v_add_f64 v[60:61], v[44:45], v[18:19]
	;; [unrolled: 6-line block ×3, first 2 shown]
	v_mul_f64 v[12:13], v[22:23], v[36:37]
	v_mul_f64 v[14:15], v[20:21], v[36:37]
	v_fma_f64 v[12:13], v[20:21], v[34:35], -v[12:13]
	v_fmac_f64_e32 v[14:15], v[22:23], v[34:35]
	ds_read_b128 v[20:23], v112 offset:1024
	ds_read_b128 v[16:19], v112 offset:1280
	v_add_f64 v[50:51], v[8:9], v[12:13]
	v_add_f64 v[52:53], v[14:15], v[10:11]
	ds_read_b128 v[12:15], v112 offset:1536
	ds_read_b128 v[78:81], v113 offset:1040
	s_waitcnt lgkmcnt(3)
	v_mul_f64 v[8:9], v[116:117], v[22:23]
	v_mul_f64 v[10:11], v[114:115], v[22:23]
	v_fma_f64 v[8:9], v[114:115], v[20:21], -v[8:9]
	v_fmac_f64_e32 v[10:11], v[116:117], v[20:21]
	v_add_f64 v[46:47], v[122:123], v[8:9]
	v_add_f64 v[48:49], v[10:11], v[124:125]
	s_waitcnt lgkmcnt(2)
	v_mul_f64 v[8:9], v[116:117], v[18:19]
	v_mul_f64 v[10:11], v[114:115], v[18:19]
	v_fma_f64 v[8:9], v[114:115], v[16:17], -v[8:9]
	v_fmac_f64_e32 v[10:11], v[116:117], v[16:17]
	v_add_f64 v[42:43], v[126:127], v[8:9]
	v_add_f64 v[44:45], v[10:11], v[128:129]
	;; [unrolled: 7-line block ×3, first 2 shown]
	ds_read_b128 v[8:11], v112 offset:1792
	s_waitcnt lgkmcnt(1)
	v_mul_f64 v[70:71], v[80:81], v[18:19]
	v_mul_f64 v[72:73], v[78:79], v[18:19]
	;; [unrolled: 1-line block ×4, first 2 shown]
	v_fma_f64 v[70:71], v[78:79], v[16:17], -v[70:71]
	v_fmac_f64_e32 v[72:73], v[80:81], v[16:17]
	v_fma_f64 v[66:67], v[78:79], v[20:21], -v[66:67]
	v_fmac_f64_e32 v[68:69], v[80:81], v[20:21]
	v_add_f64 v[70:71], v[98:99], v[70:71]
	v_add_f64 v[72:73], v[72:73], v[100:101]
	s_waitcnt lgkmcnt(0)
	v_mul_f64 v[98:99], v[80:81], v[10:11]
	v_mul_f64 v[100:101], v[78:79], v[10:11]
	v_add_f64 v[66:67], v[74:75], v[66:67]
	v_add_f64 v[68:69], v[68:69], v[76:77]
	v_mul_f64 v[74:75], v[80:81], v[14:15]
	v_mul_f64 v[76:77], v[78:79], v[14:15]
	v_fma_f64 v[98:99], v[78:79], v[8:9], -v[98:99]
	v_fmac_f64_e32 v[100:101], v[80:81], v[8:9]
	v_fma_f64 v[74:75], v[78:79], v[12:13], -v[74:75]
	v_fmac_f64_e32 v[76:77], v[80:81], v[12:13]
	v_add_f64 v[78:79], v[106:107], v[98:99]
	v_add_f64 v[80:81], v[100:101], v[108:109]
	ds_read_b128 v[98:101], v113 offset:2064
	v_add_f64 v[74:75], v[102:103], v[74:75]
	v_add_f64 v[76:77], v[76:77], v[104:105]
	v_mul_f64 v[34:35], v[116:117], v[10:11]
	v_mul_f64 v[36:37], v[114:115], v[10:11]
	s_waitcnt lgkmcnt(0)
	v_mul_f64 v[102:103], v[100:101], v[22:23]
	v_mul_f64 v[104:105], v[98:99], v[22:23]
	v_fma_f64 v[102:103], v[98:99], v[20:21], -v[102:103]
	v_fmac_f64_e32 v[104:105], v[100:101], v[20:21]
	v_add_f64 v[82:83], v[82:83], v[102:103]
	v_add_f64 v[84:85], v[104:105], v[84:85]
	v_mul_f64 v[102:103], v[100:101], v[18:19]
	v_mul_f64 v[104:105], v[98:99], v[18:19]
	v_fma_f64 v[102:103], v[98:99], v[16:17], -v[102:103]
	v_fmac_f64_e32 v[104:105], v[100:101], v[16:17]
	v_add_f64 v[86:87], v[86:87], v[102:103]
	v_add_f64 v[88:89], v[104:105], v[88:89]
	;; [unrolled: 6-line block ×4, first 2 shown]
	ds_read_b128 v[94:97], v113 offset:3088
	v_fma_f64 v[34:35], v[114:115], v[8:9], -v[34:35]
	v_fmac_f64_e32 v[36:37], v[116:117], v[8:9]
	v_add_f64 v[36:37], v[36:37], v[136:137]
	v_add_f64 v[34:35], v[134:135], v[34:35]
	s_waitcnt lgkmcnt(0)
	v_mul_f64 v[102:103], v[96:97], v[22:23]
	v_mul_f64 v[22:23], v[94:95], v[22:23]
	v_fma_f64 v[102:103], v[94:95], v[20:21], -v[102:103]
	v_fmac_f64_e32 v[22:23], v[96:97], v[20:21]
	v_mul_f64 v[20:21], v[96:97], v[18:19]
	v_mul_f64 v[18:19], v[94:95], v[18:19]
	v_fma_f64 v[20:21], v[94:95], v[16:17], -v[20:21]
	v_fmac_f64_e32 v[18:19], v[96:97], v[16:17]
	;; [unrolled: 4-line block ×3, first 2 shown]
	v_mul_f64 v[12:13], v[96:97], v[10:11]
	v_mul_f64 v[10:11], v[94:95], v[10:11]
	v_fmac_f64_e32 v[10:11], v[96:97], v[8:9]
	v_fma_f64 v[12:13], v[94:95], v[8:9], -v[12:13]
	v_add_f64 v[116:117], v[10:11], v[52:53]
	ds_read_b128 v[8:11], v112 offset:2048
	v_add_f64 v[56:57], v[14:15], v[56:57]
	v_add_f64 v[114:115], v[50:51], v[12:13]
	;; [unrolled: 1-line block ×4, first 2 shown]
	s_waitcnt lgkmcnt(0)
	v_mul_f64 v[12:13], v[6:7], v[10:11]
	v_mul_f64 v[14:15], v[4:5], v[10:11]
	v_fma_f64 v[12:13], v[4:5], v[8:9], -v[12:13]
	v_fmac_f64_e32 v[14:15], v[6:7], v[8:9]
	v_add_f64 v[118:119], v[46:47], v[12:13]
	v_add_f64 v[120:121], v[14:15], v[48:49]
	ds_read_b128 v[12:15], v112 offset:2304
	v_add_f64 v[104:105], v[22:23], v[64:65]
	v_add_f64 v[106:107], v[58:59], v[20:21]
	;; [unrolled: 1-line block ×3, first 2 shown]
	s_waitcnt lgkmcnt(0)
	v_mul_f64 v[16:17], v[6:7], v[14:15]
	v_mul_f64 v[18:19], v[4:5], v[14:15]
	v_fma_f64 v[16:17], v[4:5], v[12:13], -v[16:17]
	v_fmac_f64_e32 v[18:19], v[6:7], v[12:13]
	v_add_f64 v[122:123], v[42:43], v[16:17]
	v_add_f64 v[124:125], v[18:19], v[44:45]
	ds_read_b128 v[16:19], v112 offset:2560
	s_waitcnt lgkmcnt(0)
	v_mul_f64 v[20:21], v[6:7], v[18:19]
	v_mul_f64 v[22:23], v[4:5], v[18:19]
	v_fma_f64 v[20:21], v[4:5], v[16:17], -v[20:21]
	v_fmac_f64_e32 v[22:23], v[6:7], v[16:17]
	v_add_f64 v[126:127], v[38:39], v[20:21]
	v_add_f64 v[128:129], v[22:23], v[40:41]
	ds_read_b128 v[20:23], v112 offset:2816
	s_waitcnt lgkmcnt(0)
	v_mul_f64 v[38:39], v[6:7], v[22:23]
	v_fma_f64 v[38:39], v[4:5], v[20:21], -v[38:39]
	v_mul_f64 v[4:5], v[4:5], v[22:23]
	v_fmac_f64_e32 v[4:5], v[6:7], v[20:21]
	v_add_f64 v[132:133], v[4:5], v[36:37]
	ds_read_b128 v[4:7], v113 offset:1056
	v_add_f64 v[130:131], v[34:35], v[38:39]
	s_waitcnt lgkmcnt(0)
	v_mul_f64 v[34:35], v[6:7], v[10:11]
	v_fma_f64 v[34:35], v[4:5], v[8:9], -v[34:35]
	v_add_f64 v[46:47], v[66:67], v[34:35]
	v_mul_f64 v[34:35], v[6:7], v[14:15]
	v_mul_f64 v[36:37], v[4:5], v[10:11]
	v_fma_f64 v[34:35], v[4:5], v[12:13], -v[34:35]
	v_fmac_f64_e32 v[36:37], v[6:7], v[8:9]
	v_add_f64 v[58:59], v[70:71], v[34:35]
	v_mul_f64 v[34:35], v[6:7], v[18:19]
	v_add_f64 v[50:51], v[36:37], v[68:69]
	v_mul_f64 v[36:37], v[4:5], v[14:15]
	v_fma_f64 v[34:35], v[4:5], v[16:17], -v[34:35]
	v_fmac_f64_e32 v[36:37], v[6:7], v[12:13]
	v_add_f64 v[62:63], v[74:75], v[34:35]
	v_mul_f64 v[34:35], v[6:7], v[22:23]
	v_add_f64 v[60:61], v[36:37], v[72:73]
	v_mul_f64 v[36:37], v[4:5], v[18:19]
	v_fma_f64 v[34:35], v[4:5], v[20:21], -v[34:35]
	v_mul_f64 v[4:5], v[4:5], v[22:23]
	v_fmac_f64_e32 v[4:5], v[6:7], v[20:21]
	v_fmac_f64_e32 v[36:37], v[6:7], v[16:17]
	v_add_f64 v[72:73], v[4:5], v[80:81]
	ds_read_b128 v[4:7], v113 offset:2080
	v_add_f64 v[70:71], v[78:79], v[34:35]
	v_add_f64 v[64:65], v[36:37], v[76:77]
	s_waitcnt lgkmcnt(0)
	v_mul_f64 v[34:35], v[6:7], v[10:11]
	v_fma_f64 v[34:35], v[4:5], v[8:9], -v[34:35]
	v_add_f64 v[42:43], v[82:83], v[34:35]
	v_mul_f64 v[34:35], v[6:7], v[14:15]
	v_mul_f64 v[36:37], v[4:5], v[10:11]
	v_fma_f64 v[34:35], v[4:5], v[12:13], -v[34:35]
	v_fmac_f64_e32 v[36:37], v[6:7], v[8:9]
	v_add_f64 v[48:49], v[86:87], v[34:35]
	v_mul_f64 v[34:35], v[6:7], v[18:19]
	v_add_f64 v[44:45], v[36:37], v[84:85]
	v_mul_f64 v[36:37], v[4:5], v[14:15]
	v_fma_f64 v[34:35], v[4:5], v[16:17], -v[34:35]
	v_fmac_f64_e32 v[36:37], v[6:7], v[12:13]
	v_add_f64 v[94:95], v[90:91], v[34:35]
	v_mul_f64 v[34:35], v[6:7], v[22:23]
	v_add_f64 v[52:53], v[36:37], v[88:89]
	v_mul_f64 v[36:37], v[4:5], v[18:19]
	v_fma_f64 v[34:35], v[4:5], v[20:21], -v[34:35]
	v_mul_f64 v[4:5], v[4:5], v[22:23]
	v_fmac_f64_e32 v[4:5], v[6:7], v[20:21]
	v_fmac_f64_e32 v[36:37], v[6:7], v[16:17]
	v_add_f64 v[100:101], v[4:5], v[100:101]
	ds_read_b128 v[4:7], v113 offset:3104
	v_add_f64 v[98:99], v[98:99], v[34:35]
	v_add_f64 v[96:97], v[36:37], v[92:93]
	s_waitcnt lgkmcnt(0)
	v_mul_f64 v[34:35], v[6:7], v[10:11]
	v_mul_f64 v[10:11], v[4:5], v[10:11]
	v_fmac_f64_e32 v[10:11], v[6:7], v[8:9]
	v_fma_f64 v[34:35], v[4:5], v[8:9], -v[34:35]
	v_add_f64 v[80:81], v[10:11], v[104:105]
	v_mul_f64 v[8:9], v[6:7], v[14:15]
	v_mul_f64 v[10:11], v[4:5], v[14:15]
	v_fma_f64 v[8:9], v[4:5], v[12:13], -v[8:9]
	v_fmac_f64_e32 v[10:11], v[6:7], v[12:13]
	v_add_f64 v[90:91], v[106:107], v[8:9]
	v_add_f64 v[92:93], v[10:11], v[108:109]
	v_mul_f64 v[8:9], v[6:7], v[18:19]
	v_mul_f64 v[10:11], v[4:5], v[18:19]
	v_fma_f64 v[8:9], v[4:5], v[16:17], -v[8:9]
	v_fmac_f64_e32 v[10:11], v[6:7], v[16:17]
	ds_read_b128 v[16:19], v112 offset:3072
	ds_read_b128 v[12:15], v112 offset:3328
	v_add_f64 v[86:87], v[54:55], v[8:9]
	v_mul_f64 v[8:9], v[6:7], v[22:23]
	v_fma_f64 v[8:9], v[4:5], v[20:21], -v[8:9]
	v_mul_f64 v[4:5], v[4:5], v[22:23]
	v_add_f64 v[88:89], v[10:11], v[56:57]
	v_fmac_f64_e32 v[4:5], v[6:7], v[20:21]
	v_add_f64 v[82:83], v[114:115], v[8:9]
	ds_read_b128 v[8:11], v112 offset:3584
	v_add_f64 v[84:85], v[4:5], v[116:117]
	s_waitcnt lgkmcnt(2)
	v_mul_f64 v[4:5], v[2:3], v[18:19]
	v_mul_f64 v[6:7], v[0:1], v[18:19]
	v_fma_f64 v[4:5], v[0:1], v[16:17], -v[4:5]
	v_fmac_f64_e32 v[6:7], v[2:3], v[16:17]
	v_add_f64 v[54:55], v[118:119], v[4:5]
	v_add_f64 v[56:57], v[6:7], v[120:121]
	s_waitcnt lgkmcnt(1)
	v_mul_f64 v[4:5], v[2:3], v[14:15]
	v_mul_f64 v[6:7], v[0:1], v[14:15]
	v_fma_f64 v[4:5], v[0:1], v[12:13], -v[4:5]
	v_fmac_f64_e32 v[6:7], v[2:3], v[12:13]
	v_add_f64 v[38:39], v[122:123], v[4:5]
	;; [unrolled: 7-line block ×3, first 2 shown]
	v_add_f64 v[34:35], v[126:127], v[4:5]
	v_add_f64 v[36:37], v[6:7], v[128:129]
	ds_read_b128 v[4:7], v112 offset:3840
	s_waitcnt lgkmcnt(0)
	v_mul_f64 v[20:21], v[2:3], v[6:7]
	v_fma_f64 v[20:21], v[0:1], v[4:5], -v[20:21]
	v_mul_f64 v[0:1], v[0:1], v[6:7]
	v_fmac_f64_e32 v[0:1], v[2:3], v[4:5]
	v_add_f64 v[22:23], v[0:1], v[132:133]
	ds_read_b128 v[0:3], v113 offset:1072
	v_add_f64 v[20:21], v[130:131], v[20:21]
	s_waitcnt lgkmcnt(0)
	v_mul_f64 v[66:67], v[2:3], v[18:19]
	v_fma_f64 v[66:67], v[0:1], v[16:17], -v[66:67]
	v_add_f64 v[74:75], v[46:47], v[66:67]
	v_mul_f64 v[46:47], v[2:3], v[14:15]
	v_mul_f64 v[68:69], v[0:1], v[18:19]
	v_fma_f64 v[46:47], v[0:1], v[12:13], -v[46:47]
	v_fmac_f64_e32 v[68:69], v[2:3], v[16:17]
	v_add_f64 v[66:67], v[58:59], v[46:47]
	v_mul_f64 v[46:47], v[2:3], v[10:11]
	v_add_f64 v[76:77], v[68:69], v[50:51]
	v_mul_f64 v[50:51], v[0:1], v[14:15]
	v_fma_f64 v[46:47], v[0:1], v[8:9], -v[46:47]
	v_fmac_f64_e32 v[50:51], v[2:3], v[12:13]
	v_add_f64 v[58:59], v[62:63], v[46:47]
	v_mul_f64 v[46:47], v[2:3], v[6:7]
	v_add_f64 v[68:69], v[50:51], v[60:61]
	v_mul_f64 v[50:51], v[0:1], v[10:11]
	v_fma_f64 v[46:47], v[0:1], v[4:5], -v[46:47]
	v_mul_f64 v[0:1], v[0:1], v[6:7]
	v_fmac_f64_e32 v[50:51], v[2:3], v[8:9]
	v_fmac_f64_e32 v[0:1], v[2:3], v[4:5]
	v_add_f64 v[62:63], v[50:51], v[64:65]
	v_add_f64 v[50:51], v[0:1], v[72:73]
	ds_read_b128 v[0:3], v113 offset:2096
	v_add_f64 v[46:47], v[70:71], v[46:47]
	s_waitcnt lgkmcnt(0)
	v_mul_f64 v[60:61], v[2:3], v[18:19]
	v_fma_f64 v[60:61], v[0:1], v[16:17], -v[60:61]
	v_add_f64 v[70:71], v[42:43], v[60:61]
	v_mul_f64 v[42:43], v[2:3], v[14:15]
	v_mul_f64 v[64:65], v[0:1], v[18:19]
	v_fma_f64 v[42:43], v[0:1], v[12:13], -v[42:43]
	v_fmac_f64_e32 v[64:65], v[2:3], v[16:17]
	v_add_f64 v[60:61], v[48:49], v[42:43]
	v_mul_f64 v[42:43], v[2:3], v[10:11]
	v_add_f64 v[72:73], v[64:65], v[44:45]
	v_mul_f64 v[44:45], v[0:1], v[14:15]
	v_fma_f64 v[42:43], v[0:1], v[8:9], -v[42:43]
	v_fmac_f64_e32 v[44:45], v[2:3], v[12:13]
	v_add_f64 v[48:49], v[94:95], v[42:43]
	v_mul_f64 v[42:43], v[2:3], v[6:7]
	v_add_f64 v[64:65], v[44:45], v[52:53]
	v_mul_f64 v[44:45], v[0:1], v[10:11]
	v_fma_f64 v[42:43], v[0:1], v[4:5], -v[42:43]
	v_mul_f64 v[0:1], v[0:1], v[6:7]
	v_fmac_f64_e32 v[44:45], v[2:3], v[8:9]
	v_fmac_f64_e32 v[0:1], v[2:3], v[4:5]
	v_add_f64 v[52:53], v[44:45], v[96:97]
	v_add_f64 v[44:45], v[0:1], v[100:101]
	ds_read_b128 v[0:3], v113 offset:3120
	v_add_f64 v[42:43], v[98:99], v[42:43]
	s_waitcnt lgkmcnt(0)
	s_barrier
	v_mul_f64 v[94:95], v[2:3], v[18:19]
	v_mul_f64 v[18:19], v[0:1], v[18:19]
	v_fma_f64 v[94:95], v[0:1], v[16:17], -v[94:95]
	v_fmac_f64_e32 v[18:19], v[2:3], v[16:17]
	v_mul_f64 v[16:17], v[2:3], v[14:15]
	v_mul_f64 v[14:15], v[0:1], v[14:15]
	v_fma_f64 v[16:17], v[0:1], v[12:13], -v[16:17]
	v_fmac_f64_e32 v[14:15], v[2:3], v[12:13]
	;; [unrolled: 4-line block ×3, first 2 shown]
	v_mul_f64 v[8:9], v[2:3], v[6:7]
	v_fma_f64 v[8:9], v[0:1], v[4:5], -v[8:9]
	v_mul_f64 v[0:1], v[0:1], v[6:7]
	v_fmac_f64_e32 v[0:1], v[2:3], v[4:5]
	v_add_f64 v[78:79], v[78:79], v[94:95]
	v_add_f64 v[80:81], v[18:19], v[80:81]
	;; [unrolled: 1-line block ×8, first 2 shown]
	s_cbranch_vccnz .LBB124_2
	s_branch .LBB124_4
.LBB124_3:
	v_mov_b64_e32 v[54:55], 0
	v_mov_b64_e32 v[56:57], 0
	;; [unrolled: 1-line block ×32, first 2 shown]
.LBB124_4:
	s_load_dwordx2 s[0:1], s[0:1], 0x90
	v_cmp_neq_f64_e64 s[8:9], s[10:11], 0
	v_lshl_add_u64 v[2:3], s[6:7], 0, v[26:27]
	s_mov_b64 s[6:7], 0
	v_lshl_add_u64 v[0:1], s[2:3], 0, v[24:25]
	s_waitcnt lgkmcnt(0)
	s_mul_i32 s1, s1, s4
	s_mul_hi_u32 s5, s0, s4
	s_mul_i32 s0, s0, s4
	s_add_i32 s1, s5, s1
	s_lshl_b64 s[0:1], s[0:1], 4
	s_add_u32 s0, s20, s0
	s_addc_u32 s1, s21, s1
	v_cmp_neq_f64_e64 s[20:21], s[12:13], 0
	s_or_b64 s[8:9], s[8:9], s[20:21]
	s_and_b64 vcc, exec, s[8:9]
	s_cbranch_vccnz .LBB124_6
; %bb.5:
	v_mul_lo_u32 v6, v3, s22
	v_mul_lo_u32 v7, v2, s23
	v_mad_u64_u32 v[4:5], s[2:3], v2, s22, 0
	v_add3_u32 v5, v5, v7, v6
	v_lshl_add_u64 v[24:25], v[4:5], 4, s[0:1]
	v_mul_f64 v[4:5], s[40:41], v[56:57]
	v_mul_f64 v[6:7], s[38:39], v[56:57]
	v_lshlrev_b64 v[26:27], 4, v[0:1]
	v_fma_f64 v[4:5], s[38:39], v[54:55], -v[4:5]
	v_fmac_f64_e32 v[6:7], s[40:41], v[54:55]
	v_lshl_add_u64 v[28:29], v[24:25], 0, v[26:27]
	global_store_dwordx4 v[28:29], v[4:7], off
	s_lshl_b64 s[2:3], s[22:23], 8
	v_lshl_add_u64 v[24:25], v[24:25], 0, s[2:3]
	v_mul_f64 v[4:5], s[40:41], v[40:41]
	v_mul_f64 v[6:7], s[38:39], v[40:41]
	v_fma_f64 v[4:5], s[38:39], v[38:39], -v[4:5]
	v_fmac_f64_e32 v[6:7], s[40:41], v[38:39]
	global_store_dwordx4 v[28:29], v[4:7], off offset:256
	s_nop 1
	v_mul_f64 v[4:5], s[40:41], v[36:37]
	v_mul_f64 v[6:7], s[38:39], v[36:37]
	v_fma_f64 v[4:5], s[38:39], v[34:35], -v[4:5]
	v_fmac_f64_e32 v[6:7], s[40:41], v[34:35]
	global_store_dwordx4 v[28:29], v[4:7], off offset:512
	s_nop 1
	v_mul_f64 v[4:5], s[40:41], v[22:23]
	v_mul_f64 v[6:7], s[38:39], v[22:23]
	v_fma_f64 v[4:5], s[38:39], v[20:21], -v[4:5]
	v_fmac_f64_e32 v[6:7], s[40:41], v[20:21]
	global_store_dwordx4 v[28:29], v[4:7], off offset:768
	v_lshl_add_u64 v[28:29], v[24:25], 0, v[26:27]
	v_lshl_add_u64 v[24:25], v[24:25], 0, s[2:3]
	v_mul_f64 v[4:5], s[40:41], v[76:77]
	v_mul_f64 v[6:7], s[38:39], v[76:77]
	v_fma_f64 v[4:5], s[38:39], v[74:75], -v[4:5]
	v_fmac_f64_e32 v[6:7], s[40:41], v[74:75]
	global_store_dwordx4 v[28:29], v[4:7], off
	s_nop 1
	v_mul_f64 v[4:5], s[40:41], v[68:69]
	v_mul_f64 v[6:7], s[38:39], v[68:69]
	v_fma_f64 v[4:5], s[38:39], v[66:67], -v[4:5]
	v_fmac_f64_e32 v[6:7], s[40:41], v[66:67]
	global_store_dwordx4 v[28:29], v[4:7], off offset:256
	s_nop 1
	v_mul_f64 v[4:5], s[40:41], v[62:63]
	v_mul_f64 v[6:7], s[38:39], v[62:63]
	v_fma_f64 v[4:5], s[38:39], v[58:59], -v[4:5]
	v_fmac_f64_e32 v[6:7], s[40:41], v[58:59]
	global_store_dwordx4 v[28:29], v[4:7], off offset:512
	s_nop 1
	v_mul_f64 v[4:5], s[40:41], v[50:51]
	v_mul_f64 v[6:7], s[38:39], v[50:51]
	v_fma_f64 v[4:5], s[38:39], v[46:47], -v[4:5]
	v_fmac_f64_e32 v[6:7], s[40:41], v[46:47]
	global_store_dwordx4 v[28:29], v[4:7], off offset:768
	v_lshl_add_u64 v[28:29], v[24:25], 0, v[26:27]
	v_lshl_add_u64 v[24:25], v[24:25], 0, s[2:3]
	v_mul_f64 v[4:5], s[40:41], v[72:73]
	v_mul_f64 v[6:7], s[38:39], v[72:73]
	v_fma_f64 v[4:5], s[38:39], v[70:71], -v[4:5]
	v_fmac_f64_e32 v[6:7], s[40:41], v[70:71]
	global_store_dwordx4 v[28:29], v[4:7], off
	v_lshl_add_u64 v[24:25], v[24:25], 0, v[26:27]
	s_mov_b64 s[2:3], 0x300
	v_mul_f64 v[4:5], s[40:41], v[64:65]
	v_mul_f64 v[6:7], s[38:39], v[64:65]
	v_fma_f64 v[4:5], s[38:39], v[60:61], -v[4:5]
	v_fmac_f64_e32 v[6:7], s[40:41], v[60:61]
	global_store_dwordx4 v[28:29], v[4:7], off offset:256
	s_nop 1
	v_mul_f64 v[4:5], s[40:41], v[52:53]
	v_mul_f64 v[6:7], s[38:39], v[52:53]
	v_fma_f64 v[4:5], s[38:39], v[48:49], -v[4:5]
	v_fmac_f64_e32 v[6:7], s[40:41], v[48:49]
	global_store_dwordx4 v[28:29], v[4:7], off offset:512
	s_nop 1
	;; [unrolled: 6-line block ×3, first 2 shown]
	v_mul_f64 v[4:5], s[40:41], v[80:81]
	v_mul_f64 v[6:7], s[38:39], v[80:81]
	v_fma_f64 v[4:5], s[38:39], v[78:79], -v[4:5]
	v_fmac_f64_e32 v[6:7], s[40:41], v[78:79]
	global_store_dwordx4 v[24:25], v[4:7], off
	s_nop 1
	v_mul_f64 v[4:5], s[40:41], v[18:19]
	v_mul_f64 v[6:7], s[38:39], v[18:19]
	v_fma_f64 v[4:5], s[38:39], v[16:17], -v[4:5]
	v_fmac_f64_e32 v[6:7], s[40:41], v[16:17]
	global_store_dwordx4 v[24:25], v[4:7], off offset:256
	s_nop 1
	v_mul_f64 v[4:5], s[40:41], v[14:15]
	v_mul_f64 v[6:7], s[38:39], v[14:15]
	v_fma_f64 v[4:5], s[38:39], v[12:13], -v[4:5]
	v_fmac_f64_e32 v[6:7], s[40:41], v[12:13]
	global_store_dwordx4 v[24:25], v[4:7], off offset:512
	s_nop 1
	v_mul_f64 v[4:5], s[40:41], v[10:11]
	v_fma_f64 v[26:27], s[38:39], v[8:9], -v[4:5]
	v_mul_f64 v[4:5], s[38:39], v[10:11]
	v_fmac_f64_e32 v[4:5], s[40:41], v[8:9]
	v_lshl_add_u64 v[6:7], v[24:25], 0, s[2:3]
	global_store_dwordx2 v[24:25], v[26:27], off offset:768
	s_andn2_b64 vcc, exec, s[6:7]
	s_cbranch_vccz .LBB124_7
	s_branch .LBB124_8
.LBB124_6:
                                        ; implicit-def: $vgpr4_vgpr5
                                        ; implicit-def: $vgpr6_vgpr7
.LBB124_7:
	s_mul_i32 s2, s19, s4
	s_mul_hi_u32 s3, s18, s4
	s_add_i32 s3, s3, s2
	s_mul_i32 s2, s18, s4
	s_lshl_b64 s[2:3], s[2:3], 4
	s_add_u32 s2, s14, s2
	v_mul_lo_u32 v6, v3, s16
	v_mul_lo_u32 v7, v2, s17
	v_mad_u64_u32 v[4:5], s[4:5], v2, s16, 0
	s_addc_u32 s3, s15, s3
	v_add3_u32 v5, v5, v7, v6
	v_lshl_add_u64 v[24:25], v[4:5], 4, s[2:3]
	v_lshlrev_b64 v[0:1], 4, v[0:1]
	v_lshl_add_u64 v[26:27], v[24:25], 0, v[0:1]
	global_load_dwordx4 v[4:7], v[26:27], off
	v_mul_lo_u32 v32, v3, s22
	v_mul_lo_u32 v33, v2, s23
	v_mad_u64_u32 v[2:3], s[2:3], v2, s22, 0
	v_add3_u32 v3, v3, v33, v32
	v_mul_f64 v[28:29], s[40:41], v[56:57]
	v_mul_f64 v[30:31], s[38:39], v[56:57]
	v_lshl_add_u64 v[32:33], v[2:3], 4, s[0:1]
	v_fma_f64 v[28:29], s[38:39], v[54:55], -v[28:29]
	v_fmac_f64_e32 v[30:31], s[40:41], v[54:55]
	v_lshl_add_u64 v[54:55], v[32:33], 0, v[0:1]
	s_lshl_b64 s[0:1], s[16:17], 8
	s_lshl_b64 s[2:3], s[22:23], 8
	s_waitcnt vmcnt(0)
	v_mul_f64 v[2:3], s[12:13], v[6:7]
	v_mul_f64 v[6:7], s[10:11], v[6:7]
	v_fma_f64 v[2:3], s[10:11], v[4:5], -v[2:3]
	v_fmac_f64_e32 v[6:7], s[12:13], v[4:5]
	v_add_f64 v[2:3], v[28:29], v[2:3]
	v_add_f64 v[4:5], v[30:31], v[6:7]
	global_store_dwordx4 v[54:55], v[2:5], off
	global_load_dwordx4 v[2:5], v[26:27], off offset:256
	v_mul_f64 v[6:7], s[40:41], v[40:41]
	v_mul_f64 v[28:29], s[38:39], v[40:41]
	v_fma_f64 v[6:7], s[38:39], v[38:39], -v[6:7]
	v_fmac_f64_e32 v[28:29], s[40:41], v[38:39]
	s_waitcnt vmcnt(0)
	v_mul_f64 v[30:31], s[12:13], v[4:5]
	v_mul_f64 v[4:5], s[10:11], v[4:5]
	v_fma_f64 v[30:31], s[10:11], v[2:3], -v[30:31]
	v_fmac_f64_e32 v[4:5], s[12:13], v[2:3]
	v_add_f64 v[2:3], v[6:7], v[30:31]
	v_add_f64 v[4:5], v[28:29], v[4:5]
	global_store_dwordx4 v[54:55], v[2:5], off offset:256
	global_load_dwordx4 v[2:5], v[26:27], off offset:512
	v_mul_f64 v[6:7], s[40:41], v[36:37]
	v_mul_f64 v[28:29], s[38:39], v[36:37]
	v_fma_f64 v[6:7], s[38:39], v[34:35], -v[6:7]
	v_fmac_f64_e32 v[28:29], s[40:41], v[34:35]
	s_waitcnt vmcnt(0)
	v_mul_f64 v[30:31], s[12:13], v[4:5]
	v_mul_f64 v[4:5], s[10:11], v[4:5]
	v_fma_f64 v[30:31], s[10:11], v[2:3], -v[30:31]
	v_fmac_f64_e32 v[4:5], s[12:13], v[2:3]
	v_add_f64 v[2:3], v[6:7], v[30:31]
	v_add_f64 v[4:5], v[28:29], v[4:5]
	global_store_dwordx4 v[54:55], v[2:5], off offset:512
	global_load_dwordx4 v[2:5], v[26:27], off offset:768
	v_mul_f64 v[6:7], s[40:41], v[22:23]
	v_mul_f64 v[22:23], s[38:39], v[22:23]
	v_fma_f64 v[6:7], s[38:39], v[20:21], -v[6:7]
	v_fmac_f64_e32 v[22:23], s[40:41], v[20:21]
	v_lshl_add_u64 v[20:21], v[24:25], 0, s[0:1]
	v_lshl_add_u64 v[24:25], v[20:21], 0, v[0:1]
	;; [unrolled: 1-line block ×3, first 2 shown]
	s_waitcnt vmcnt(0)
	v_mul_f64 v[26:27], s[12:13], v[4:5]
	v_mul_f64 v[4:5], s[10:11], v[4:5]
	v_fma_f64 v[26:27], s[10:11], v[2:3], -v[26:27]
	v_fmac_f64_e32 v[4:5], s[12:13], v[2:3]
	v_add_f64 v[2:3], v[6:7], v[26:27]
	v_add_f64 v[4:5], v[22:23], v[4:5]
	global_store_dwordx4 v[54:55], v[2:5], off offset:768
	global_load_dwordx4 v[2:5], v[24:25], off
	v_mul_f64 v[6:7], s[40:41], v[76:77]
	v_mul_f64 v[22:23], s[38:39], v[76:77]
	v_fma_f64 v[6:7], s[38:39], v[74:75], -v[6:7]
	v_fmac_f64_e32 v[22:23], s[40:41], v[74:75]
	v_lshl_add_u64 v[26:27], v[32:33], 0, s[2:3]
	v_lshl_add_u64 v[28:29], v[26:27], 0, v[0:1]
	;; [unrolled: 1-line block ×3, first 2 shown]
	s_waitcnt vmcnt(0)
	v_mul_f64 v[30:31], s[12:13], v[4:5]
	v_mul_f64 v[4:5], s[10:11], v[4:5]
	v_fma_f64 v[30:31], s[10:11], v[2:3], -v[30:31]
	v_fmac_f64_e32 v[4:5], s[12:13], v[2:3]
	v_add_f64 v[2:3], v[6:7], v[30:31]
	v_add_f64 v[4:5], v[22:23], v[4:5]
	global_store_dwordx4 v[28:29], v[2:5], off
	global_load_dwordx4 v[2:5], v[24:25], off offset:256
	v_mul_f64 v[6:7], s[40:41], v[68:69]
	v_mul_f64 v[22:23], s[38:39], v[68:69]
	v_fma_f64 v[6:7], s[38:39], v[66:67], -v[6:7]
	v_fmac_f64_e32 v[22:23], s[40:41], v[66:67]
	s_waitcnt vmcnt(0)
	v_mul_f64 v[30:31], s[12:13], v[4:5]
	v_mul_f64 v[4:5], s[10:11], v[4:5]
	v_fma_f64 v[30:31], s[10:11], v[2:3], -v[30:31]
	v_fmac_f64_e32 v[4:5], s[12:13], v[2:3]
	v_add_f64 v[2:3], v[6:7], v[30:31]
	v_add_f64 v[4:5], v[22:23], v[4:5]
	global_store_dwordx4 v[28:29], v[2:5], off offset:256
	global_load_dwordx4 v[2:5], v[24:25], off offset:512
	v_mul_f64 v[6:7], s[40:41], v[62:63]
	v_mul_f64 v[22:23], s[38:39], v[62:63]
	v_fma_f64 v[6:7], s[38:39], v[58:59], -v[6:7]
	v_fmac_f64_e32 v[22:23], s[40:41], v[58:59]
	s_waitcnt vmcnt(0)
	v_mul_f64 v[30:31], s[12:13], v[4:5]
	v_mul_f64 v[4:5], s[10:11], v[4:5]
	v_fma_f64 v[30:31], s[10:11], v[2:3], -v[30:31]
	v_fmac_f64_e32 v[4:5], s[12:13], v[2:3]
	v_add_f64 v[2:3], v[6:7], v[30:31]
	v_add_f64 v[4:5], v[22:23], v[4:5]
	global_store_dwordx4 v[28:29], v[2:5], off offset:512
	global_load_dwordx4 v[2:5], v[24:25], off offset:768
	v_mul_f64 v[6:7], s[40:41], v[50:51]
	v_mul_f64 v[22:23], s[38:39], v[50:51]
	v_fma_f64 v[6:7], s[38:39], v[46:47], -v[6:7]
	v_fmac_f64_e32 v[22:23], s[40:41], v[46:47]
	v_lshl_add_u64 v[24:25], v[20:21], 0, v[0:1]
	v_lshl_add_u64 v[20:21], v[20:21], 0, s[0:1]
	;; [unrolled: 1-line block ×3, first 2 shown]
	s_mov_b64 s[0:1], 0x300
	s_waitcnt vmcnt(0)
	v_mul_f64 v[30:31], s[12:13], v[4:5]
	v_mul_f64 v[4:5], s[10:11], v[4:5]
	v_fma_f64 v[30:31], s[10:11], v[2:3], -v[30:31]
	v_fmac_f64_e32 v[4:5], s[12:13], v[2:3]
	v_add_f64 v[2:3], v[6:7], v[30:31]
	v_add_f64 v[4:5], v[22:23], v[4:5]
	global_store_dwordx4 v[28:29], v[2:5], off offset:768
	global_load_dwordx4 v[2:5], v[24:25], off
	v_mul_f64 v[6:7], s[40:41], v[72:73]
	v_mul_f64 v[22:23], s[38:39], v[72:73]
	v_fma_f64 v[6:7], s[38:39], v[70:71], -v[6:7]
	v_fmac_f64_e32 v[22:23], s[40:41], v[70:71]
	v_lshl_add_u64 v[28:29], v[26:27], 0, v[0:1]
	s_waitcnt vmcnt(0)
	v_mul_f64 v[30:31], s[12:13], v[4:5]
	v_mul_f64 v[4:5], s[10:11], v[4:5]
	v_fma_f64 v[30:31], s[10:11], v[2:3], -v[30:31]
	v_fmac_f64_e32 v[4:5], s[12:13], v[2:3]
	v_add_f64 v[2:3], v[6:7], v[30:31]
	v_add_f64 v[4:5], v[22:23], v[4:5]
	global_store_dwordx4 v[28:29], v[2:5], off
	global_load_dwordx4 v[2:5], v[24:25], off offset:256
	v_mul_f64 v[6:7], s[40:41], v[64:65]
	v_mul_f64 v[22:23], s[38:39], v[64:65]
	v_fma_f64 v[6:7], s[38:39], v[60:61], -v[6:7]
	v_fmac_f64_e32 v[22:23], s[40:41], v[60:61]
	s_waitcnt vmcnt(0)
	v_mul_f64 v[30:31], s[12:13], v[4:5]
	v_mul_f64 v[4:5], s[10:11], v[4:5]
	v_fma_f64 v[30:31], s[10:11], v[2:3], -v[30:31]
	v_fmac_f64_e32 v[4:5], s[12:13], v[2:3]
	v_add_f64 v[2:3], v[6:7], v[30:31]
	v_add_f64 v[4:5], v[22:23], v[4:5]
	global_store_dwordx4 v[28:29], v[2:5], off offset:256
	global_load_dwordx4 v[2:5], v[24:25], off offset:512
	v_mul_f64 v[6:7], s[40:41], v[52:53]
	v_mul_f64 v[22:23], s[38:39], v[52:53]
	v_fma_f64 v[6:7], s[38:39], v[48:49], -v[6:7]
	v_fmac_f64_e32 v[22:23], s[40:41], v[48:49]
	s_waitcnt vmcnt(0)
	v_mul_f64 v[30:31], s[12:13], v[4:5]
	v_mul_f64 v[4:5], s[10:11], v[4:5]
	v_fma_f64 v[30:31], s[10:11], v[2:3], -v[30:31]
	v_fmac_f64_e32 v[4:5], s[12:13], v[2:3]
	v_add_f64 v[2:3], v[6:7], v[30:31]
	v_add_f64 v[4:5], v[22:23], v[4:5]
	global_store_dwordx4 v[28:29], v[2:5], off offset:512
	global_load_dwordx4 v[2:5], v[24:25], off offset:768
	v_mul_f64 v[6:7], s[40:41], v[44:45]
	v_mul_f64 v[22:23], s[38:39], v[44:45]
	v_fma_f64 v[6:7], s[38:39], v[42:43], -v[6:7]
	v_fmac_f64_e32 v[22:23], s[40:41], v[42:43]
	s_waitcnt vmcnt(0)
	v_mul_f64 v[24:25], s[12:13], v[4:5]
	v_mul_f64 v[4:5], s[10:11], v[4:5]
	v_fma_f64 v[24:25], s[10:11], v[2:3], -v[24:25]
	v_fmac_f64_e32 v[4:5], s[12:13], v[2:3]
	v_add_f64 v[2:3], v[6:7], v[24:25]
	v_add_f64 v[4:5], v[22:23], v[4:5]
	global_store_dwordx4 v[28:29], v[2:5], off offset:768
	global_load_dwordx4 v[2:5], v[20:21], off
	v_lshl_add_u64 v[24:25], v[26:27], 0, s[2:3]
	v_mul_f64 v[6:7], s[40:41], v[80:81]
	v_mul_f64 v[22:23], s[38:39], v[80:81]
	v_lshl_add_u64 v[24:25], v[24:25], 0, v[0:1]
	v_fma_f64 v[6:7], s[38:39], v[78:79], -v[6:7]
	v_fmac_f64_e32 v[22:23], s[40:41], v[78:79]
	s_waitcnt vmcnt(0)
	v_mul_f64 v[0:1], s[12:13], v[4:5]
	v_mul_f64 v[4:5], s[10:11], v[4:5]
	v_fma_f64 v[0:1], s[10:11], v[2:3], -v[0:1]
	v_fmac_f64_e32 v[4:5], s[12:13], v[2:3]
	v_add_f64 v[0:1], v[6:7], v[0:1]
	v_add_f64 v[2:3], v[22:23], v[4:5]
	global_store_dwordx4 v[24:25], v[0:3], off
	global_load_dwordx4 v[0:3], v[20:21], off offset:256
	v_mul_f64 v[4:5], s[40:41], v[18:19]
	v_mul_f64 v[6:7], s[38:39], v[18:19]
	v_fma_f64 v[4:5], s[38:39], v[16:17], -v[4:5]
	v_fmac_f64_e32 v[6:7], s[40:41], v[16:17]
	s_waitcnt vmcnt(0)
	v_mul_f64 v[16:17], s[12:13], v[2:3]
	v_mul_f64 v[2:3], s[10:11], v[2:3]
	v_fma_f64 v[16:17], s[10:11], v[0:1], -v[16:17]
	v_fmac_f64_e32 v[2:3], s[12:13], v[0:1]
	v_add_f64 v[0:1], v[4:5], v[16:17]
	v_add_f64 v[2:3], v[6:7], v[2:3]
	global_store_dwordx4 v[24:25], v[0:3], off offset:256
	global_load_dwordx4 v[0:3], v[20:21], off offset:512
	v_mul_f64 v[4:5], s[40:41], v[14:15]
	v_mul_f64 v[6:7], s[38:39], v[14:15]
	v_fma_f64 v[4:5], s[38:39], v[12:13], -v[4:5]
	v_fmac_f64_e32 v[6:7], s[40:41], v[12:13]
	s_waitcnt vmcnt(0)
	v_mul_f64 v[12:13], s[12:13], v[2:3]
	v_mul_f64 v[2:3], s[10:11], v[2:3]
	v_fma_f64 v[12:13], s[10:11], v[0:1], -v[12:13]
	v_fmac_f64_e32 v[2:3], s[12:13], v[0:1]
	v_add_f64 v[0:1], v[4:5], v[12:13]
	v_add_f64 v[2:3], v[6:7], v[2:3]
	global_store_dwordx4 v[24:25], v[0:3], off offset:512
	global_load_dwordx4 v[0:3], v[20:21], off offset:768
	v_mul_f64 v[4:5], s[40:41], v[10:11]
	v_mul_f64 v[6:7], s[38:39], v[10:11]
	v_fma_f64 v[4:5], s[38:39], v[8:9], -v[4:5]
	v_fmac_f64_e32 v[6:7], s[40:41], v[8:9]
	s_waitcnt vmcnt(0)
	v_mul_f64 v[8:9], s[12:13], v[2:3]
	v_mul_f64 v[2:3], s[10:11], v[2:3]
	v_fma_f64 v[8:9], s[10:11], v[0:1], -v[8:9]
	v_fmac_f64_e32 v[2:3], s[12:13], v[0:1]
	v_add_f64 v[0:1], v[4:5], v[8:9]
	v_add_f64 v[4:5], v[6:7], v[2:3]
	v_lshl_add_u64 v[6:7], v[24:25], 0, s[0:1]
	global_store_dwordx2 v[24:25], v[0:1], off offset:768
.LBB124_8:
	global_store_dwordx2 v[6:7], v[4:5], off offset:8
	s_endpgm
	.section	.rodata,"a",@progbits
	.p2align	6, 0x0
	.amdhsa_kernel _ZN12_GLOBAL__N_127rocblas_gemm_batched_kernelI19rocblas_complex_numIdELi16ELi16ELi64ELi64ELi4ELi64ELi4ELi4ELi64ELc67ELc84EKS2_S3_S2_EEvlllT_PT11_llS6_llS4_PT12_llPT13_lli
		.amdhsa_group_segment_fixed_size 8192
		.amdhsa_private_segment_fixed_size 0
		.amdhsa_kernarg_size 156
		.amdhsa_user_sgpr_count 2
		.amdhsa_user_sgpr_dispatch_ptr 0
		.amdhsa_user_sgpr_queue_ptr 0
		.amdhsa_user_sgpr_kernarg_segment_ptr 1
		.amdhsa_user_sgpr_dispatch_id 0
		.amdhsa_user_sgpr_kernarg_preload_length 0
		.amdhsa_user_sgpr_kernarg_preload_offset 0
		.amdhsa_user_sgpr_private_segment_size 0
		.amdhsa_uses_dynamic_stack 0
		.amdhsa_enable_private_segment 0
		.amdhsa_system_sgpr_workgroup_id_x 1
		.amdhsa_system_sgpr_workgroup_id_y 1
		.amdhsa_system_sgpr_workgroup_id_z 1
		.amdhsa_system_sgpr_workgroup_info 0
		.amdhsa_system_vgpr_workitem_id 1
		.amdhsa_next_free_vgpr 138
		.amdhsa_next_free_sgpr 52
		.amdhsa_accum_offset 140
		.amdhsa_reserve_vcc 1
		.amdhsa_float_round_mode_32 0
		.amdhsa_float_round_mode_16_64 0
		.amdhsa_float_denorm_mode_32 3
		.amdhsa_float_denorm_mode_16_64 3
		.amdhsa_dx10_clamp 1
		.amdhsa_ieee_mode 1
		.amdhsa_fp16_overflow 0
		.amdhsa_tg_split 0
		.amdhsa_exception_fp_ieee_invalid_op 0
		.amdhsa_exception_fp_denorm_src 0
		.amdhsa_exception_fp_ieee_div_zero 0
		.amdhsa_exception_fp_ieee_overflow 0
		.amdhsa_exception_fp_ieee_underflow 0
		.amdhsa_exception_fp_ieee_inexact 0
		.amdhsa_exception_int_div_zero 0
	.end_amdhsa_kernel
	.section	.text._ZN12_GLOBAL__N_127rocblas_gemm_batched_kernelI19rocblas_complex_numIdELi16ELi16ELi64ELi64ELi4ELi64ELi4ELi4ELi64ELc67ELc84EKS2_S3_S2_EEvlllT_PT11_llS6_llS4_PT12_llPT13_lli,"axG",@progbits,_ZN12_GLOBAL__N_127rocblas_gemm_batched_kernelI19rocblas_complex_numIdELi16ELi16ELi64ELi64ELi4ELi64ELi4ELi4ELi64ELc67ELc84EKS2_S3_S2_EEvlllT_PT11_llS6_llS4_PT12_llPT13_lli,comdat
.Lfunc_end124:
	.size	_ZN12_GLOBAL__N_127rocblas_gemm_batched_kernelI19rocblas_complex_numIdELi16ELi16ELi64ELi64ELi4ELi64ELi4ELi4ELi64ELc67ELc84EKS2_S3_S2_EEvlllT_PT11_llS6_llS4_PT12_llPT13_lli, .Lfunc_end124-_ZN12_GLOBAL__N_127rocblas_gemm_batched_kernelI19rocblas_complex_numIdELi16ELi16ELi64ELi64ELi4ELi64ELi4ELi4ELi64ELc67ELc84EKS2_S3_S2_EEvlllT_PT11_llS6_llS4_PT12_llPT13_lli
                                        ; -- End function
	.set _ZN12_GLOBAL__N_127rocblas_gemm_batched_kernelI19rocblas_complex_numIdELi16ELi16ELi64ELi64ELi4ELi64ELi4ELi4ELi64ELc67ELc84EKS2_S3_S2_EEvlllT_PT11_llS6_llS4_PT12_llPT13_lli.num_vgpr, 138
	.set _ZN12_GLOBAL__N_127rocblas_gemm_batched_kernelI19rocblas_complex_numIdELi16ELi16ELi64ELi64ELi4ELi64ELi4ELi4ELi64ELc67ELc84EKS2_S3_S2_EEvlllT_PT11_llS6_llS4_PT12_llPT13_lli.num_agpr, 0
	.set _ZN12_GLOBAL__N_127rocblas_gemm_batched_kernelI19rocblas_complex_numIdELi16ELi16ELi64ELi64ELi4ELi64ELi4ELi4ELi64ELc67ELc84EKS2_S3_S2_EEvlllT_PT11_llS6_llS4_PT12_llPT13_lli.numbered_sgpr, 52
	.set _ZN12_GLOBAL__N_127rocblas_gemm_batched_kernelI19rocblas_complex_numIdELi16ELi16ELi64ELi64ELi4ELi64ELi4ELi4ELi64ELc67ELc84EKS2_S3_S2_EEvlllT_PT11_llS6_llS4_PT12_llPT13_lli.num_named_barrier, 0
	.set _ZN12_GLOBAL__N_127rocblas_gemm_batched_kernelI19rocblas_complex_numIdELi16ELi16ELi64ELi64ELi4ELi64ELi4ELi4ELi64ELc67ELc84EKS2_S3_S2_EEvlllT_PT11_llS6_llS4_PT12_llPT13_lli.private_seg_size, 0
	.set _ZN12_GLOBAL__N_127rocblas_gemm_batched_kernelI19rocblas_complex_numIdELi16ELi16ELi64ELi64ELi4ELi64ELi4ELi4ELi64ELc67ELc84EKS2_S3_S2_EEvlllT_PT11_llS6_llS4_PT12_llPT13_lli.uses_vcc, 1
	.set _ZN12_GLOBAL__N_127rocblas_gemm_batched_kernelI19rocblas_complex_numIdELi16ELi16ELi64ELi64ELi4ELi64ELi4ELi4ELi64ELc67ELc84EKS2_S3_S2_EEvlllT_PT11_llS6_llS4_PT12_llPT13_lli.uses_flat_scratch, 0
	.set _ZN12_GLOBAL__N_127rocblas_gemm_batched_kernelI19rocblas_complex_numIdELi16ELi16ELi64ELi64ELi4ELi64ELi4ELi4ELi64ELc67ELc84EKS2_S3_S2_EEvlllT_PT11_llS6_llS4_PT12_llPT13_lli.has_dyn_sized_stack, 0
	.set _ZN12_GLOBAL__N_127rocblas_gemm_batched_kernelI19rocblas_complex_numIdELi16ELi16ELi64ELi64ELi4ELi64ELi4ELi4ELi64ELc67ELc84EKS2_S3_S2_EEvlllT_PT11_llS6_llS4_PT12_llPT13_lli.has_recursion, 0
	.set _ZN12_GLOBAL__N_127rocblas_gemm_batched_kernelI19rocblas_complex_numIdELi16ELi16ELi64ELi64ELi4ELi64ELi4ELi4ELi64ELc67ELc84EKS2_S3_S2_EEvlllT_PT11_llS6_llS4_PT12_llPT13_lli.has_indirect_call, 0
	.section	.AMDGPU.csdata,"",@progbits
; Kernel info:
; codeLenInByte = 6464
; TotalNumSgprs: 58
; NumVgprs: 138
; NumAgprs: 0
; TotalNumVgprs: 138
; ScratchSize: 0
; MemoryBound: 0
; FloatMode: 240
; IeeeMode: 1
; LDSByteSize: 8192 bytes/workgroup (compile time only)
; SGPRBlocks: 7
; VGPRBlocks: 17
; NumSGPRsForWavesPerEU: 58
; NumVGPRsForWavesPerEU: 138
; AccumOffset: 140
; Occupancy: 3
; WaveLimiterHint : 1
; COMPUTE_PGM_RSRC2:SCRATCH_EN: 0
; COMPUTE_PGM_RSRC2:USER_SGPR: 2
; COMPUTE_PGM_RSRC2:TRAP_HANDLER: 0
; COMPUTE_PGM_RSRC2:TGID_X_EN: 1
; COMPUTE_PGM_RSRC2:TGID_Y_EN: 1
; COMPUTE_PGM_RSRC2:TGID_Z_EN: 1
; COMPUTE_PGM_RSRC2:TIDIG_COMP_CNT: 1
; COMPUTE_PGM_RSRC3_GFX90A:ACCUM_OFFSET: 34
; COMPUTE_PGM_RSRC3_GFX90A:TG_SPLIT: 0
	.section	.text._ZN12_GLOBAL__N_127rocblas_gemm_batched_kernelI19rocblas_complex_numIdELi16ELi16ELi64ELi64ELi4ELi64ELi4ELi4ELi64ELc78ELc67EKS2_S3_S2_EEvlllT_PT11_llS6_llS4_PT12_llPT13_lli,"axG",@progbits,_ZN12_GLOBAL__N_127rocblas_gemm_batched_kernelI19rocblas_complex_numIdELi16ELi16ELi64ELi64ELi4ELi64ELi4ELi4ELi64ELc78ELc67EKS2_S3_S2_EEvlllT_PT11_llS6_llS4_PT12_llPT13_lli,comdat
	.globl	_ZN12_GLOBAL__N_127rocblas_gemm_batched_kernelI19rocblas_complex_numIdELi16ELi16ELi64ELi64ELi4ELi64ELi4ELi4ELi64ELc78ELc67EKS2_S3_S2_EEvlllT_PT11_llS6_llS4_PT12_llPT13_lli ; -- Begin function _ZN12_GLOBAL__N_127rocblas_gemm_batched_kernelI19rocblas_complex_numIdELi16ELi16ELi64ELi64ELi4ELi64ELi4ELi4ELi64ELc78ELc67EKS2_S3_S2_EEvlllT_PT11_llS6_llS4_PT12_llPT13_lli
	.p2align	8
	.type	_ZN12_GLOBAL__N_127rocblas_gemm_batched_kernelI19rocblas_complex_numIdELi16ELi16ELi64ELi64ELi4ELi64ELi4ELi4ELi64ELc78ELc67EKS2_S3_S2_EEvlllT_PT11_llS6_llS4_PT12_llPT13_lli,@function
_ZN12_GLOBAL__N_127rocblas_gemm_batched_kernelI19rocblas_complex_numIdELi16ELi16ELi64ELi64ELi4ELi64ELi4ELi4ELi64ELc78ELc67EKS2_S3_S2_EEvlllT_PT11_llS6_llS4_PT12_llPT13_lli: ; @_ZN12_GLOBAL__N_127rocblas_gemm_batched_kernelI19rocblas_complex_numIdELi16ELi16ELi64ELi64ELi4ELi64ELi4ELi4ELi64ELc78ELc67EKS2_S3_S2_EEvlllT_PT11_llS6_llS4_PT12_llPT13_lli
; %bb.0:
	s_load_dwordx16 s[36:51], s[0:1], 0x10
	s_load_dwordx16 s[8:23], s[0:1], 0x50
	s_mov_b32 s6, s3
	v_mov_b32_e32 v27, 0
	s_ashr_i32 s3, s2, 31
	s_ashr_i32 s7, s6, 31
	s_waitcnt lgkmcnt(0)
	v_cmp_lt_i64_e64 s[24:25], s[36:37], 1
	v_bfe_u32 v26, v0, 10, 10
	v_and_b32_e32 v24, 0x3ff, v0
	v_mov_b32_e32 v25, v27
	s_lshl_b64 s[2:3], s[2:3], 6
	s_lshl_b64 s[6:7], s[6:7], 6
	s_and_b64 vcc, exec, s[24:25]
	s_cbranch_vccnz .LBB125_3
; %bb.1:
	v_lshl_add_u32 v6, v26, 4, v24
	v_lshrrev_b32_e32 v0, 2, v6
	v_mov_b32_e32 v1, v27
	v_lshl_add_u64 v[2:3], v[0:1], 0, s[6:7]
	v_and_b32_e32 v1, 3, v24
	v_mad_u64_u32 v[2:3], s[24:25], s50, v1, v[2:3]
	v_mov_b32_e32 v4, v3
	v_mad_u64_u32 v[4:5], s[24:25], s51, v1, v[4:5]
	v_lshlrev_b32_e32 v1, 4, v1
	v_lshl_or_b32 v0, v0, 6, v1
	v_add_u32_e32 v111, 0x1000, v0
	v_mov_b32_e32 v0, 0x1000
	v_mov_b32_e32 v3, v4
	v_and_b32_e32 v4, 63, v6
	v_lshrrev_b32_e32 v7, 6, v6
	v_lshl_add_u32 v113, v26, 6, v0
	v_mov_b64_e32 v[0:1], s[2:3]
	v_lshlrev_b32_e32 v6, 4, v4
	s_mul_i32 s5, s47, s4
	s_mul_hi_u32 s24, s46, s4
	v_mad_u64_u32 v[0:1], s[26:27], s44, v7, v[0:1]
	v_lshl_or_b32 v110, v7, 10, v6
	s_add_i32 s25, s24, s5
	s_mul_i32 s24, s46, s4
	v_mov_b32_e32 v6, v1
	s_lshl_b64 s[24:25], s[24:25], 4
	v_mad_u64_u32 v[6:7], s[26:27], s45, v7, v[6:7]
	v_mov_b32_e32 v5, v27
	v_mov_b32_e32 v1, v6
	s_add_u32 s24, s42, s24
	s_mul_i32 s5, s9, s4
	s_mul_hi_u32 s9, s8, s4
	v_lshl_add_u64 v[0:1], v[0:1], 0, v[4:5]
	s_addc_u32 s25, s43, s25
	s_add_i32 s9, s9, s5
	s_mul_i32 s8, s8, s4
	v_lshl_add_u64 v[28:29], v[0:1], 4, s[24:25]
	s_lshl_b64 s[24:25], s[44:45], 6
	s_lshl_b64 s[8:9], s[8:9], 4
	s_add_u32 s8, s48, s8
	s_addc_u32 s9, s49, s9
	v_lshl_add_u64 v[0:1], v[2:3], 4, s[8:9]
	v_lshlrev_b32_e32 v112, 4, v24
	v_lshl_add_u64 v[30:31], v[0:1], 0, 8
	s_lshl_b64 s[8:9], s[50:51], 6
	s_mov_b64 s[26:27], 0
	v_mov_b64_e32 v[10:11], 0
	v_mov_b64_e32 v[32:33], s[36:37]
	;; [unrolled: 1-line block ×33, first 2 shown]
.LBB125_2:                              ; =>This Inner Loop Header: Depth=1
	global_load_dwordx4 v[0:3], v[28:29], off
	s_add_u32 s26, s26, 4
	s_addc_u32 s27, s27, 0
	v_cmp_lt_i64_e32 vcc, s[26:27], v[32:33]
	v_lshl_add_u64 v[28:29], v[28:29], 0, s[24:25]
	s_and_b64 vcc, exec, vcc
	s_waitcnt vmcnt(0)
	ds_write2_b64 v110, v[0:1], v[2:3] offset1:1
	global_load_dwordx4 v[0:3], v[30:31], off offset:-8
	v_lshl_add_u64 v[30:31], v[30:31], 0, s[8:9]
	s_waitcnt vmcnt(0)
	v_xor_b32_e32 v3, 0x80000000, v3
	ds_write_b128 v111, v[0:3]
	s_waitcnt lgkmcnt(0)
	s_barrier
	ds_read_b128 v[82:85], v113
	ds_read_b128 v[114:117], v113 offset:16
	ds_read_b128 v[4:7], v113 offset:32
	;; [unrolled: 1-line block ×3, first 2 shown]
	ds_read_b128 v[118:121], v112
	s_waitcnt lgkmcnt(0)
	v_mul_f64 v[86:87], v[84:85], v[120:121]
	v_mul_f64 v[88:89], v[82:83], v[120:121]
	v_fma_f64 v[86:87], v[82:83], v[118:119], -v[86:87]
	v_fmac_f64_e32 v[88:89], v[84:85], v[118:119]
	v_add_f64 v[122:123], v[54:55], v[86:87]
	v_add_f64 v[124:125], v[88:89], v[56:57]
	ds_read_b128 v[54:57], v112 offset:256
	s_waitcnt lgkmcnt(0)
	v_mul_f64 v[86:87], v[84:85], v[56:57]
	v_mul_f64 v[88:89], v[82:83], v[56:57]
	v_fma_f64 v[86:87], v[82:83], v[54:55], -v[86:87]
	v_fmac_f64_e32 v[88:89], v[84:85], v[54:55]
	v_add_f64 v[126:127], v[38:39], v[86:87]
	v_add_f64 v[128:129], v[88:89], v[40:41]
	ds_read_b128 v[38:41], v112 offset:512
	;; [unrolled: 8-line block ×3, first 2 shown]
	s_waitcnt lgkmcnt(0)
	v_mul_f64 v[86:87], v[84:85], v[36:37]
	v_fma_f64 v[86:87], v[82:83], v[34:35], -v[86:87]
	v_mul_f64 v[82:83], v[82:83], v[36:37]
	v_fmac_f64_e32 v[82:83], v[84:85], v[34:35]
	v_add_f64 v[134:135], v[20:21], v[86:87]
	v_add_f64 v[136:137], v[82:83], v[22:23]
	ds_read_b128 v[20:23], v113 offset:1024
	s_waitcnt lgkmcnt(0)
	v_mul_f64 v[82:83], v[22:23], v[120:121]
	v_fma_f64 v[82:83], v[20:21], v[118:119], -v[82:83]
	v_add_f64 v[74:75], v[74:75], v[82:83]
	v_mul_f64 v[82:83], v[22:23], v[56:57]
	v_mul_f64 v[84:85], v[20:21], v[120:121]
	v_fma_f64 v[82:83], v[20:21], v[54:55], -v[82:83]
	v_fmac_f64_e32 v[84:85], v[22:23], v[118:119]
	v_add_f64 v[98:99], v[66:67], v[82:83]
	v_mul_f64 v[66:67], v[22:23], v[40:41]
	v_add_f64 v[76:77], v[84:85], v[76:77]
	v_mul_f64 v[84:85], v[20:21], v[56:57]
	v_fma_f64 v[66:67], v[20:21], v[38:39], -v[66:67]
	v_fmac_f64_e32 v[84:85], v[22:23], v[54:55]
	v_add_f64 v[102:103], v[58:59], v[66:67]
	v_mul_f64 v[58:59], v[22:23], v[36:37]
	v_add_f64 v[100:101], v[84:85], v[68:69]
	v_mul_f64 v[68:69], v[20:21], v[40:41]
	v_fma_f64 v[58:59], v[20:21], v[34:35], -v[58:59]
	v_mul_f64 v[20:21], v[20:21], v[36:37]
	v_fmac_f64_e32 v[20:21], v[22:23], v[34:35]
	v_fmac_f64_e32 v[68:69], v[22:23], v[38:39]
	v_add_f64 v[108:109], v[20:21], v[50:51]
	ds_read_b128 v[20:23], v113 offset:2048
	v_add_f64 v[106:107], v[46:47], v[58:59]
	v_add_f64 v[104:105], v[68:69], v[62:63]
	s_waitcnt lgkmcnt(0)
	v_mul_f64 v[46:47], v[22:23], v[120:121]
	v_fma_f64 v[46:47], v[20:21], v[118:119], -v[46:47]
	v_add_f64 v[82:83], v[70:71], v[46:47]
	v_mul_f64 v[46:47], v[22:23], v[56:57]
	v_mul_f64 v[50:51], v[20:21], v[120:121]
	v_fma_f64 v[46:47], v[20:21], v[54:55], -v[46:47]
	v_fmac_f64_e32 v[50:51], v[22:23], v[118:119]
	v_add_f64 v[86:87], v[60:61], v[46:47]
	v_mul_f64 v[46:47], v[22:23], v[40:41]
	v_add_f64 v[84:85], v[50:51], v[72:73]
	v_mul_f64 v[50:51], v[20:21], v[56:57]
	v_fma_f64 v[46:47], v[20:21], v[38:39], -v[46:47]
	v_fmac_f64_e32 v[50:51], v[22:23], v[54:55]
	v_add_f64 v[90:91], v[48:49], v[46:47]
	v_mul_f64 v[46:47], v[22:23], v[36:37]
	v_add_f64 v[88:89], v[50:51], v[64:65]
	v_mul_f64 v[50:51], v[20:21], v[40:41]
	v_fma_f64 v[46:47], v[20:21], v[34:35], -v[46:47]
	v_mul_f64 v[20:21], v[20:21], v[36:37]
	v_fmac_f64_e32 v[20:21], v[22:23], v[34:35]
	v_fmac_f64_e32 v[50:51], v[22:23], v[38:39]
	v_add_f64 v[96:97], v[20:21], v[44:45]
	ds_read_b128 v[20:23], v113 offset:3072
	v_add_f64 v[94:95], v[42:43], v[46:47]
	v_add_f64 v[92:93], v[50:51], v[52:53]
	s_waitcnt lgkmcnt(0)
	v_mul_f64 v[42:43], v[22:23], v[120:121]
	v_mul_f64 v[44:45], v[20:21], v[120:121]
	v_fma_f64 v[42:43], v[20:21], v[118:119], -v[42:43]
	v_fmac_f64_e32 v[44:45], v[22:23], v[118:119]
	v_add_f64 v[62:63], v[78:79], v[42:43]
	v_add_f64 v[64:65], v[44:45], v[80:81]
	v_mul_f64 v[42:43], v[22:23], v[56:57]
	v_mul_f64 v[44:45], v[20:21], v[56:57]
	v_fma_f64 v[42:43], v[20:21], v[54:55], -v[42:43]
	v_fmac_f64_e32 v[44:45], v[22:23], v[54:55]
	v_add_f64 v[58:59], v[16:17], v[42:43]
	v_add_f64 v[60:61], v[44:45], v[18:19]
	;; [unrolled: 6-line block ×3, first 2 shown]
	v_mul_f64 v[12:13], v[22:23], v[36:37]
	v_mul_f64 v[14:15], v[20:21], v[36:37]
	v_fma_f64 v[12:13], v[20:21], v[34:35], -v[12:13]
	v_fmac_f64_e32 v[14:15], v[22:23], v[34:35]
	ds_read_b128 v[20:23], v112 offset:1024
	ds_read_b128 v[16:19], v112 offset:1280
	v_add_f64 v[50:51], v[8:9], v[12:13]
	v_add_f64 v[52:53], v[14:15], v[10:11]
	ds_read_b128 v[12:15], v112 offset:1536
	ds_read_b128 v[78:81], v113 offset:1040
	s_waitcnt lgkmcnt(3)
	v_mul_f64 v[8:9], v[116:117], v[22:23]
	v_mul_f64 v[10:11], v[114:115], v[22:23]
	v_fma_f64 v[8:9], v[114:115], v[20:21], -v[8:9]
	v_fmac_f64_e32 v[10:11], v[116:117], v[20:21]
	v_add_f64 v[46:47], v[122:123], v[8:9]
	v_add_f64 v[48:49], v[10:11], v[124:125]
	s_waitcnt lgkmcnt(2)
	v_mul_f64 v[8:9], v[116:117], v[18:19]
	v_mul_f64 v[10:11], v[114:115], v[18:19]
	v_fma_f64 v[8:9], v[114:115], v[16:17], -v[8:9]
	v_fmac_f64_e32 v[10:11], v[116:117], v[16:17]
	v_add_f64 v[42:43], v[126:127], v[8:9]
	v_add_f64 v[44:45], v[10:11], v[128:129]
	;; [unrolled: 7-line block ×3, first 2 shown]
	ds_read_b128 v[8:11], v112 offset:1792
	s_waitcnt lgkmcnt(1)
	v_mul_f64 v[70:71], v[80:81], v[18:19]
	v_mul_f64 v[72:73], v[78:79], v[18:19]
	;; [unrolled: 1-line block ×4, first 2 shown]
	v_fma_f64 v[70:71], v[78:79], v[16:17], -v[70:71]
	v_fmac_f64_e32 v[72:73], v[80:81], v[16:17]
	v_fma_f64 v[66:67], v[78:79], v[20:21], -v[66:67]
	v_fmac_f64_e32 v[68:69], v[80:81], v[20:21]
	v_add_f64 v[70:71], v[98:99], v[70:71]
	v_add_f64 v[72:73], v[72:73], v[100:101]
	s_waitcnt lgkmcnt(0)
	v_mul_f64 v[98:99], v[80:81], v[10:11]
	v_mul_f64 v[100:101], v[78:79], v[10:11]
	v_add_f64 v[66:67], v[74:75], v[66:67]
	v_add_f64 v[68:69], v[68:69], v[76:77]
	v_mul_f64 v[74:75], v[80:81], v[14:15]
	v_mul_f64 v[76:77], v[78:79], v[14:15]
	v_fma_f64 v[98:99], v[78:79], v[8:9], -v[98:99]
	v_fmac_f64_e32 v[100:101], v[80:81], v[8:9]
	v_fma_f64 v[74:75], v[78:79], v[12:13], -v[74:75]
	v_fmac_f64_e32 v[76:77], v[80:81], v[12:13]
	v_add_f64 v[78:79], v[106:107], v[98:99]
	v_add_f64 v[80:81], v[100:101], v[108:109]
	ds_read_b128 v[98:101], v113 offset:2064
	v_add_f64 v[74:75], v[102:103], v[74:75]
	v_add_f64 v[76:77], v[76:77], v[104:105]
	v_mul_f64 v[34:35], v[116:117], v[10:11]
	v_mul_f64 v[36:37], v[114:115], v[10:11]
	s_waitcnt lgkmcnt(0)
	v_mul_f64 v[102:103], v[100:101], v[22:23]
	v_mul_f64 v[104:105], v[98:99], v[22:23]
	v_fma_f64 v[102:103], v[98:99], v[20:21], -v[102:103]
	v_fmac_f64_e32 v[104:105], v[100:101], v[20:21]
	v_add_f64 v[82:83], v[82:83], v[102:103]
	v_add_f64 v[84:85], v[104:105], v[84:85]
	v_mul_f64 v[102:103], v[100:101], v[18:19]
	v_mul_f64 v[104:105], v[98:99], v[18:19]
	v_fma_f64 v[102:103], v[98:99], v[16:17], -v[102:103]
	v_fmac_f64_e32 v[104:105], v[100:101], v[16:17]
	v_add_f64 v[86:87], v[86:87], v[102:103]
	v_add_f64 v[88:89], v[104:105], v[88:89]
	;; [unrolled: 6-line block ×4, first 2 shown]
	ds_read_b128 v[94:97], v113 offset:3088
	v_fma_f64 v[34:35], v[114:115], v[8:9], -v[34:35]
	v_fmac_f64_e32 v[36:37], v[116:117], v[8:9]
	v_add_f64 v[36:37], v[36:37], v[136:137]
	v_add_f64 v[34:35], v[134:135], v[34:35]
	s_waitcnt lgkmcnt(0)
	v_mul_f64 v[102:103], v[96:97], v[22:23]
	v_mul_f64 v[22:23], v[94:95], v[22:23]
	v_fma_f64 v[102:103], v[94:95], v[20:21], -v[102:103]
	v_fmac_f64_e32 v[22:23], v[96:97], v[20:21]
	v_mul_f64 v[20:21], v[96:97], v[18:19]
	v_mul_f64 v[18:19], v[94:95], v[18:19]
	v_fma_f64 v[20:21], v[94:95], v[16:17], -v[20:21]
	v_fmac_f64_e32 v[18:19], v[96:97], v[16:17]
	v_mul_f64 v[16:17], v[96:97], v[14:15]
	v_mul_f64 v[14:15], v[94:95], v[14:15]
	v_fma_f64 v[16:17], v[94:95], v[12:13], -v[16:17]
	v_fmac_f64_e32 v[14:15], v[96:97], v[12:13]
	v_mul_f64 v[12:13], v[96:97], v[10:11]
	v_mul_f64 v[10:11], v[94:95], v[10:11]
	v_fmac_f64_e32 v[10:11], v[96:97], v[8:9]
	v_fma_f64 v[12:13], v[94:95], v[8:9], -v[12:13]
	v_add_f64 v[116:117], v[10:11], v[52:53]
	ds_read_b128 v[8:11], v112 offset:2048
	v_add_f64 v[56:57], v[14:15], v[56:57]
	v_add_f64 v[114:115], v[50:51], v[12:13]
	;; [unrolled: 1-line block ×4, first 2 shown]
	s_waitcnt lgkmcnt(0)
	v_mul_f64 v[12:13], v[6:7], v[10:11]
	v_mul_f64 v[14:15], v[4:5], v[10:11]
	v_fma_f64 v[12:13], v[4:5], v[8:9], -v[12:13]
	v_fmac_f64_e32 v[14:15], v[6:7], v[8:9]
	v_add_f64 v[118:119], v[46:47], v[12:13]
	v_add_f64 v[120:121], v[14:15], v[48:49]
	ds_read_b128 v[12:15], v112 offset:2304
	v_add_f64 v[104:105], v[22:23], v[64:65]
	v_add_f64 v[106:107], v[58:59], v[20:21]
	;; [unrolled: 1-line block ×3, first 2 shown]
	s_waitcnt lgkmcnt(0)
	v_mul_f64 v[16:17], v[6:7], v[14:15]
	v_mul_f64 v[18:19], v[4:5], v[14:15]
	v_fma_f64 v[16:17], v[4:5], v[12:13], -v[16:17]
	v_fmac_f64_e32 v[18:19], v[6:7], v[12:13]
	v_add_f64 v[122:123], v[42:43], v[16:17]
	v_add_f64 v[124:125], v[18:19], v[44:45]
	ds_read_b128 v[16:19], v112 offset:2560
	s_waitcnt lgkmcnt(0)
	v_mul_f64 v[20:21], v[6:7], v[18:19]
	v_mul_f64 v[22:23], v[4:5], v[18:19]
	v_fma_f64 v[20:21], v[4:5], v[16:17], -v[20:21]
	v_fmac_f64_e32 v[22:23], v[6:7], v[16:17]
	v_add_f64 v[126:127], v[38:39], v[20:21]
	v_add_f64 v[128:129], v[22:23], v[40:41]
	ds_read_b128 v[20:23], v112 offset:2816
	s_waitcnt lgkmcnt(0)
	v_mul_f64 v[38:39], v[6:7], v[22:23]
	v_fma_f64 v[38:39], v[4:5], v[20:21], -v[38:39]
	v_mul_f64 v[4:5], v[4:5], v[22:23]
	v_fmac_f64_e32 v[4:5], v[6:7], v[20:21]
	v_add_f64 v[132:133], v[4:5], v[36:37]
	ds_read_b128 v[4:7], v113 offset:1056
	v_add_f64 v[130:131], v[34:35], v[38:39]
	s_waitcnt lgkmcnt(0)
	v_mul_f64 v[34:35], v[6:7], v[10:11]
	v_fma_f64 v[34:35], v[4:5], v[8:9], -v[34:35]
	v_add_f64 v[46:47], v[66:67], v[34:35]
	v_mul_f64 v[34:35], v[6:7], v[14:15]
	v_mul_f64 v[36:37], v[4:5], v[10:11]
	v_fma_f64 v[34:35], v[4:5], v[12:13], -v[34:35]
	v_fmac_f64_e32 v[36:37], v[6:7], v[8:9]
	v_add_f64 v[58:59], v[70:71], v[34:35]
	v_mul_f64 v[34:35], v[6:7], v[18:19]
	v_add_f64 v[50:51], v[36:37], v[68:69]
	v_mul_f64 v[36:37], v[4:5], v[14:15]
	v_fma_f64 v[34:35], v[4:5], v[16:17], -v[34:35]
	v_fmac_f64_e32 v[36:37], v[6:7], v[12:13]
	v_add_f64 v[62:63], v[74:75], v[34:35]
	v_mul_f64 v[34:35], v[6:7], v[22:23]
	v_add_f64 v[60:61], v[36:37], v[72:73]
	v_mul_f64 v[36:37], v[4:5], v[18:19]
	v_fma_f64 v[34:35], v[4:5], v[20:21], -v[34:35]
	v_mul_f64 v[4:5], v[4:5], v[22:23]
	v_fmac_f64_e32 v[4:5], v[6:7], v[20:21]
	v_fmac_f64_e32 v[36:37], v[6:7], v[16:17]
	v_add_f64 v[72:73], v[4:5], v[80:81]
	ds_read_b128 v[4:7], v113 offset:2080
	v_add_f64 v[70:71], v[78:79], v[34:35]
	v_add_f64 v[64:65], v[36:37], v[76:77]
	s_waitcnt lgkmcnt(0)
	v_mul_f64 v[34:35], v[6:7], v[10:11]
	v_fma_f64 v[34:35], v[4:5], v[8:9], -v[34:35]
	v_add_f64 v[42:43], v[82:83], v[34:35]
	v_mul_f64 v[34:35], v[6:7], v[14:15]
	v_mul_f64 v[36:37], v[4:5], v[10:11]
	v_fma_f64 v[34:35], v[4:5], v[12:13], -v[34:35]
	v_fmac_f64_e32 v[36:37], v[6:7], v[8:9]
	v_add_f64 v[48:49], v[86:87], v[34:35]
	v_mul_f64 v[34:35], v[6:7], v[18:19]
	v_add_f64 v[44:45], v[36:37], v[84:85]
	v_mul_f64 v[36:37], v[4:5], v[14:15]
	v_fma_f64 v[34:35], v[4:5], v[16:17], -v[34:35]
	v_fmac_f64_e32 v[36:37], v[6:7], v[12:13]
	v_add_f64 v[94:95], v[90:91], v[34:35]
	v_mul_f64 v[34:35], v[6:7], v[22:23]
	v_add_f64 v[52:53], v[36:37], v[88:89]
	v_mul_f64 v[36:37], v[4:5], v[18:19]
	v_fma_f64 v[34:35], v[4:5], v[20:21], -v[34:35]
	v_mul_f64 v[4:5], v[4:5], v[22:23]
	v_fmac_f64_e32 v[4:5], v[6:7], v[20:21]
	v_fmac_f64_e32 v[36:37], v[6:7], v[16:17]
	v_add_f64 v[100:101], v[4:5], v[100:101]
	ds_read_b128 v[4:7], v113 offset:3104
	v_add_f64 v[98:99], v[98:99], v[34:35]
	v_add_f64 v[96:97], v[36:37], v[92:93]
	s_waitcnt lgkmcnt(0)
	v_mul_f64 v[34:35], v[6:7], v[10:11]
	v_mul_f64 v[10:11], v[4:5], v[10:11]
	v_fmac_f64_e32 v[10:11], v[6:7], v[8:9]
	v_fma_f64 v[34:35], v[4:5], v[8:9], -v[34:35]
	v_add_f64 v[80:81], v[10:11], v[104:105]
	v_mul_f64 v[8:9], v[6:7], v[14:15]
	v_mul_f64 v[10:11], v[4:5], v[14:15]
	v_fma_f64 v[8:9], v[4:5], v[12:13], -v[8:9]
	v_fmac_f64_e32 v[10:11], v[6:7], v[12:13]
	v_add_f64 v[90:91], v[106:107], v[8:9]
	v_add_f64 v[92:93], v[10:11], v[108:109]
	v_mul_f64 v[8:9], v[6:7], v[18:19]
	v_mul_f64 v[10:11], v[4:5], v[18:19]
	v_fma_f64 v[8:9], v[4:5], v[16:17], -v[8:9]
	v_fmac_f64_e32 v[10:11], v[6:7], v[16:17]
	ds_read_b128 v[16:19], v112 offset:3072
	ds_read_b128 v[12:15], v112 offset:3328
	v_add_f64 v[86:87], v[54:55], v[8:9]
	v_mul_f64 v[8:9], v[6:7], v[22:23]
	v_fma_f64 v[8:9], v[4:5], v[20:21], -v[8:9]
	v_mul_f64 v[4:5], v[4:5], v[22:23]
	v_add_f64 v[88:89], v[10:11], v[56:57]
	v_fmac_f64_e32 v[4:5], v[6:7], v[20:21]
	v_add_f64 v[82:83], v[114:115], v[8:9]
	ds_read_b128 v[8:11], v112 offset:3584
	v_add_f64 v[84:85], v[4:5], v[116:117]
	s_waitcnt lgkmcnt(2)
	v_mul_f64 v[4:5], v[2:3], v[18:19]
	v_mul_f64 v[6:7], v[0:1], v[18:19]
	v_fma_f64 v[4:5], v[0:1], v[16:17], -v[4:5]
	v_fmac_f64_e32 v[6:7], v[2:3], v[16:17]
	v_add_f64 v[54:55], v[118:119], v[4:5]
	v_add_f64 v[56:57], v[6:7], v[120:121]
	s_waitcnt lgkmcnt(1)
	v_mul_f64 v[4:5], v[2:3], v[14:15]
	v_mul_f64 v[6:7], v[0:1], v[14:15]
	v_fma_f64 v[4:5], v[0:1], v[12:13], -v[4:5]
	v_fmac_f64_e32 v[6:7], v[2:3], v[12:13]
	v_add_f64 v[38:39], v[122:123], v[4:5]
	;; [unrolled: 7-line block ×3, first 2 shown]
	v_add_f64 v[34:35], v[126:127], v[4:5]
	v_add_f64 v[36:37], v[6:7], v[128:129]
	ds_read_b128 v[4:7], v112 offset:3840
	s_waitcnt lgkmcnt(0)
	v_mul_f64 v[20:21], v[2:3], v[6:7]
	v_fma_f64 v[20:21], v[0:1], v[4:5], -v[20:21]
	v_mul_f64 v[0:1], v[0:1], v[6:7]
	v_fmac_f64_e32 v[0:1], v[2:3], v[4:5]
	v_add_f64 v[22:23], v[0:1], v[132:133]
	ds_read_b128 v[0:3], v113 offset:1072
	v_add_f64 v[20:21], v[130:131], v[20:21]
	s_waitcnt lgkmcnt(0)
	v_mul_f64 v[66:67], v[2:3], v[18:19]
	v_fma_f64 v[66:67], v[0:1], v[16:17], -v[66:67]
	v_add_f64 v[74:75], v[46:47], v[66:67]
	v_mul_f64 v[46:47], v[2:3], v[14:15]
	v_mul_f64 v[68:69], v[0:1], v[18:19]
	v_fma_f64 v[46:47], v[0:1], v[12:13], -v[46:47]
	v_fmac_f64_e32 v[68:69], v[2:3], v[16:17]
	v_add_f64 v[66:67], v[58:59], v[46:47]
	v_mul_f64 v[46:47], v[2:3], v[10:11]
	v_add_f64 v[76:77], v[68:69], v[50:51]
	v_mul_f64 v[50:51], v[0:1], v[14:15]
	v_fma_f64 v[46:47], v[0:1], v[8:9], -v[46:47]
	v_fmac_f64_e32 v[50:51], v[2:3], v[12:13]
	v_add_f64 v[58:59], v[62:63], v[46:47]
	v_mul_f64 v[46:47], v[2:3], v[6:7]
	v_add_f64 v[68:69], v[50:51], v[60:61]
	v_mul_f64 v[50:51], v[0:1], v[10:11]
	v_fma_f64 v[46:47], v[0:1], v[4:5], -v[46:47]
	v_mul_f64 v[0:1], v[0:1], v[6:7]
	v_fmac_f64_e32 v[50:51], v[2:3], v[8:9]
	v_fmac_f64_e32 v[0:1], v[2:3], v[4:5]
	v_add_f64 v[62:63], v[50:51], v[64:65]
	v_add_f64 v[50:51], v[0:1], v[72:73]
	ds_read_b128 v[0:3], v113 offset:2096
	v_add_f64 v[46:47], v[70:71], v[46:47]
	s_waitcnt lgkmcnt(0)
	v_mul_f64 v[60:61], v[2:3], v[18:19]
	v_fma_f64 v[60:61], v[0:1], v[16:17], -v[60:61]
	v_add_f64 v[70:71], v[42:43], v[60:61]
	v_mul_f64 v[42:43], v[2:3], v[14:15]
	v_mul_f64 v[64:65], v[0:1], v[18:19]
	v_fma_f64 v[42:43], v[0:1], v[12:13], -v[42:43]
	v_fmac_f64_e32 v[64:65], v[2:3], v[16:17]
	v_add_f64 v[60:61], v[48:49], v[42:43]
	v_mul_f64 v[42:43], v[2:3], v[10:11]
	v_add_f64 v[72:73], v[64:65], v[44:45]
	v_mul_f64 v[44:45], v[0:1], v[14:15]
	v_fma_f64 v[42:43], v[0:1], v[8:9], -v[42:43]
	v_fmac_f64_e32 v[44:45], v[2:3], v[12:13]
	v_add_f64 v[48:49], v[94:95], v[42:43]
	v_mul_f64 v[42:43], v[2:3], v[6:7]
	v_add_f64 v[64:65], v[44:45], v[52:53]
	v_mul_f64 v[44:45], v[0:1], v[10:11]
	v_fma_f64 v[42:43], v[0:1], v[4:5], -v[42:43]
	v_mul_f64 v[0:1], v[0:1], v[6:7]
	v_fmac_f64_e32 v[44:45], v[2:3], v[8:9]
	v_fmac_f64_e32 v[0:1], v[2:3], v[4:5]
	v_add_f64 v[52:53], v[44:45], v[96:97]
	v_add_f64 v[44:45], v[0:1], v[100:101]
	ds_read_b128 v[0:3], v113 offset:3120
	v_add_f64 v[42:43], v[98:99], v[42:43]
	s_waitcnt lgkmcnt(0)
	s_barrier
	v_mul_f64 v[94:95], v[2:3], v[18:19]
	v_mul_f64 v[18:19], v[0:1], v[18:19]
	v_fma_f64 v[94:95], v[0:1], v[16:17], -v[94:95]
	v_fmac_f64_e32 v[18:19], v[2:3], v[16:17]
	v_mul_f64 v[16:17], v[2:3], v[14:15]
	v_mul_f64 v[14:15], v[0:1], v[14:15]
	v_fma_f64 v[16:17], v[0:1], v[12:13], -v[16:17]
	v_fmac_f64_e32 v[14:15], v[2:3], v[12:13]
	;; [unrolled: 4-line block ×3, first 2 shown]
	v_mul_f64 v[8:9], v[2:3], v[6:7]
	v_fma_f64 v[8:9], v[0:1], v[4:5], -v[8:9]
	v_mul_f64 v[0:1], v[0:1], v[6:7]
	v_fmac_f64_e32 v[0:1], v[2:3], v[4:5]
	v_add_f64 v[78:79], v[78:79], v[94:95]
	v_add_f64 v[80:81], v[18:19], v[80:81]
	;; [unrolled: 1-line block ×8, first 2 shown]
	s_cbranch_vccnz .LBB125_2
	s_branch .LBB125_4
.LBB125_3:
	v_mov_b64_e32 v[54:55], 0
	v_mov_b64_e32 v[56:57], 0
	;; [unrolled: 1-line block ×32, first 2 shown]
.LBB125_4:
	s_load_dwordx2 s[0:1], s[0:1], 0x90
	v_cmp_neq_f64_e64 s[8:9], s[10:11], 0
	v_lshl_add_u64 v[2:3], s[6:7], 0, v[26:27]
	s_mov_b64 s[6:7], 0
	v_lshl_add_u64 v[0:1], s[2:3], 0, v[24:25]
	s_waitcnt lgkmcnt(0)
	s_mul_i32 s1, s1, s4
	s_mul_hi_u32 s5, s0, s4
	s_mul_i32 s0, s0, s4
	s_add_i32 s1, s5, s1
	s_lshl_b64 s[0:1], s[0:1], 4
	s_add_u32 s0, s20, s0
	s_addc_u32 s1, s21, s1
	v_cmp_neq_f64_e64 s[20:21], s[12:13], 0
	s_or_b64 s[8:9], s[8:9], s[20:21]
	s_and_b64 vcc, exec, s[8:9]
	s_cbranch_vccnz .LBB125_6
; %bb.5:
	v_mul_lo_u32 v6, v3, s22
	v_mul_lo_u32 v7, v2, s23
	v_mad_u64_u32 v[4:5], s[2:3], v2, s22, 0
	v_add3_u32 v5, v5, v7, v6
	v_lshl_add_u64 v[24:25], v[4:5], 4, s[0:1]
	v_mul_f64 v[4:5], s[40:41], v[56:57]
	v_mul_f64 v[6:7], s[38:39], v[56:57]
	v_lshlrev_b64 v[26:27], 4, v[0:1]
	v_fma_f64 v[4:5], s[38:39], v[54:55], -v[4:5]
	v_fmac_f64_e32 v[6:7], s[40:41], v[54:55]
	v_lshl_add_u64 v[28:29], v[24:25], 0, v[26:27]
	global_store_dwordx4 v[28:29], v[4:7], off
	s_lshl_b64 s[2:3], s[22:23], 8
	v_lshl_add_u64 v[24:25], v[24:25], 0, s[2:3]
	v_mul_f64 v[4:5], s[40:41], v[40:41]
	v_mul_f64 v[6:7], s[38:39], v[40:41]
	v_fma_f64 v[4:5], s[38:39], v[38:39], -v[4:5]
	v_fmac_f64_e32 v[6:7], s[40:41], v[38:39]
	global_store_dwordx4 v[28:29], v[4:7], off offset:256
	s_nop 1
	v_mul_f64 v[4:5], s[40:41], v[36:37]
	v_mul_f64 v[6:7], s[38:39], v[36:37]
	v_fma_f64 v[4:5], s[38:39], v[34:35], -v[4:5]
	v_fmac_f64_e32 v[6:7], s[40:41], v[34:35]
	global_store_dwordx4 v[28:29], v[4:7], off offset:512
	s_nop 1
	v_mul_f64 v[4:5], s[40:41], v[22:23]
	v_mul_f64 v[6:7], s[38:39], v[22:23]
	v_fma_f64 v[4:5], s[38:39], v[20:21], -v[4:5]
	v_fmac_f64_e32 v[6:7], s[40:41], v[20:21]
	global_store_dwordx4 v[28:29], v[4:7], off offset:768
	v_lshl_add_u64 v[28:29], v[24:25], 0, v[26:27]
	v_lshl_add_u64 v[24:25], v[24:25], 0, s[2:3]
	v_mul_f64 v[4:5], s[40:41], v[76:77]
	v_mul_f64 v[6:7], s[38:39], v[76:77]
	v_fma_f64 v[4:5], s[38:39], v[74:75], -v[4:5]
	v_fmac_f64_e32 v[6:7], s[40:41], v[74:75]
	global_store_dwordx4 v[28:29], v[4:7], off
	s_nop 1
	v_mul_f64 v[4:5], s[40:41], v[68:69]
	v_mul_f64 v[6:7], s[38:39], v[68:69]
	v_fma_f64 v[4:5], s[38:39], v[66:67], -v[4:5]
	v_fmac_f64_e32 v[6:7], s[40:41], v[66:67]
	global_store_dwordx4 v[28:29], v[4:7], off offset:256
	s_nop 1
	v_mul_f64 v[4:5], s[40:41], v[62:63]
	v_mul_f64 v[6:7], s[38:39], v[62:63]
	v_fma_f64 v[4:5], s[38:39], v[58:59], -v[4:5]
	v_fmac_f64_e32 v[6:7], s[40:41], v[58:59]
	global_store_dwordx4 v[28:29], v[4:7], off offset:512
	;; [unrolled: 6-line block ×3, first 2 shown]
	v_lshl_add_u64 v[28:29], v[24:25], 0, v[26:27]
	v_lshl_add_u64 v[24:25], v[24:25], 0, s[2:3]
	v_mul_f64 v[4:5], s[40:41], v[72:73]
	v_mul_f64 v[6:7], s[38:39], v[72:73]
	v_fma_f64 v[4:5], s[38:39], v[70:71], -v[4:5]
	v_fmac_f64_e32 v[6:7], s[40:41], v[70:71]
	global_store_dwordx4 v[28:29], v[4:7], off
	v_lshl_add_u64 v[24:25], v[24:25], 0, v[26:27]
	s_mov_b64 s[2:3], 0x300
	v_mul_f64 v[4:5], s[40:41], v[64:65]
	v_mul_f64 v[6:7], s[38:39], v[64:65]
	v_fma_f64 v[4:5], s[38:39], v[60:61], -v[4:5]
	v_fmac_f64_e32 v[6:7], s[40:41], v[60:61]
	global_store_dwordx4 v[28:29], v[4:7], off offset:256
	s_nop 1
	v_mul_f64 v[4:5], s[40:41], v[52:53]
	v_mul_f64 v[6:7], s[38:39], v[52:53]
	v_fma_f64 v[4:5], s[38:39], v[48:49], -v[4:5]
	v_fmac_f64_e32 v[6:7], s[40:41], v[48:49]
	global_store_dwordx4 v[28:29], v[4:7], off offset:512
	s_nop 1
	;; [unrolled: 6-line block ×3, first 2 shown]
	v_mul_f64 v[4:5], s[40:41], v[80:81]
	v_mul_f64 v[6:7], s[38:39], v[80:81]
	v_fma_f64 v[4:5], s[38:39], v[78:79], -v[4:5]
	v_fmac_f64_e32 v[6:7], s[40:41], v[78:79]
	global_store_dwordx4 v[24:25], v[4:7], off
	s_nop 1
	v_mul_f64 v[4:5], s[40:41], v[18:19]
	v_mul_f64 v[6:7], s[38:39], v[18:19]
	v_fma_f64 v[4:5], s[38:39], v[16:17], -v[4:5]
	v_fmac_f64_e32 v[6:7], s[40:41], v[16:17]
	global_store_dwordx4 v[24:25], v[4:7], off offset:256
	s_nop 1
	v_mul_f64 v[4:5], s[40:41], v[14:15]
	v_mul_f64 v[6:7], s[38:39], v[14:15]
	v_fma_f64 v[4:5], s[38:39], v[12:13], -v[4:5]
	v_fmac_f64_e32 v[6:7], s[40:41], v[12:13]
	global_store_dwordx4 v[24:25], v[4:7], off offset:512
	s_nop 1
	v_mul_f64 v[4:5], s[40:41], v[10:11]
	v_fma_f64 v[26:27], s[38:39], v[8:9], -v[4:5]
	v_mul_f64 v[4:5], s[38:39], v[10:11]
	v_fmac_f64_e32 v[4:5], s[40:41], v[8:9]
	v_lshl_add_u64 v[6:7], v[24:25], 0, s[2:3]
	global_store_dwordx2 v[24:25], v[26:27], off offset:768
	s_andn2_b64 vcc, exec, s[6:7]
	s_cbranch_vccz .LBB125_7
	s_branch .LBB125_8
.LBB125_6:
                                        ; implicit-def: $vgpr4_vgpr5
                                        ; implicit-def: $vgpr6_vgpr7
.LBB125_7:
	s_mul_i32 s2, s19, s4
	s_mul_hi_u32 s3, s18, s4
	s_add_i32 s3, s3, s2
	s_mul_i32 s2, s18, s4
	s_lshl_b64 s[2:3], s[2:3], 4
	s_add_u32 s2, s14, s2
	v_mul_lo_u32 v6, v3, s16
	v_mul_lo_u32 v7, v2, s17
	v_mad_u64_u32 v[4:5], s[4:5], v2, s16, 0
	s_addc_u32 s3, s15, s3
	v_add3_u32 v5, v5, v7, v6
	v_lshl_add_u64 v[24:25], v[4:5], 4, s[2:3]
	v_lshlrev_b64 v[0:1], 4, v[0:1]
	v_lshl_add_u64 v[26:27], v[24:25], 0, v[0:1]
	global_load_dwordx4 v[4:7], v[26:27], off
	v_mul_lo_u32 v32, v3, s22
	v_mul_lo_u32 v33, v2, s23
	v_mad_u64_u32 v[2:3], s[2:3], v2, s22, 0
	v_add3_u32 v3, v3, v33, v32
	v_mul_f64 v[28:29], s[40:41], v[56:57]
	v_mul_f64 v[30:31], s[38:39], v[56:57]
	v_lshl_add_u64 v[32:33], v[2:3], 4, s[0:1]
	v_fma_f64 v[28:29], s[38:39], v[54:55], -v[28:29]
	v_fmac_f64_e32 v[30:31], s[40:41], v[54:55]
	v_lshl_add_u64 v[54:55], v[32:33], 0, v[0:1]
	s_lshl_b64 s[0:1], s[16:17], 8
	s_lshl_b64 s[2:3], s[22:23], 8
	s_waitcnt vmcnt(0)
	v_mul_f64 v[2:3], s[12:13], v[6:7]
	v_mul_f64 v[6:7], s[10:11], v[6:7]
	v_fma_f64 v[2:3], s[10:11], v[4:5], -v[2:3]
	v_fmac_f64_e32 v[6:7], s[12:13], v[4:5]
	v_add_f64 v[2:3], v[28:29], v[2:3]
	v_add_f64 v[4:5], v[30:31], v[6:7]
	global_store_dwordx4 v[54:55], v[2:5], off
	global_load_dwordx4 v[2:5], v[26:27], off offset:256
	v_mul_f64 v[6:7], s[40:41], v[40:41]
	v_mul_f64 v[28:29], s[38:39], v[40:41]
	v_fma_f64 v[6:7], s[38:39], v[38:39], -v[6:7]
	v_fmac_f64_e32 v[28:29], s[40:41], v[38:39]
	s_waitcnt vmcnt(0)
	v_mul_f64 v[30:31], s[12:13], v[4:5]
	v_mul_f64 v[4:5], s[10:11], v[4:5]
	v_fma_f64 v[30:31], s[10:11], v[2:3], -v[30:31]
	v_fmac_f64_e32 v[4:5], s[12:13], v[2:3]
	v_add_f64 v[2:3], v[6:7], v[30:31]
	v_add_f64 v[4:5], v[28:29], v[4:5]
	global_store_dwordx4 v[54:55], v[2:5], off offset:256
	global_load_dwordx4 v[2:5], v[26:27], off offset:512
	v_mul_f64 v[6:7], s[40:41], v[36:37]
	v_mul_f64 v[28:29], s[38:39], v[36:37]
	v_fma_f64 v[6:7], s[38:39], v[34:35], -v[6:7]
	v_fmac_f64_e32 v[28:29], s[40:41], v[34:35]
	s_waitcnt vmcnt(0)
	v_mul_f64 v[30:31], s[12:13], v[4:5]
	v_mul_f64 v[4:5], s[10:11], v[4:5]
	v_fma_f64 v[30:31], s[10:11], v[2:3], -v[30:31]
	v_fmac_f64_e32 v[4:5], s[12:13], v[2:3]
	v_add_f64 v[2:3], v[6:7], v[30:31]
	v_add_f64 v[4:5], v[28:29], v[4:5]
	global_store_dwordx4 v[54:55], v[2:5], off offset:512
	global_load_dwordx4 v[2:5], v[26:27], off offset:768
	v_mul_f64 v[6:7], s[40:41], v[22:23]
	v_mul_f64 v[22:23], s[38:39], v[22:23]
	v_fma_f64 v[6:7], s[38:39], v[20:21], -v[6:7]
	v_fmac_f64_e32 v[22:23], s[40:41], v[20:21]
	v_lshl_add_u64 v[20:21], v[24:25], 0, s[0:1]
	v_lshl_add_u64 v[24:25], v[20:21], 0, v[0:1]
	;; [unrolled: 1-line block ×3, first 2 shown]
	s_waitcnt vmcnt(0)
	v_mul_f64 v[26:27], s[12:13], v[4:5]
	v_mul_f64 v[4:5], s[10:11], v[4:5]
	v_fma_f64 v[26:27], s[10:11], v[2:3], -v[26:27]
	v_fmac_f64_e32 v[4:5], s[12:13], v[2:3]
	v_add_f64 v[2:3], v[6:7], v[26:27]
	v_add_f64 v[4:5], v[22:23], v[4:5]
	global_store_dwordx4 v[54:55], v[2:5], off offset:768
	global_load_dwordx4 v[2:5], v[24:25], off
	v_mul_f64 v[6:7], s[40:41], v[76:77]
	v_mul_f64 v[22:23], s[38:39], v[76:77]
	v_fma_f64 v[6:7], s[38:39], v[74:75], -v[6:7]
	v_fmac_f64_e32 v[22:23], s[40:41], v[74:75]
	v_lshl_add_u64 v[26:27], v[32:33], 0, s[2:3]
	v_lshl_add_u64 v[28:29], v[26:27], 0, v[0:1]
	;; [unrolled: 1-line block ×3, first 2 shown]
	s_waitcnt vmcnt(0)
	v_mul_f64 v[30:31], s[12:13], v[4:5]
	v_mul_f64 v[4:5], s[10:11], v[4:5]
	v_fma_f64 v[30:31], s[10:11], v[2:3], -v[30:31]
	v_fmac_f64_e32 v[4:5], s[12:13], v[2:3]
	v_add_f64 v[2:3], v[6:7], v[30:31]
	v_add_f64 v[4:5], v[22:23], v[4:5]
	global_store_dwordx4 v[28:29], v[2:5], off
	global_load_dwordx4 v[2:5], v[24:25], off offset:256
	v_mul_f64 v[6:7], s[40:41], v[68:69]
	v_mul_f64 v[22:23], s[38:39], v[68:69]
	v_fma_f64 v[6:7], s[38:39], v[66:67], -v[6:7]
	v_fmac_f64_e32 v[22:23], s[40:41], v[66:67]
	s_waitcnt vmcnt(0)
	v_mul_f64 v[30:31], s[12:13], v[4:5]
	v_mul_f64 v[4:5], s[10:11], v[4:5]
	v_fma_f64 v[30:31], s[10:11], v[2:3], -v[30:31]
	v_fmac_f64_e32 v[4:5], s[12:13], v[2:3]
	v_add_f64 v[2:3], v[6:7], v[30:31]
	v_add_f64 v[4:5], v[22:23], v[4:5]
	global_store_dwordx4 v[28:29], v[2:5], off offset:256
	global_load_dwordx4 v[2:5], v[24:25], off offset:512
	v_mul_f64 v[6:7], s[40:41], v[62:63]
	v_mul_f64 v[22:23], s[38:39], v[62:63]
	v_fma_f64 v[6:7], s[38:39], v[58:59], -v[6:7]
	v_fmac_f64_e32 v[22:23], s[40:41], v[58:59]
	s_waitcnt vmcnt(0)
	v_mul_f64 v[30:31], s[12:13], v[4:5]
	v_mul_f64 v[4:5], s[10:11], v[4:5]
	v_fma_f64 v[30:31], s[10:11], v[2:3], -v[30:31]
	v_fmac_f64_e32 v[4:5], s[12:13], v[2:3]
	v_add_f64 v[2:3], v[6:7], v[30:31]
	v_add_f64 v[4:5], v[22:23], v[4:5]
	global_store_dwordx4 v[28:29], v[2:5], off offset:512
	global_load_dwordx4 v[2:5], v[24:25], off offset:768
	v_mul_f64 v[6:7], s[40:41], v[50:51]
	v_mul_f64 v[22:23], s[38:39], v[50:51]
	v_fma_f64 v[6:7], s[38:39], v[46:47], -v[6:7]
	v_fmac_f64_e32 v[22:23], s[40:41], v[46:47]
	v_lshl_add_u64 v[24:25], v[20:21], 0, v[0:1]
	v_lshl_add_u64 v[20:21], v[20:21], 0, s[0:1]
	;; [unrolled: 1-line block ×3, first 2 shown]
	s_mov_b64 s[0:1], 0x300
	s_waitcnt vmcnt(0)
	v_mul_f64 v[30:31], s[12:13], v[4:5]
	v_mul_f64 v[4:5], s[10:11], v[4:5]
	v_fma_f64 v[30:31], s[10:11], v[2:3], -v[30:31]
	v_fmac_f64_e32 v[4:5], s[12:13], v[2:3]
	v_add_f64 v[2:3], v[6:7], v[30:31]
	v_add_f64 v[4:5], v[22:23], v[4:5]
	global_store_dwordx4 v[28:29], v[2:5], off offset:768
	global_load_dwordx4 v[2:5], v[24:25], off
	v_mul_f64 v[6:7], s[40:41], v[72:73]
	v_mul_f64 v[22:23], s[38:39], v[72:73]
	v_fma_f64 v[6:7], s[38:39], v[70:71], -v[6:7]
	v_fmac_f64_e32 v[22:23], s[40:41], v[70:71]
	v_lshl_add_u64 v[28:29], v[26:27], 0, v[0:1]
	s_waitcnt vmcnt(0)
	v_mul_f64 v[30:31], s[12:13], v[4:5]
	v_mul_f64 v[4:5], s[10:11], v[4:5]
	v_fma_f64 v[30:31], s[10:11], v[2:3], -v[30:31]
	v_fmac_f64_e32 v[4:5], s[12:13], v[2:3]
	v_add_f64 v[2:3], v[6:7], v[30:31]
	v_add_f64 v[4:5], v[22:23], v[4:5]
	global_store_dwordx4 v[28:29], v[2:5], off
	global_load_dwordx4 v[2:5], v[24:25], off offset:256
	v_mul_f64 v[6:7], s[40:41], v[64:65]
	v_mul_f64 v[22:23], s[38:39], v[64:65]
	v_fma_f64 v[6:7], s[38:39], v[60:61], -v[6:7]
	v_fmac_f64_e32 v[22:23], s[40:41], v[60:61]
	s_waitcnt vmcnt(0)
	v_mul_f64 v[30:31], s[12:13], v[4:5]
	v_mul_f64 v[4:5], s[10:11], v[4:5]
	v_fma_f64 v[30:31], s[10:11], v[2:3], -v[30:31]
	v_fmac_f64_e32 v[4:5], s[12:13], v[2:3]
	v_add_f64 v[2:3], v[6:7], v[30:31]
	v_add_f64 v[4:5], v[22:23], v[4:5]
	global_store_dwordx4 v[28:29], v[2:5], off offset:256
	global_load_dwordx4 v[2:5], v[24:25], off offset:512
	v_mul_f64 v[6:7], s[40:41], v[52:53]
	v_mul_f64 v[22:23], s[38:39], v[52:53]
	v_fma_f64 v[6:7], s[38:39], v[48:49], -v[6:7]
	v_fmac_f64_e32 v[22:23], s[40:41], v[48:49]
	s_waitcnt vmcnt(0)
	v_mul_f64 v[30:31], s[12:13], v[4:5]
	v_mul_f64 v[4:5], s[10:11], v[4:5]
	v_fma_f64 v[30:31], s[10:11], v[2:3], -v[30:31]
	v_fmac_f64_e32 v[4:5], s[12:13], v[2:3]
	v_add_f64 v[2:3], v[6:7], v[30:31]
	v_add_f64 v[4:5], v[22:23], v[4:5]
	global_store_dwordx4 v[28:29], v[2:5], off offset:512
	;; [unrolled: 13-line block ×3, first 2 shown]
	global_load_dwordx4 v[2:5], v[20:21], off
	v_lshl_add_u64 v[24:25], v[26:27], 0, s[2:3]
	v_mul_f64 v[6:7], s[40:41], v[80:81]
	v_mul_f64 v[22:23], s[38:39], v[80:81]
	v_lshl_add_u64 v[24:25], v[24:25], 0, v[0:1]
	v_fma_f64 v[6:7], s[38:39], v[78:79], -v[6:7]
	v_fmac_f64_e32 v[22:23], s[40:41], v[78:79]
	s_waitcnt vmcnt(0)
	v_mul_f64 v[0:1], s[12:13], v[4:5]
	v_mul_f64 v[4:5], s[10:11], v[4:5]
	v_fma_f64 v[0:1], s[10:11], v[2:3], -v[0:1]
	v_fmac_f64_e32 v[4:5], s[12:13], v[2:3]
	v_add_f64 v[0:1], v[6:7], v[0:1]
	v_add_f64 v[2:3], v[22:23], v[4:5]
	global_store_dwordx4 v[24:25], v[0:3], off
	global_load_dwordx4 v[0:3], v[20:21], off offset:256
	v_mul_f64 v[4:5], s[40:41], v[18:19]
	v_mul_f64 v[6:7], s[38:39], v[18:19]
	v_fma_f64 v[4:5], s[38:39], v[16:17], -v[4:5]
	v_fmac_f64_e32 v[6:7], s[40:41], v[16:17]
	s_waitcnt vmcnt(0)
	v_mul_f64 v[16:17], s[12:13], v[2:3]
	v_mul_f64 v[2:3], s[10:11], v[2:3]
	v_fma_f64 v[16:17], s[10:11], v[0:1], -v[16:17]
	v_fmac_f64_e32 v[2:3], s[12:13], v[0:1]
	v_add_f64 v[0:1], v[4:5], v[16:17]
	v_add_f64 v[2:3], v[6:7], v[2:3]
	global_store_dwordx4 v[24:25], v[0:3], off offset:256
	global_load_dwordx4 v[0:3], v[20:21], off offset:512
	v_mul_f64 v[4:5], s[40:41], v[14:15]
	v_mul_f64 v[6:7], s[38:39], v[14:15]
	v_fma_f64 v[4:5], s[38:39], v[12:13], -v[4:5]
	v_fmac_f64_e32 v[6:7], s[40:41], v[12:13]
	s_waitcnt vmcnt(0)
	v_mul_f64 v[12:13], s[12:13], v[2:3]
	v_mul_f64 v[2:3], s[10:11], v[2:3]
	v_fma_f64 v[12:13], s[10:11], v[0:1], -v[12:13]
	v_fmac_f64_e32 v[2:3], s[12:13], v[0:1]
	v_add_f64 v[0:1], v[4:5], v[12:13]
	v_add_f64 v[2:3], v[6:7], v[2:3]
	global_store_dwordx4 v[24:25], v[0:3], off offset:512
	global_load_dwordx4 v[0:3], v[20:21], off offset:768
	v_mul_f64 v[4:5], s[40:41], v[10:11]
	v_mul_f64 v[6:7], s[38:39], v[10:11]
	v_fma_f64 v[4:5], s[38:39], v[8:9], -v[4:5]
	v_fmac_f64_e32 v[6:7], s[40:41], v[8:9]
	s_waitcnt vmcnt(0)
	v_mul_f64 v[8:9], s[12:13], v[2:3]
	v_mul_f64 v[2:3], s[10:11], v[2:3]
	v_fma_f64 v[8:9], s[10:11], v[0:1], -v[8:9]
	v_fmac_f64_e32 v[2:3], s[12:13], v[0:1]
	v_add_f64 v[0:1], v[4:5], v[8:9]
	v_add_f64 v[4:5], v[6:7], v[2:3]
	v_lshl_add_u64 v[6:7], v[24:25], 0, s[0:1]
	global_store_dwordx2 v[24:25], v[0:1], off offset:768
.LBB125_8:
	global_store_dwordx2 v[6:7], v[4:5], off offset:8
	s_endpgm
	.section	.rodata,"a",@progbits
	.p2align	6, 0x0
	.amdhsa_kernel _ZN12_GLOBAL__N_127rocblas_gemm_batched_kernelI19rocblas_complex_numIdELi16ELi16ELi64ELi64ELi4ELi64ELi4ELi4ELi64ELc78ELc67EKS2_S3_S2_EEvlllT_PT11_llS6_llS4_PT12_llPT13_lli
		.amdhsa_group_segment_fixed_size 8192
		.amdhsa_private_segment_fixed_size 0
		.amdhsa_kernarg_size 156
		.amdhsa_user_sgpr_count 2
		.amdhsa_user_sgpr_dispatch_ptr 0
		.amdhsa_user_sgpr_queue_ptr 0
		.amdhsa_user_sgpr_kernarg_segment_ptr 1
		.amdhsa_user_sgpr_dispatch_id 0
		.amdhsa_user_sgpr_kernarg_preload_length 0
		.amdhsa_user_sgpr_kernarg_preload_offset 0
		.amdhsa_user_sgpr_private_segment_size 0
		.amdhsa_uses_dynamic_stack 0
		.amdhsa_enable_private_segment 0
		.amdhsa_system_sgpr_workgroup_id_x 1
		.amdhsa_system_sgpr_workgroup_id_y 1
		.amdhsa_system_sgpr_workgroup_id_z 1
		.amdhsa_system_sgpr_workgroup_info 0
		.amdhsa_system_vgpr_workitem_id 1
		.amdhsa_next_free_vgpr 138
		.amdhsa_next_free_sgpr 52
		.amdhsa_accum_offset 140
		.amdhsa_reserve_vcc 1
		.amdhsa_float_round_mode_32 0
		.amdhsa_float_round_mode_16_64 0
		.amdhsa_float_denorm_mode_32 3
		.amdhsa_float_denorm_mode_16_64 3
		.amdhsa_dx10_clamp 1
		.amdhsa_ieee_mode 1
		.amdhsa_fp16_overflow 0
		.amdhsa_tg_split 0
		.amdhsa_exception_fp_ieee_invalid_op 0
		.amdhsa_exception_fp_denorm_src 0
		.amdhsa_exception_fp_ieee_div_zero 0
		.amdhsa_exception_fp_ieee_overflow 0
		.amdhsa_exception_fp_ieee_underflow 0
		.amdhsa_exception_fp_ieee_inexact 0
		.amdhsa_exception_int_div_zero 0
	.end_amdhsa_kernel
	.section	.text._ZN12_GLOBAL__N_127rocblas_gemm_batched_kernelI19rocblas_complex_numIdELi16ELi16ELi64ELi64ELi4ELi64ELi4ELi4ELi64ELc78ELc67EKS2_S3_S2_EEvlllT_PT11_llS6_llS4_PT12_llPT13_lli,"axG",@progbits,_ZN12_GLOBAL__N_127rocblas_gemm_batched_kernelI19rocblas_complex_numIdELi16ELi16ELi64ELi64ELi4ELi64ELi4ELi4ELi64ELc78ELc67EKS2_S3_S2_EEvlllT_PT11_llS6_llS4_PT12_llPT13_lli,comdat
.Lfunc_end125:
	.size	_ZN12_GLOBAL__N_127rocblas_gemm_batched_kernelI19rocblas_complex_numIdELi16ELi16ELi64ELi64ELi4ELi64ELi4ELi4ELi64ELc78ELc67EKS2_S3_S2_EEvlllT_PT11_llS6_llS4_PT12_llPT13_lli, .Lfunc_end125-_ZN12_GLOBAL__N_127rocblas_gemm_batched_kernelI19rocblas_complex_numIdELi16ELi16ELi64ELi64ELi4ELi64ELi4ELi4ELi64ELc78ELc67EKS2_S3_S2_EEvlllT_PT11_llS6_llS4_PT12_llPT13_lli
                                        ; -- End function
	.set _ZN12_GLOBAL__N_127rocblas_gemm_batched_kernelI19rocblas_complex_numIdELi16ELi16ELi64ELi64ELi4ELi64ELi4ELi4ELi64ELc78ELc67EKS2_S3_S2_EEvlllT_PT11_llS6_llS4_PT12_llPT13_lli.num_vgpr, 138
	.set _ZN12_GLOBAL__N_127rocblas_gemm_batched_kernelI19rocblas_complex_numIdELi16ELi16ELi64ELi64ELi4ELi64ELi4ELi4ELi64ELc78ELc67EKS2_S3_S2_EEvlllT_PT11_llS6_llS4_PT12_llPT13_lli.num_agpr, 0
	.set _ZN12_GLOBAL__N_127rocblas_gemm_batched_kernelI19rocblas_complex_numIdELi16ELi16ELi64ELi64ELi4ELi64ELi4ELi4ELi64ELc78ELc67EKS2_S3_S2_EEvlllT_PT11_llS6_llS4_PT12_llPT13_lli.numbered_sgpr, 52
	.set _ZN12_GLOBAL__N_127rocblas_gemm_batched_kernelI19rocblas_complex_numIdELi16ELi16ELi64ELi64ELi4ELi64ELi4ELi4ELi64ELc78ELc67EKS2_S3_S2_EEvlllT_PT11_llS6_llS4_PT12_llPT13_lli.num_named_barrier, 0
	.set _ZN12_GLOBAL__N_127rocblas_gemm_batched_kernelI19rocblas_complex_numIdELi16ELi16ELi64ELi64ELi4ELi64ELi4ELi4ELi64ELc78ELc67EKS2_S3_S2_EEvlllT_PT11_llS6_llS4_PT12_llPT13_lli.private_seg_size, 0
	.set _ZN12_GLOBAL__N_127rocblas_gemm_batched_kernelI19rocblas_complex_numIdELi16ELi16ELi64ELi64ELi4ELi64ELi4ELi4ELi64ELc78ELc67EKS2_S3_S2_EEvlllT_PT11_llS6_llS4_PT12_llPT13_lli.uses_vcc, 1
	.set _ZN12_GLOBAL__N_127rocblas_gemm_batched_kernelI19rocblas_complex_numIdELi16ELi16ELi64ELi64ELi4ELi64ELi4ELi4ELi64ELc78ELc67EKS2_S3_S2_EEvlllT_PT11_llS6_llS4_PT12_llPT13_lli.uses_flat_scratch, 0
	.set _ZN12_GLOBAL__N_127rocblas_gemm_batched_kernelI19rocblas_complex_numIdELi16ELi16ELi64ELi64ELi4ELi64ELi4ELi4ELi64ELc78ELc67EKS2_S3_S2_EEvlllT_PT11_llS6_llS4_PT12_llPT13_lli.has_dyn_sized_stack, 0
	.set _ZN12_GLOBAL__N_127rocblas_gemm_batched_kernelI19rocblas_complex_numIdELi16ELi16ELi64ELi64ELi4ELi64ELi4ELi4ELi64ELc78ELc67EKS2_S3_S2_EEvlllT_PT11_llS6_llS4_PT12_llPT13_lli.has_recursion, 0
	.set _ZN12_GLOBAL__N_127rocblas_gemm_batched_kernelI19rocblas_complex_numIdELi16ELi16ELi64ELi64ELi4ELi64ELi4ELi4ELi64ELc78ELc67EKS2_S3_S2_EEvlllT_PT11_llS6_llS4_PT12_llPT13_lli.has_indirect_call, 0
	.section	.AMDGPU.csdata,"",@progbits
; Kernel info:
; codeLenInByte = 6448
; TotalNumSgprs: 58
; NumVgprs: 138
; NumAgprs: 0
; TotalNumVgprs: 138
; ScratchSize: 0
; MemoryBound: 0
; FloatMode: 240
; IeeeMode: 1
; LDSByteSize: 8192 bytes/workgroup (compile time only)
; SGPRBlocks: 7
; VGPRBlocks: 17
; NumSGPRsForWavesPerEU: 58
; NumVGPRsForWavesPerEU: 138
; AccumOffset: 140
; Occupancy: 3
; WaveLimiterHint : 1
; COMPUTE_PGM_RSRC2:SCRATCH_EN: 0
; COMPUTE_PGM_RSRC2:USER_SGPR: 2
; COMPUTE_PGM_RSRC2:TRAP_HANDLER: 0
; COMPUTE_PGM_RSRC2:TGID_X_EN: 1
; COMPUTE_PGM_RSRC2:TGID_Y_EN: 1
; COMPUTE_PGM_RSRC2:TGID_Z_EN: 1
; COMPUTE_PGM_RSRC2:TIDIG_COMP_CNT: 1
; COMPUTE_PGM_RSRC3_GFX90A:ACCUM_OFFSET: 34
; COMPUTE_PGM_RSRC3_GFX90A:TG_SPLIT: 0
	.section	.text._ZN12_GLOBAL__N_127rocblas_gemm_batched_kernelI19rocblas_complex_numIdELi16ELi16ELi64ELi64ELi4ELi64ELi4ELi4ELi64ELc84ELc67EKS2_S3_S2_EEvlllT_PT11_llS6_llS4_PT12_llPT13_lli,"axG",@progbits,_ZN12_GLOBAL__N_127rocblas_gemm_batched_kernelI19rocblas_complex_numIdELi16ELi16ELi64ELi64ELi4ELi64ELi4ELi4ELi64ELc84ELc67EKS2_S3_S2_EEvlllT_PT11_llS6_llS4_PT12_llPT13_lli,comdat
	.globl	_ZN12_GLOBAL__N_127rocblas_gemm_batched_kernelI19rocblas_complex_numIdELi16ELi16ELi64ELi64ELi4ELi64ELi4ELi4ELi64ELc84ELc67EKS2_S3_S2_EEvlllT_PT11_llS6_llS4_PT12_llPT13_lli ; -- Begin function _ZN12_GLOBAL__N_127rocblas_gemm_batched_kernelI19rocblas_complex_numIdELi16ELi16ELi64ELi64ELi4ELi64ELi4ELi4ELi64ELc84ELc67EKS2_S3_S2_EEvlllT_PT11_llS6_llS4_PT12_llPT13_lli
	.p2align	8
	.type	_ZN12_GLOBAL__N_127rocblas_gemm_batched_kernelI19rocblas_complex_numIdELi16ELi16ELi64ELi64ELi4ELi64ELi4ELi4ELi64ELc84ELc67EKS2_S3_S2_EEvlllT_PT11_llS6_llS4_PT12_llPT13_lli,@function
_ZN12_GLOBAL__N_127rocblas_gemm_batched_kernelI19rocblas_complex_numIdELi16ELi16ELi64ELi64ELi4ELi64ELi4ELi4ELi64ELc84ELc67EKS2_S3_S2_EEvlllT_PT11_llS6_llS4_PT12_llPT13_lli: ; @_ZN12_GLOBAL__N_127rocblas_gemm_batched_kernelI19rocblas_complex_numIdELi16ELi16ELi64ELi64ELi4ELi64ELi4ELi4ELi64ELc84ELc67EKS2_S3_S2_EEvlllT_PT11_llS6_llS4_PT12_llPT13_lli
; %bb.0:
	s_load_dwordx16 s[36:51], s[0:1], 0x10
	s_load_dwordx16 s[8:23], s[0:1], 0x50
	s_mov_b32 s6, s3
	v_mov_b32_e32 v27, 0
	s_ashr_i32 s3, s2, 31
	s_ashr_i32 s7, s6, 31
	s_waitcnt lgkmcnt(0)
	v_cmp_lt_i64_e64 s[24:25], s[36:37], 1
	v_bfe_u32 v26, v0, 10, 10
	v_and_b32_e32 v24, 0x3ff, v0
	v_mov_b32_e32 v25, v27
	s_lshl_b64 s[2:3], s[2:3], 6
	s_lshl_b64 s[6:7], s[6:7], 6
	s_and_b64 vcc, exec, s[24:25]
	s_cbranch_vccnz .LBB126_3
; %bb.1:
	v_lshl_add_u32 v6, v26, 4, v24
	v_lshrrev_b32_e32 v0, 2, v6
	v_mov_b32_e32 v1, v27
	v_lshl_add_u64 v[2:3], v[0:1], 0, s[6:7]
	v_and_b32_e32 v1, 3, v24
	v_mad_u64_u32 v[2:3], s[24:25], s50, v1, v[2:3]
	v_mov_b32_e32 v4, v3
	v_mad_u64_u32 v[4:5], s[24:25], s51, v1, v[4:5]
	v_lshlrev_b32_e32 v1, 4, v1
	v_lshl_or_b32 v0, v0, 6, v1
	v_mov_b32_e32 v3, v4
	v_and_b32_e32 v4, 63, v6
	v_mov_b32_e32 v5, v27
	v_add_u32_e32 v111, 0x1000, v0
	v_mov_b32_e32 v0, 0x1000
	v_lshl_add_u32 v113, v26, 6, v0
	v_lshl_add_u64 v[0:1], s[2:3], 0, v[4:5]
	v_lshlrev_b32_e32 v7, 4, v4
	v_mul_lo_u32 v4, s45, v0
	v_mul_lo_u32 v5, s44, v1
	v_mad_u64_u32 v[0:1], s[24:25], s44, v0, 0
	s_mul_i32 s5, s47, s4
	s_mul_hi_u32 s24, s46, s4
	s_add_i32 s25, s24, s5
	s_mul_i32 s5, s9, s4
	s_mul_hi_u32 s9, s8, s4
	s_mul_i32 s24, s46, s4
	s_add_i32 s9, s9, s5
	s_mul_i32 s8, s8, s4
	v_lshrrev_b32_e32 v6, 6, v6
	v_add3_u32 v1, v1, v5, v4
	s_lshl_b64 s[24:25], s[24:25], 4
	s_lshl_b64 s[8:9], s[8:9], 4
	v_lshl_add_u64 v[0:1], v[0:1], 4, s[24:25]
	v_lshlrev_b32_e32 v4, 4, v6
	v_mov_b32_e32 v5, v27
	s_add_u32 s8, s48, s8
	v_lshl_add_u64 v[0:1], v[0:1], 0, v[4:5]
	s_addc_u32 s9, s49, s9
	v_lshl_add_u64 v[28:29], s[42:43], 0, v[0:1]
	v_lshl_add_u64 v[0:1], v[2:3], 4, s[8:9]
	v_lshl_or_b32 v110, v6, 10, v7
	v_lshlrev_b32_e32 v112, 4, v24
	v_lshl_add_u64 v[30:31], v[0:1], 0, 8
	s_lshl_b64 s[8:9], s[50:51], 6
	s_mov_b64 s[24:25], 0
	v_mov_b64_e32 v[10:11], 0
	v_mov_b64_e32 v[32:33], s[36:37]
	;; [unrolled: 1-line block ×33, first 2 shown]
.LBB126_2:                              ; =>This Inner Loop Header: Depth=1
	global_load_dwordx4 v[0:3], v[28:29], off
	s_add_u32 s24, s24, 4
	s_addc_u32 s25, s25, 0
	v_cmp_lt_i64_e32 vcc, s[24:25], v[32:33]
	v_lshl_add_u64 v[28:29], v[28:29], 0, 64
	s_and_b64 vcc, exec, vcc
	s_waitcnt vmcnt(0)
	ds_write2_b64 v110, v[0:1], v[2:3] offset1:1
	global_load_dwordx4 v[0:3], v[30:31], off offset:-8
	v_lshl_add_u64 v[30:31], v[30:31], 0, s[8:9]
	s_waitcnt vmcnt(0)
	v_xor_b32_e32 v3, 0x80000000, v3
	ds_write_b128 v111, v[0:3]
	s_waitcnt lgkmcnt(0)
	s_barrier
	ds_read_b128 v[82:85], v113
	ds_read_b128 v[114:117], v113 offset:16
	ds_read_b128 v[4:7], v113 offset:32
	ds_read_b128 v[0:3], v113 offset:48
	ds_read_b128 v[118:121], v112
	s_waitcnt lgkmcnt(0)
	v_mul_f64 v[86:87], v[84:85], v[120:121]
	v_mul_f64 v[88:89], v[82:83], v[120:121]
	v_fma_f64 v[86:87], v[82:83], v[118:119], -v[86:87]
	v_fmac_f64_e32 v[88:89], v[84:85], v[118:119]
	v_add_f64 v[122:123], v[54:55], v[86:87]
	v_add_f64 v[124:125], v[88:89], v[56:57]
	ds_read_b128 v[54:57], v112 offset:256
	s_waitcnt lgkmcnt(0)
	v_mul_f64 v[86:87], v[84:85], v[56:57]
	v_mul_f64 v[88:89], v[82:83], v[56:57]
	v_fma_f64 v[86:87], v[82:83], v[54:55], -v[86:87]
	v_fmac_f64_e32 v[88:89], v[84:85], v[54:55]
	v_add_f64 v[126:127], v[38:39], v[86:87]
	v_add_f64 v[128:129], v[88:89], v[40:41]
	ds_read_b128 v[38:41], v112 offset:512
	;; [unrolled: 8-line block ×3, first 2 shown]
	s_waitcnt lgkmcnt(0)
	v_mul_f64 v[86:87], v[84:85], v[36:37]
	v_fma_f64 v[86:87], v[82:83], v[34:35], -v[86:87]
	v_mul_f64 v[82:83], v[82:83], v[36:37]
	v_fmac_f64_e32 v[82:83], v[84:85], v[34:35]
	v_add_f64 v[134:135], v[20:21], v[86:87]
	v_add_f64 v[136:137], v[82:83], v[22:23]
	ds_read_b128 v[20:23], v113 offset:1024
	s_waitcnt lgkmcnt(0)
	v_mul_f64 v[82:83], v[22:23], v[120:121]
	v_fma_f64 v[82:83], v[20:21], v[118:119], -v[82:83]
	v_add_f64 v[74:75], v[74:75], v[82:83]
	v_mul_f64 v[82:83], v[22:23], v[56:57]
	v_mul_f64 v[84:85], v[20:21], v[120:121]
	v_fma_f64 v[82:83], v[20:21], v[54:55], -v[82:83]
	v_fmac_f64_e32 v[84:85], v[22:23], v[118:119]
	v_add_f64 v[98:99], v[66:67], v[82:83]
	v_mul_f64 v[66:67], v[22:23], v[40:41]
	v_add_f64 v[76:77], v[84:85], v[76:77]
	v_mul_f64 v[84:85], v[20:21], v[56:57]
	v_fma_f64 v[66:67], v[20:21], v[38:39], -v[66:67]
	v_fmac_f64_e32 v[84:85], v[22:23], v[54:55]
	v_add_f64 v[102:103], v[58:59], v[66:67]
	v_mul_f64 v[58:59], v[22:23], v[36:37]
	v_add_f64 v[100:101], v[84:85], v[68:69]
	v_mul_f64 v[68:69], v[20:21], v[40:41]
	v_fma_f64 v[58:59], v[20:21], v[34:35], -v[58:59]
	v_mul_f64 v[20:21], v[20:21], v[36:37]
	v_fmac_f64_e32 v[20:21], v[22:23], v[34:35]
	v_fmac_f64_e32 v[68:69], v[22:23], v[38:39]
	v_add_f64 v[108:109], v[20:21], v[50:51]
	ds_read_b128 v[20:23], v113 offset:2048
	v_add_f64 v[106:107], v[46:47], v[58:59]
	v_add_f64 v[104:105], v[68:69], v[62:63]
	s_waitcnt lgkmcnt(0)
	v_mul_f64 v[46:47], v[22:23], v[120:121]
	v_fma_f64 v[46:47], v[20:21], v[118:119], -v[46:47]
	v_add_f64 v[82:83], v[70:71], v[46:47]
	v_mul_f64 v[46:47], v[22:23], v[56:57]
	v_mul_f64 v[50:51], v[20:21], v[120:121]
	v_fma_f64 v[46:47], v[20:21], v[54:55], -v[46:47]
	v_fmac_f64_e32 v[50:51], v[22:23], v[118:119]
	v_add_f64 v[86:87], v[60:61], v[46:47]
	v_mul_f64 v[46:47], v[22:23], v[40:41]
	v_add_f64 v[84:85], v[50:51], v[72:73]
	v_mul_f64 v[50:51], v[20:21], v[56:57]
	v_fma_f64 v[46:47], v[20:21], v[38:39], -v[46:47]
	v_fmac_f64_e32 v[50:51], v[22:23], v[54:55]
	v_add_f64 v[90:91], v[48:49], v[46:47]
	v_mul_f64 v[46:47], v[22:23], v[36:37]
	v_add_f64 v[88:89], v[50:51], v[64:65]
	v_mul_f64 v[50:51], v[20:21], v[40:41]
	v_fma_f64 v[46:47], v[20:21], v[34:35], -v[46:47]
	v_mul_f64 v[20:21], v[20:21], v[36:37]
	v_fmac_f64_e32 v[20:21], v[22:23], v[34:35]
	v_fmac_f64_e32 v[50:51], v[22:23], v[38:39]
	v_add_f64 v[96:97], v[20:21], v[44:45]
	ds_read_b128 v[20:23], v113 offset:3072
	v_add_f64 v[94:95], v[42:43], v[46:47]
	v_add_f64 v[92:93], v[50:51], v[52:53]
	s_waitcnt lgkmcnt(0)
	v_mul_f64 v[42:43], v[22:23], v[120:121]
	v_mul_f64 v[44:45], v[20:21], v[120:121]
	v_fma_f64 v[42:43], v[20:21], v[118:119], -v[42:43]
	v_fmac_f64_e32 v[44:45], v[22:23], v[118:119]
	v_add_f64 v[62:63], v[78:79], v[42:43]
	v_add_f64 v[64:65], v[44:45], v[80:81]
	v_mul_f64 v[42:43], v[22:23], v[56:57]
	v_mul_f64 v[44:45], v[20:21], v[56:57]
	v_fma_f64 v[42:43], v[20:21], v[54:55], -v[42:43]
	v_fmac_f64_e32 v[44:45], v[22:23], v[54:55]
	v_add_f64 v[58:59], v[16:17], v[42:43]
	v_add_f64 v[60:61], v[44:45], v[18:19]
	;; [unrolled: 6-line block ×3, first 2 shown]
	v_mul_f64 v[12:13], v[22:23], v[36:37]
	v_mul_f64 v[14:15], v[20:21], v[36:37]
	v_fma_f64 v[12:13], v[20:21], v[34:35], -v[12:13]
	v_fmac_f64_e32 v[14:15], v[22:23], v[34:35]
	ds_read_b128 v[20:23], v112 offset:1024
	ds_read_b128 v[16:19], v112 offset:1280
	v_add_f64 v[50:51], v[8:9], v[12:13]
	v_add_f64 v[52:53], v[14:15], v[10:11]
	ds_read_b128 v[12:15], v112 offset:1536
	ds_read_b128 v[78:81], v113 offset:1040
	s_waitcnt lgkmcnt(3)
	v_mul_f64 v[8:9], v[116:117], v[22:23]
	v_mul_f64 v[10:11], v[114:115], v[22:23]
	v_fma_f64 v[8:9], v[114:115], v[20:21], -v[8:9]
	v_fmac_f64_e32 v[10:11], v[116:117], v[20:21]
	v_add_f64 v[46:47], v[122:123], v[8:9]
	v_add_f64 v[48:49], v[10:11], v[124:125]
	s_waitcnt lgkmcnt(2)
	v_mul_f64 v[8:9], v[116:117], v[18:19]
	v_mul_f64 v[10:11], v[114:115], v[18:19]
	v_fma_f64 v[8:9], v[114:115], v[16:17], -v[8:9]
	v_fmac_f64_e32 v[10:11], v[116:117], v[16:17]
	v_add_f64 v[42:43], v[126:127], v[8:9]
	v_add_f64 v[44:45], v[10:11], v[128:129]
	;; [unrolled: 7-line block ×3, first 2 shown]
	ds_read_b128 v[8:11], v112 offset:1792
	s_waitcnt lgkmcnt(1)
	v_mul_f64 v[70:71], v[80:81], v[18:19]
	v_mul_f64 v[72:73], v[78:79], v[18:19]
	;; [unrolled: 1-line block ×4, first 2 shown]
	v_fma_f64 v[70:71], v[78:79], v[16:17], -v[70:71]
	v_fmac_f64_e32 v[72:73], v[80:81], v[16:17]
	v_fma_f64 v[66:67], v[78:79], v[20:21], -v[66:67]
	v_fmac_f64_e32 v[68:69], v[80:81], v[20:21]
	v_add_f64 v[70:71], v[98:99], v[70:71]
	v_add_f64 v[72:73], v[72:73], v[100:101]
	s_waitcnt lgkmcnt(0)
	v_mul_f64 v[98:99], v[80:81], v[10:11]
	v_mul_f64 v[100:101], v[78:79], v[10:11]
	v_add_f64 v[66:67], v[74:75], v[66:67]
	v_add_f64 v[68:69], v[68:69], v[76:77]
	v_mul_f64 v[74:75], v[80:81], v[14:15]
	v_mul_f64 v[76:77], v[78:79], v[14:15]
	v_fma_f64 v[98:99], v[78:79], v[8:9], -v[98:99]
	v_fmac_f64_e32 v[100:101], v[80:81], v[8:9]
	v_fma_f64 v[74:75], v[78:79], v[12:13], -v[74:75]
	v_fmac_f64_e32 v[76:77], v[80:81], v[12:13]
	v_add_f64 v[78:79], v[106:107], v[98:99]
	v_add_f64 v[80:81], v[100:101], v[108:109]
	ds_read_b128 v[98:101], v113 offset:2064
	v_add_f64 v[74:75], v[102:103], v[74:75]
	v_add_f64 v[76:77], v[76:77], v[104:105]
	v_mul_f64 v[34:35], v[116:117], v[10:11]
	v_mul_f64 v[36:37], v[114:115], v[10:11]
	s_waitcnt lgkmcnt(0)
	v_mul_f64 v[102:103], v[100:101], v[22:23]
	v_mul_f64 v[104:105], v[98:99], v[22:23]
	v_fma_f64 v[102:103], v[98:99], v[20:21], -v[102:103]
	v_fmac_f64_e32 v[104:105], v[100:101], v[20:21]
	v_add_f64 v[82:83], v[82:83], v[102:103]
	v_add_f64 v[84:85], v[104:105], v[84:85]
	v_mul_f64 v[102:103], v[100:101], v[18:19]
	v_mul_f64 v[104:105], v[98:99], v[18:19]
	v_fma_f64 v[102:103], v[98:99], v[16:17], -v[102:103]
	v_fmac_f64_e32 v[104:105], v[100:101], v[16:17]
	v_add_f64 v[86:87], v[86:87], v[102:103]
	v_add_f64 v[88:89], v[104:105], v[88:89]
	;; [unrolled: 6-line block ×4, first 2 shown]
	ds_read_b128 v[94:97], v113 offset:3088
	v_fma_f64 v[34:35], v[114:115], v[8:9], -v[34:35]
	v_fmac_f64_e32 v[36:37], v[116:117], v[8:9]
	v_add_f64 v[36:37], v[36:37], v[136:137]
	v_add_f64 v[34:35], v[134:135], v[34:35]
	s_waitcnt lgkmcnt(0)
	v_mul_f64 v[102:103], v[96:97], v[22:23]
	v_mul_f64 v[22:23], v[94:95], v[22:23]
	v_fma_f64 v[102:103], v[94:95], v[20:21], -v[102:103]
	v_fmac_f64_e32 v[22:23], v[96:97], v[20:21]
	v_mul_f64 v[20:21], v[96:97], v[18:19]
	v_mul_f64 v[18:19], v[94:95], v[18:19]
	v_fma_f64 v[20:21], v[94:95], v[16:17], -v[20:21]
	v_fmac_f64_e32 v[18:19], v[96:97], v[16:17]
	;; [unrolled: 4-line block ×3, first 2 shown]
	v_mul_f64 v[12:13], v[96:97], v[10:11]
	v_mul_f64 v[10:11], v[94:95], v[10:11]
	v_fmac_f64_e32 v[10:11], v[96:97], v[8:9]
	v_fma_f64 v[12:13], v[94:95], v[8:9], -v[12:13]
	v_add_f64 v[116:117], v[10:11], v[52:53]
	ds_read_b128 v[8:11], v112 offset:2048
	v_add_f64 v[56:57], v[14:15], v[56:57]
	v_add_f64 v[114:115], v[50:51], v[12:13]
	;; [unrolled: 1-line block ×4, first 2 shown]
	s_waitcnt lgkmcnt(0)
	v_mul_f64 v[12:13], v[6:7], v[10:11]
	v_mul_f64 v[14:15], v[4:5], v[10:11]
	v_fma_f64 v[12:13], v[4:5], v[8:9], -v[12:13]
	v_fmac_f64_e32 v[14:15], v[6:7], v[8:9]
	v_add_f64 v[118:119], v[46:47], v[12:13]
	v_add_f64 v[120:121], v[14:15], v[48:49]
	ds_read_b128 v[12:15], v112 offset:2304
	v_add_f64 v[104:105], v[22:23], v[64:65]
	v_add_f64 v[106:107], v[58:59], v[20:21]
	;; [unrolled: 1-line block ×3, first 2 shown]
	s_waitcnt lgkmcnt(0)
	v_mul_f64 v[16:17], v[6:7], v[14:15]
	v_mul_f64 v[18:19], v[4:5], v[14:15]
	v_fma_f64 v[16:17], v[4:5], v[12:13], -v[16:17]
	v_fmac_f64_e32 v[18:19], v[6:7], v[12:13]
	v_add_f64 v[122:123], v[42:43], v[16:17]
	v_add_f64 v[124:125], v[18:19], v[44:45]
	ds_read_b128 v[16:19], v112 offset:2560
	s_waitcnt lgkmcnt(0)
	v_mul_f64 v[20:21], v[6:7], v[18:19]
	v_mul_f64 v[22:23], v[4:5], v[18:19]
	v_fma_f64 v[20:21], v[4:5], v[16:17], -v[20:21]
	v_fmac_f64_e32 v[22:23], v[6:7], v[16:17]
	v_add_f64 v[126:127], v[38:39], v[20:21]
	v_add_f64 v[128:129], v[22:23], v[40:41]
	ds_read_b128 v[20:23], v112 offset:2816
	s_waitcnt lgkmcnt(0)
	v_mul_f64 v[38:39], v[6:7], v[22:23]
	v_fma_f64 v[38:39], v[4:5], v[20:21], -v[38:39]
	v_mul_f64 v[4:5], v[4:5], v[22:23]
	v_fmac_f64_e32 v[4:5], v[6:7], v[20:21]
	v_add_f64 v[132:133], v[4:5], v[36:37]
	ds_read_b128 v[4:7], v113 offset:1056
	v_add_f64 v[130:131], v[34:35], v[38:39]
	s_waitcnt lgkmcnt(0)
	v_mul_f64 v[34:35], v[6:7], v[10:11]
	v_fma_f64 v[34:35], v[4:5], v[8:9], -v[34:35]
	v_add_f64 v[46:47], v[66:67], v[34:35]
	v_mul_f64 v[34:35], v[6:7], v[14:15]
	v_mul_f64 v[36:37], v[4:5], v[10:11]
	v_fma_f64 v[34:35], v[4:5], v[12:13], -v[34:35]
	v_fmac_f64_e32 v[36:37], v[6:7], v[8:9]
	v_add_f64 v[58:59], v[70:71], v[34:35]
	v_mul_f64 v[34:35], v[6:7], v[18:19]
	v_add_f64 v[50:51], v[36:37], v[68:69]
	v_mul_f64 v[36:37], v[4:5], v[14:15]
	v_fma_f64 v[34:35], v[4:5], v[16:17], -v[34:35]
	v_fmac_f64_e32 v[36:37], v[6:7], v[12:13]
	v_add_f64 v[62:63], v[74:75], v[34:35]
	v_mul_f64 v[34:35], v[6:7], v[22:23]
	v_add_f64 v[60:61], v[36:37], v[72:73]
	v_mul_f64 v[36:37], v[4:5], v[18:19]
	v_fma_f64 v[34:35], v[4:5], v[20:21], -v[34:35]
	v_mul_f64 v[4:5], v[4:5], v[22:23]
	v_fmac_f64_e32 v[4:5], v[6:7], v[20:21]
	v_fmac_f64_e32 v[36:37], v[6:7], v[16:17]
	v_add_f64 v[72:73], v[4:5], v[80:81]
	ds_read_b128 v[4:7], v113 offset:2080
	v_add_f64 v[70:71], v[78:79], v[34:35]
	v_add_f64 v[64:65], v[36:37], v[76:77]
	s_waitcnt lgkmcnt(0)
	v_mul_f64 v[34:35], v[6:7], v[10:11]
	v_fma_f64 v[34:35], v[4:5], v[8:9], -v[34:35]
	v_add_f64 v[42:43], v[82:83], v[34:35]
	v_mul_f64 v[34:35], v[6:7], v[14:15]
	v_mul_f64 v[36:37], v[4:5], v[10:11]
	v_fma_f64 v[34:35], v[4:5], v[12:13], -v[34:35]
	v_fmac_f64_e32 v[36:37], v[6:7], v[8:9]
	v_add_f64 v[48:49], v[86:87], v[34:35]
	v_mul_f64 v[34:35], v[6:7], v[18:19]
	v_add_f64 v[44:45], v[36:37], v[84:85]
	v_mul_f64 v[36:37], v[4:5], v[14:15]
	v_fma_f64 v[34:35], v[4:5], v[16:17], -v[34:35]
	v_fmac_f64_e32 v[36:37], v[6:7], v[12:13]
	v_add_f64 v[94:95], v[90:91], v[34:35]
	v_mul_f64 v[34:35], v[6:7], v[22:23]
	v_add_f64 v[52:53], v[36:37], v[88:89]
	v_mul_f64 v[36:37], v[4:5], v[18:19]
	v_fma_f64 v[34:35], v[4:5], v[20:21], -v[34:35]
	v_mul_f64 v[4:5], v[4:5], v[22:23]
	v_fmac_f64_e32 v[4:5], v[6:7], v[20:21]
	v_fmac_f64_e32 v[36:37], v[6:7], v[16:17]
	v_add_f64 v[100:101], v[4:5], v[100:101]
	ds_read_b128 v[4:7], v113 offset:3104
	v_add_f64 v[98:99], v[98:99], v[34:35]
	v_add_f64 v[96:97], v[36:37], v[92:93]
	s_waitcnt lgkmcnt(0)
	v_mul_f64 v[34:35], v[6:7], v[10:11]
	v_mul_f64 v[10:11], v[4:5], v[10:11]
	v_fmac_f64_e32 v[10:11], v[6:7], v[8:9]
	v_fma_f64 v[34:35], v[4:5], v[8:9], -v[34:35]
	v_add_f64 v[80:81], v[10:11], v[104:105]
	v_mul_f64 v[8:9], v[6:7], v[14:15]
	v_mul_f64 v[10:11], v[4:5], v[14:15]
	v_fma_f64 v[8:9], v[4:5], v[12:13], -v[8:9]
	v_fmac_f64_e32 v[10:11], v[6:7], v[12:13]
	v_add_f64 v[90:91], v[106:107], v[8:9]
	v_add_f64 v[92:93], v[10:11], v[108:109]
	v_mul_f64 v[8:9], v[6:7], v[18:19]
	v_mul_f64 v[10:11], v[4:5], v[18:19]
	v_fma_f64 v[8:9], v[4:5], v[16:17], -v[8:9]
	v_fmac_f64_e32 v[10:11], v[6:7], v[16:17]
	ds_read_b128 v[16:19], v112 offset:3072
	ds_read_b128 v[12:15], v112 offset:3328
	v_add_f64 v[86:87], v[54:55], v[8:9]
	v_mul_f64 v[8:9], v[6:7], v[22:23]
	v_fma_f64 v[8:9], v[4:5], v[20:21], -v[8:9]
	v_mul_f64 v[4:5], v[4:5], v[22:23]
	v_add_f64 v[88:89], v[10:11], v[56:57]
	v_fmac_f64_e32 v[4:5], v[6:7], v[20:21]
	v_add_f64 v[82:83], v[114:115], v[8:9]
	ds_read_b128 v[8:11], v112 offset:3584
	v_add_f64 v[84:85], v[4:5], v[116:117]
	s_waitcnt lgkmcnt(2)
	v_mul_f64 v[4:5], v[2:3], v[18:19]
	v_mul_f64 v[6:7], v[0:1], v[18:19]
	v_fma_f64 v[4:5], v[0:1], v[16:17], -v[4:5]
	v_fmac_f64_e32 v[6:7], v[2:3], v[16:17]
	v_add_f64 v[54:55], v[118:119], v[4:5]
	v_add_f64 v[56:57], v[6:7], v[120:121]
	s_waitcnt lgkmcnt(1)
	v_mul_f64 v[4:5], v[2:3], v[14:15]
	v_mul_f64 v[6:7], v[0:1], v[14:15]
	v_fma_f64 v[4:5], v[0:1], v[12:13], -v[4:5]
	v_fmac_f64_e32 v[6:7], v[2:3], v[12:13]
	v_add_f64 v[38:39], v[122:123], v[4:5]
	;; [unrolled: 7-line block ×3, first 2 shown]
	v_add_f64 v[34:35], v[126:127], v[4:5]
	v_add_f64 v[36:37], v[6:7], v[128:129]
	ds_read_b128 v[4:7], v112 offset:3840
	s_waitcnt lgkmcnt(0)
	v_mul_f64 v[20:21], v[2:3], v[6:7]
	v_fma_f64 v[20:21], v[0:1], v[4:5], -v[20:21]
	v_mul_f64 v[0:1], v[0:1], v[6:7]
	v_fmac_f64_e32 v[0:1], v[2:3], v[4:5]
	v_add_f64 v[22:23], v[0:1], v[132:133]
	ds_read_b128 v[0:3], v113 offset:1072
	v_add_f64 v[20:21], v[130:131], v[20:21]
	s_waitcnt lgkmcnt(0)
	v_mul_f64 v[66:67], v[2:3], v[18:19]
	v_fma_f64 v[66:67], v[0:1], v[16:17], -v[66:67]
	v_add_f64 v[74:75], v[46:47], v[66:67]
	v_mul_f64 v[46:47], v[2:3], v[14:15]
	v_mul_f64 v[68:69], v[0:1], v[18:19]
	v_fma_f64 v[46:47], v[0:1], v[12:13], -v[46:47]
	v_fmac_f64_e32 v[68:69], v[2:3], v[16:17]
	v_add_f64 v[66:67], v[58:59], v[46:47]
	v_mul_f64 v[46:47], v[2:3], v[10:11]
	v_add_f64 v[76:77], v[68:69], v[50:51]
	v_mul_f64 v[50:51], v[0:1], v[14:15]
	v_fma_f64 v[46:47], v[0:1], v[8:9], -v[46:47]
	v_fmac_f64_e32 v[50:51], v[2:3], v[12:13]
	v_add_f64 v[58:59], v[62:63], v[46:47]
	v_mul_f64 v[46:47], v[2:3], v[6:7]
	v_add_f64 v[68:69], v[50:51], v[60:61]
	v_mul_f64 v[50:51], v[0:1], v[10:11]
	v_fma_f64 v[46:47], v[0:1], v[4:5], -v[46:47]
	v_mul_f64 v[0:1], v[0:1], v[6:7]
	v_fmac_f64_e32 v[50:51], v[2:3], v[8:9]
	v_fmac_f64_e32 v[0:1], v[2:3], v[4:5]
	v_add_f64 v[62:63], v[50:51], v[64:65]
	v_add_f64 v[50:51], v[0:1], v[72:73]
	ds_read_b128 v[0:3], v113 offset:2096
	v_add_f64 v[46:47], v[70:71], v[46:47]
	s_waitcnt lgkmcnt(0)
	v_mul_f64 v[60:61], v[2:3], v[18:19]
	v_fma_f64 v[60:61], v[0:1], v[16:17], -v[60:61]
	v_add_f64 v[70:71], v[42:43], v[60:61]
	v_mul_f64 v[42:43], v[2:3], v[14:15]
	v_mul_f64 v[64:65], v[0:1], v[18:19]
	v_fma_f64 v[42:43], v[0:1], v[12:13], -v[42:43]
	v_fmac_f64_e32 v[64:65], v[2:3], v[16:17]
	v_add_f64 v[60:61], v[48:49], v[42:43]
	v_mul_f64 v[42:43], v[2:3], v[10:11]
	v_add_f64 v[72:73], v[64:65], v[44:45]
	v_mul_f64 v[44:45], v[0:1], v[14:15]
	v_fma_f64 v[42:43], v[0:1], v[8:9], -v[42:43]
	v_fmac_f64_e32 v[44:45], v[2:3], v[12:13]
	v_add_f64 v[48:49], v[94:95], v[42:43]
	v_mul_f64 v[42:43], v[2:3], v[6:7]
	v_add_f64 v[64:65], v[44:45], v[52:53]
	v_mul_f64 v[44:45], v[0:1], v[10:11]
	v_fma_f64 v[42:43], v[0:1], v[4:5], -v[42:43]
	v_mul_f64 v[0:1], v[0:1], v[6:7]
	v_fmac_f64_e32 v[44:45], v[2:3], v[8:9]
	v_fmac_f64_e32 v[0:1], v[2:3], v[4:5]
	v_add_f64 v[52:53], v[44:45], v[96:97]
	v_add_f64 v[44:45], v[0:1], v[100:101]
	ds_read_b128 v[0:3], v113 offset:3120
	v_add_f64 v[42:43], v[98:99], v[42:43]
	s_waitcnt lgkmcnt(0)
	s_barrier
	v_mul_f64 v[94:95], v[2:3], v[18:19]
	v_mul_f64 v[18:19], v[0:1], v[18:19]
	v_fma_f64 v[94:95], v[0:1], v[16:17], -v[94:95]
	v_fmac_f64_e32 v[18:19], v[2:3], v[16:17]
	v_mul_f64 v[16:17], v[2:3], v[14:15]
	v_mul_f64 v[14:15], v[0:1], v[14:15]
	v_fma_f64 v[16:17], v[0:1], v[12:13], -v[16:17]
	v_fmac_f64_e32 v[14:15], v[2:3], v[12:13]
	;; [unrolled: 4-line block ×3, first 2 shown]
	v_mul_f64 v[8:9], v[2:3], v[6:7]
	v_fma_f64 v[8:9], v[0:1], v[4:5], -v[8:9]
	v_mul_f64 v[0:1], v[0:1], v[6:7]
	v_fmac_f64_e32 v[0:1], v[2:3], v[4:5]
	v_add_f64 v[78:79], v[78:79], v[94:95]
	v_add_f64 v[80:81], v[18:19], v[80:81]
	;; [unrolled: 1-line block ×8, first 2 shown]
	s_cbranch_vccnz .LBB126_2
	s_branch .LBB126_4
.LBB126_3:
	v_mov_b64_e32 v[54:55], 0
	v_mov_b64_e32 v[56:57], 0
	;; [unrolled: 1-line block ×32, first 2 shown]
.LBB126_4:
	s_load_dwordx2 s[0:1], s[0:1], 0x90
	v_cmp_neq_f64_e64 s[8:9], s[10:11], 0
	v_lshl_add_u64 v[2:3], s[6:7], 0, v[26:27]
	s_mov_b64 s[6:7], 0
	v_lshl_add_u64 v[0:1], s[2:3], 0, v[24:25]
	s_waitcnt lgkmcnt(0)
	s_mul_i32 s1, s1, s4
	s_mul_hi_u32 s5, s0, s4
	s_mul_i32 s0, s0, s4
	s_add_i32 s1, s5, s1
	s_lshl_b64 s[0:1], s[0:1], 4
	s_add_u32 s0, s20, s0
	s_addc_u32 s1, s21, s1
	v_cmp_neq_f64_e64 s[20:21], s[12:13], 0
	s_or_b64 s[8:9], s[8:9], s[20:21]
	s_and_b64 vcc, exec, s[8:9]
	s_cbranch_vccnz .LBB126_6
; %bb.5:
	v_mul_lo_u32 v6, v3, s22
	v_mul_lo_u32 v7, v2, s23
	v_mad_u64_u32 v[4:5], s[2:3], v2, s22, 0
	v_add3_u32 v5, v5, v7, v6
	v_lshl_add_u64 v[24:25], v[4:5], 4, s[0:1]
	v_mul_f64 v[4:5], s[40:41], v[56:57]
	v_mul_f64 v[6:7], s[38:39], v[56:57]
	v_lshlrev_b64 v[26:27], 4, v[0:1]
	v_fma_f64 v[4:5], s[38:39], v[54:55], -v[4:5]
	v_fmac_f64_e32 v[6:7], s[40:41], v[54:55]
	v_lshl_add_u64 v[28:29], v[24:25], 0, v[26:27]
	global_store_dwordx4 v[28:29], v[4:7], off
	s_lshl_b64 s[2:3], s[22:23], 8
	v_lshl_add_u64 v[24:25], v[24:25], 0, s[2:3]
	v_mul_f64 v[4:5], s[40:41], v[40:41]
	v_mul_f64 v[6:7], s[38:39], v[40:41]
	v_fma_f64 v[4:5], s[38:39], v[38:39], -v[4:5]
	v_fmac_f64_e32 v[6:7], s[40:41], v[38:39]
	global_store_dwordx4 v[28:29], v[4:7], off offset:256
	s_nop 1
	v_mul_f64 v[4:5], s[40:41], v[36:37]
	v_mul_f64 v[6:7], s[38:39], v[36:37]
	v_fma_f64 v[4:5], s[38:39], v[34:35], -v[4:5]
	v_fmac_f64_e32 v[6:7], s[40:41], v[34:35]
	global_store_dwordx4 v[28:29], v[4:7], off offset:512
	s_nop 1
	v_mul_f64 v[4:5], s[40:41], v[22:23]
	v_mul_f64 v[6:7], s[38:39], v[22:23]
	v_fma_f64 v[4:5], s[38:39], v[20:21], -v[4:5]
	v_fmac_f64_e32 v[6:7], s[40:41], v[20:21]
	global_store_dwordx4 v[28:29], v[4:7], off offset:768
	v_lshl_add_u64 v[28:29], v[24:25], 0, v[26:27]
	v_lshl_add_u64 v[24:25], v[24:25], 0, s[2:3]
	v_mul_f64 v[4:5], s[40:41], v[76:77]
	v_mul_f64 v[6:7], s[38:39], v[76:77]
	v_fma_f64 v[4:5], s[38:39], v[74:75], -v[4:5]
	v_fmac_f64_e32 v[6:7], s[40:41], v[74:75]
	global_store_dwordx4 v[28:29], v[4:7], off
	s_nop 1
	v_mul_f64 v[4:5], s[40:41], v[68:69]
	v_mul_f64 v[6:7], s[38:39], v[68:69]
	v_fma_f64 v[4:5], s[38:39], v[66:67], -v[4:5]
	v_fmac_f64_e32 v[6:7], s[40:41], v[66:67]
	global_store_dwordx4 v[28:29], v[4:7], off offset:256
	s_nop 1
	v_mul_f64 v[4:5], s[40:41], v[62:63]
	v_mul_f64 v[6:7], s[38:39], v[62:63]
	v_fma_f64 v[4:5], s[38:39], v[58:59], -v[4:5]
	v_fmac_f64_e32 v[6:7], s[40:41], v[58:59]
	global_store_dwordx4 v[28:29], v[4:7], off offset:512
	s_nop 1
	v_mul_f64 v[4:5], s[40:41], v[50:51]
	v_mul_f64 v[6:7], s[38:39], v[50:51]
	v_fma_f64 v[4:5], s[38:39], v[46:47], -v[4:5]
	v_fmac_f64_e32 v[6:7], s[40:41], v[46:47]
	global_store_dwordx4 v[28:29], v[4:7], off offset:768
	v_lshl_add_u64 v[28:29], v[24:25], 0, v[26:27]
	v_lshl_add_u64 v[24:25], v[24:25], 0, s[2:3]
	v_mul_f64 v[4:5], s[40:41], v[72:73]
	v_mul_f64 v[6:7], s[38:39], v[72:73]
	v_fma_f64 v[4:5], s[38:39], v[70:71], -v[4:5]
	v_fmac_f64_e32 v[6:7], s[40:41], v[70:71]
	global_store_dwordx4 v[28:29], v[4:7], off
	v_lshl_add_u64 v[24:25], v[24:25], 0, v[26:27]
	s_mov_b64 s[2:3], 0x300
	v_mul_f64 v[4:5], s[40:41], v[64:65]
	v_mul_f64 v[6:7], s[38:39], v[64:65]
	v_fma_f64 v[4:5], s[38:39], v[60:61], -v[4:5]
	v_fmac_f64_e32 v[6:7], s[40:41], v[60:61]
	global_store_dwordx4 v[28:29], v[4:7], off offset:256
	s_nop 1
	v_mul_f64 v[4:5], s[40:41], v[52:53]
	v_mul_f64 v[6:7], s[38:39], v[52:53]
	v_fma_f64 v[4:5], s[38:39], v[48:49], -v[4:5]
	v_fmac_f64_e32 v[6:7], s[40:41], v[48:49]
	global_store_dwordx4 v[28:29], v[4:7], off offset:512
	s_nop 1
	;; [unrolled: 6-line block ×3, first 2 shown]
	v_mul_f64 v[4:5], s[40:41], v[80:81]
	v_mul_f64 v[6:7], s[38:39], v[80:81]
	v_fma_f64 v[4:5], s[38:39], v[78:79], -v[4:5]
	v_fmac_f64_e32 v[6:7], s[40:41], v[78:79]
	global_store_dwordx4 v[24:25], v[4:7], off
	s_nop 1
	v_mul_f64 v[4:5], s[40:41], v[18:19]
	v_mul_f64 v[6:7], s[38:39], v[18:19]
	v_fma_f64 v[4:5], s[38:39], v[16:17], -v[4:5]
	v_fmac_f64_e32 v[6:7], s[40:41], v[16:17]
	global_store_dwordx4 v[24:25], v[4:7], off offset:256
	s_nop 1
	v_mul_f64 v[4:5], s[40:41], v[14:15]
	v_mul_f64 v[6:7], s[38:39], v[14:15]
	v_fma_f64 v[4:5], s[38:39], v[12:13], -v[4:5]
	v_fmac_f64_e32 v[6:7], s[40:41], v[12:13]
	global_store_dwordx4 v[24:25], v[4:7], off offset:512
	s_nop 1
	v_mul_f64 v[4:5], s[40:41], v[10:11]
	v_fma_f64 v[26:27], s[38:39], v[8:9], -v[4:5]
	v_mul_f64 v[4:5], s[38:39], v[10:11]
	v_fmac_f64_e32 v[4:5], s[40:41], v[8:9]
	v_lshl_add_u64 v[6:7], v[24:25], 0, s[2:3]
	global_store_dwordx2 v[24:25], v[26:27], off offset:768
	s_andn2_b64 vcc, exec, s[6:7]
	s_cbranch_vccz .LBB126_7
	s_branch .LBB126_8
.LBB126_6:
                                        ; implicit-def: $vgpr4_vgpr5
                                        ; implicit-def: $vgpr6_vgpr7
.LBB126_7:
	s_mul_i32 s2, s19, s4
	s_mul_hi_u32 s3, s18, s4
	s_add_i32 s3, s3, s2
	s_mul_i32 s2, s18, s4
	s_lshl_b64 s[2:3], s[2:3], 4
	s_add_u32 s2, s14, s2
	v_mul_lo_u32 v6, v3, s16
	v_mul_lo_u32 v7, v2, s17
	v_mad_u64_u32 v[4:5], s[4:5], v2, s16, 0
	s_addc_u32 s3, s15, s3
	v_add3_u32 v5, v5, v7, v6
	v_lshl_add_u64 v[24:25], v[4:5], 4, s[2:3]
	v_lshlrev_b64 v[0:1], 4, v[0:1]
	v_lshl_add_u64 v[26:27], v[24:25], 0, v[0:1]
	global_load_dwordx4 v[4:7], v[26:27], off
	v_mul_lo_u32 v32, v3, s22
	v_mul_lo_u32 v33, v2, s23
	v_mad_u64_u32 v[2:3], s[2:3], v2, s22, 0
	v_add3_u32 v3, v3, v33, v32
	v_mul_f64 v[28:29], s[40:41], v[56:57]
	v_mul_f64 v[30:31], s[38:39], v[56:57]
	v_lshl_add_u64 v[32:33], v[2:3], 4, s[0:1]
	v_fma_f64 v[28:29], s[38:39], v[54:55], -v[28:29]
	v_fmac_f64_e32 v[30:31], s[40:41], v[54:55]
	v_lshl_add_u64 v[54:55], v[32:33], 0, v[0:1]
	s_lshl_b64 s[0:1], s[16:17], 8
	s_lshl_b64 s[2:3], s[22:23], 8
	s_waitcnt vmcnt(0)
	v_mul_f64 v[2:3], s[12:13], v[6:7]
	v_mul_f64 v[6:7], s[10:11], v[6:7]
	v_fma_f64 v[2:3], s[10:11], v[4:5], -v[2:3]
	v_fmac_f64_e32 v[6:7], s[12:13], v[4:5]
	v_add_f64 v[2:3], v[28:29], v[2:3]
	v_add_f64 v[4:5], v[30:31], v[6:7]
	global_store_dwordx4 v[54:55], v[2:5], off
	global_load_dwordx4 v[2:5], v[26:27], off offset:256
	v_mul_f64 v[6:7], s[40:41], v[40:41]
	v_mul_f64 v[28:29], s[38:39], v[40:41]
	v_fma_f64 v[6:7], s[38:39], v[38:39], -v[6:7]
	v_fmac_f64_e32 v[28:29], s[40:41], v[38:39]
	s_waitcnt vmcnt(0)
	v_mul_f64 v[30:31], s[12:13], v[4:5]
	v_mul_f64 v[4:5], s[10:11], v[4:5]
	v_fma_f64 v[30:31], s[10:11], v[2:3], -v[30:31]
	v_fmac_f64_e32 v[4:5], s[12:13], v[2:3]
	v_add_f64 v[2:3], v[6:7], v[30:31]
	v_add_f64 v[4:5], v[28:29], v[4:5]
	global_store_dwordx4 v[54:55], v[2:5], off offset:256
	global_load_dwordx4 v[2:5], v[26:27], off offset:512
	v_mul_f64 v[6:7], s[40:41], v[36:37]
	v_mul_f64 v[28:29], s[38:39], v[36:37]
	v_fma_f64 v[6:7], s[38:39], v[34:35], -v[6:7]
	v_fmac_f64_e32 v[28:29], s[40:41], v[34:35]
	s_waitcnt vmcnt(0)
	v_mul_f64 v[30:31], s[12:13], v[4:5]
	v_mul_f64 v[4:5], s[10:11], v[4:5]
	v_fma_f64 v[30:31], s[10:11], v[2:3], -v[30:31]
	v_fmac_f64_e32 v[4:5], s[12:13], v[2:3]
	v_add_f64 v[2:3], v[6:7], v[30:31]
	v_add_f64 v[4:5], v[28:29], v[4:5]
	global_store_dwordx4 v[54:55], v[2:5], off offset:512
	global_load_dwordx4 v[2:5], v[26:27], off offset:768
	v_mul_f64 v[6:7], s[40:41], v[22:23]
	v_mul_f64 v[22:23], s[38:39], v[22:23]
	v_fma_f64 v[6:7], s[38:39], v[20:21], -v[6:7]
	v_fmac_f64_e32 v[22:23], s[40:41], v[20:21]
	v_lshl_add_u64 v[20:21], v[24:25], 0, s[0:1]
	v_lshl_add_u64 v[24:25], v[20:21], 0, v[0:1]
	;; [unrolled: 1-line block ×3, first 2 shown]
	s_waitcnt vmcnt(0)
	v_mul_f64 v[26:27], s[12:13], v[4:5]
	v_mul_f64 v[4:5], s[10:11], v[4:5]
	v_fma_f64 v[26:27], s[10:11], v[2:3], -v[26:27]
	v_fmac_f64_e32 v[4:5], s[12:13], v[2:3]
	v_add_f64 v[2:3], v[6:7], v[26:27]
	v_add_f64 v[4:5], v[22:23], v[4:5]
	global_store_dwordx4 v[54:55], v[2:5], off offset:768
	global_load_dwordx4 v[2:5], v[24:25], off
	v_mul_f64 v[6:7], s[40:41], v[76:77]
	v_mul_f64 v[22:23], s[38:39], v[76:77]
	v_fma_f64 v[6:7], s[38:39], v[74:75], -v[6:7]
	v_fmac_f64_e32 v[22:23], s[40:41], v[74:75]
	v_lshl_add_u64 v[26:27], v[32:33], 0, s[2:3]
	v_lshl_add_u64 v[28:29], v[26:27], 0, v[0:1]
	;; [unrolled: 1-line block ×3, first 2 shown]
	s_waitcnt vmcnt(0)
	v_mul_f64 v[30:31], s[12:13], v[4:5]
	v_mul_f64 v[4:5], s[10:11], v[4:5]
	v_fma_f64 v[30:31], s[10:11], v[2:3], -v[30:31]
	v_fmac_f64_e32 v[4:5], s[12:13], v[2:3]
	v_add_f64 v[2:3], v[6:7], v[30:31]
	v_add_f64 v[4:5], v[22:23], v[4:5]
	global_store_dwordx4 v[28:29], v[2:5], off
	global_load_dwordx4 v[2:5], v[24:25], off offset:256
	v_mul_f64 v[6:7], s[40:41], v[68:69]
	v_mul_f64 v[22:23], s[38:39], v[68:69]
	v_fma_f64 v[6:7], s[38:39], v[66:67], -v[6:7]
	v_fmac_f64_e32 v[22:23], s[40:41], v[66:67]
	s_waitcnt vmcnt(0)
	v_mul_f64 v[30:31], s[12:13], v[4:5]
	v_mul_f64 v[4:5], s[10:11], v[4:5]
	v_fma_f64 v[30:31], s[10:11], v[2:3], -v[30:31]
	v_fmac_f64_e32 v[4:5], s[12:13], v[2:3]
	v_add_f64 v[2:3], v[6:7], v[30:31]
	v_add_f64 v[4:5], v[22:23], v[4:5]
	global_store_dwordx4 v[28:29], v[2:5], off offset:256
	global_load_dwordx4 v[2:5], v[24:25], off offset:512
	v_mul_f64 v[6:7], s[40:41], v[62:63]
	v_mul_f64 v[22:23], s[38:39], v[62:63]
	v_fma_f64 v[6:7], s[38:39], v[58:59], -v[6:7]
	v_fmac_f64_e32 v[22:23], s[40:41], v[58:59]
	s_waitcnt vmcnt(0)
	v_mul_f64 v[30:31], s[12:13], v[4:5]
	v_mul_f64 v[4:5], s[10:11], v[4:5]
	v_fma_f64 v[30:31], s[10:11], v[2:3], -v[30:31]
	v_fmac_f64_e32 v[4:5], s[12:13], v[2:3]
	v_add_f64 v[2:3], v[6:7], v[30:31]
	v_add_f64 v[4:5], v[22:23], v[4:5]
	global_store_dwordx4 v[28:29], v[2:5], off offset:512
	global_load_dwordx4 v[2:5], v[24:25], off offset:768
	v_mul_f64 v[6:7], s[40:41], v[50:51]
	v_mul_f64 v[22:23], s[38:39], v[50:51]
	v_fma_f64 v[6:7], s[38:39], v[46:47], -v[6:7]
	v_fmac_f64_e32 v[22:23], s[40:41], v[46:47]
	v_lshl_add_u64 v[24:25], v[20:21], 0, v[0:1]
	v_lshl_add_u64 v[20:21], v[20:21], 0, s[0:1]
	;; [unrolled: 1-line block ×3, first 2 shown]
	s_mov_b64 s[0:1], 0x300
	s_waitcnt vmcnt(0)
	v_mul_f64 v[30:31], s[12:13], v[4:5]
	v_mul_f64 v[4:5], s[10:11], v[4:5]
	v_fma_f64 v[30:31], s[10:11], v[2:3], -v[30:31]
	v_fmac_f64_e32 v[4:5], s[12:13], v[2:3]
	v_add_f64 v[2:3], v[6:7], v[30:31]
	v_add_f64 v[4:5], v[22:23], v[4:5]
	global_store_dwordx4 v[28:29], v[2:5], off offset:768
	global_load_dwordx4 v[2:5], v[24:25], off
	v_mul_f64 v[6:7], s[40:41], v[72:73]
	v_mul_f64 v[22:23], s[38:39], v[72:73]
	v_fma_f64 v[6:7], s[38:39], v[70:71], -v[6:7]
	v_fmac_f64_e32 v[22:23], s[40:41], v[70:71]
	v_lshl_add_u64 v[28:29], v[26:27], 0, v[0:1]
	s_waitcnt vmcnt(0)
	v_mul_f64 v[30:31], s[12:13], v[4:5]
	v_mul_f64 v[4:5], s[10:11], v[4:5]
	v_fma_f64 v[30:31], s[10:11], v[2:3], -v[30:31]
	v_fmac_f64_e32 v[4:5], s[12:13], v[2:3]
	v_add_f64 v[2:3], v[6:7], v[30:31]
	v_add_f64 v[4:5], v[22:23], v[4:5]
	global_store_dwordx4 v[28:29], v[2:5], off
	global_load_dwordx4 v[2:5], v[24:25], off offset:256
	v_mul_f64 v[6:7], s[40:41], v[64:65]
	v_mul_f64 v[22:23], s[38:39], v[64:65]
	v_fma_f64 v[6:7], s[38:39], v[60:61], -v[6:7]
	v_fmac_f64_e32 v[22:23], s[40:41], v[60:61]
	s_waitcnt vmcnt(0)
	v_mul_f64 v[30:31], s[12:13], v[4:5]
	v_mul_f64 v[4:5], s[10:11], v[4:5]
	v_fma_f64 v[30:31], s[10:11], v[2:3], -v[30:31]
	v_fmac_f64_e32 v[4:5], s[12:13], v[2:3]
	v_add_f64 v[2:3], v[6:7], v[30:31]
	v_add_f64 v[4:5], v[22:23], v[4:5]
	global_store_dwordx4 v[28:29], v[2:5], off offset:256
	global_load_dwordx4 v[2:5], v[24:25], off offset:512
	v_mul_f64 v[6:7], s[40:41], v[52:53]
	v_mul_f64 v[22:23], s[38:39], v[52:53]
	v_fma_f64 v[6:7], s[38:39], v[48:49], -v[6:7]
	v_fmac_f64_e32 v[22:23], s[40:41], v[48:49]
	s_waitcnt vmcnt(0)
	v_mul_f64 v[30:31], s[12:13], v[4:5]
	v_mul_f64 v[4:5], s[10:11], v[4:5]
	v_fma_f64 v[30:31], s[10:11], v[2:3], -v[30:31]
	v_fmac_f64_e32 v[4:5], s[12:13], v[2:3]
	v_add_f64 v[2:3], v[6:7], v[30:31]
	v_add_f64 v[4:5], v[22:23], v[4:5]
	global_store_dwordx4 v[28:29], v[2:5], off offset:512
	;; [unrolled: 13-line block ×3, first 2 shown]
	global_load_dwordx4 v[2:5], v[20:21], off
	v_lshl_add_u64 v[24:25], v[26:27], 0, s[2:3]
	v_mul_f64 v[6:7], s[40:41], v[80:81]
	v_mul_f64 v[22:23], s[38:39], v[80:81]
	v_lshl_add_u64 v[24:25], v[24:25], 0, v[0:1]
	v_fma_f64 v[6:7], s[38:39], v[78:79], -v[6:7]
	v_fmac_f64_e32 v[22:23], s[40:41], v[78:79]
	s_waitcnt vmcnt(0)
	v_mul_f64 v[0:1], s[12:13], v[4:5]
	v_mul_f64 v[4:5], s[10:11], v[4:5]
	v_fma_f64 v[0:1], s[10:11], v[2:3], -v[0:1]
	v_fmac_f64_e32 v[4:5], s[12:13], v[2:3]
	v_add_f64 v[0:1], v[6:7], v[0:1]
	v_add_f64 v[2:3], v[22:23], v[4:5]
	global_store_dwordx4 v[24:25], v[0:3], off
	global_load_dwordx4 v[0:3], v[20:21], off offset:256
	v_mul_f64 v[4:5], s[40:41], v[18:19]
	v_mul_f64 v[6:7], s[38:39], v[18:19]
	v_fma_f64 v[4:5], s[38:39], v[16:17], -v[4:5]
	v_fmac_f64_e32 v[6:7], s[40:41], v[16:17]
	s_waitcnt vmcnt(0)
	v_mul_f64 v[16:17], s[12:13], v[2:3]
	v_mul_f64 v[2:3], s[10:11], v[2:3]
	v_fma_f64 v[16:17], s[10:11], v[0:1], -v[16:17]
	v_fmac_f64_e32 v[2:3], s[12:13], v[0:1]
	v_add_f64 v[0:1], v[4:5], v[16:17]
	v_add_f64 v[2:3], v[6:7], v[2:3]
	global_store_dwordx4 v[24:25], v[0:3], off offset:256
	global_load_dwordx4 v[0:3], v[20:21], off offset:512
	v_mul_f64 v[4:5], s[40:41], v[14:15]
	v_mul_f64 v[6:7], s[38:39], v[14:15]
	v_fma_f64 v[4:5], s[38:39], v[12:13], -v[4:5]
	v_fmac_f64_e32 v[6:7], s[40:41], v[12:13]
	s_waitcnt vmcnt(0)
	v_mul_f64 v[12:13], s[12:13], v[2:3]
	v_mul_f64 v[2:3], s[10:11], v[2:3]
	v_fma_f64 v[12:13], s[10:11], v[0:1], -v[12:13]
	v_fmac_f64_e32 v[2:3], s[12:13], v[0:1]
	v_add_f64 v[0:1], v[4:5], v[12:13]
	v_add_f64 v[2:3], v[6:7], v[2:3]
	global_store_dwordx4 v[24:25], v[0:3], off offset:512
	global_load_dwordx4 v[0:3], v[20:21], off offset:768
	v_mul_f64 v[4:5], s[40:41], v[10:11]
	v_mul_f64 v[6:7], s[38:39], v[10:11]
	v_fma_f64 v[4:5], s[38:39], v[8:9], -v[4:5]
	v_fmac_f64_e32 v[6:7], s[40:41], v[8:9]
	s_waitcnt vmcnt(0)
	v_mul_f64 v[8:9], s[12:13], v[2:3]
	v_mul_f64 v[2:3], s[10:11], v[2:3]
	v_fma_f64 v[8:9], s[10:11], v[0:1], -v[8:9]
	v_fmac_f64_e32 v[2:3], s[12:13], v[0:1]
	v_add_f64 v[0:1], v[4:5], v[8:9]
	v_add_f64 v[4:5], v[6:7], v[2:3]
	v_lshl_add_u64 v[6:7], v[24:25], 0, s[0:1]
	global_store_dwordx2 v[24:25], v[0:1], off offset:768
.LBB126_8:
	global_store_dwordx2 v[6:7], v[4:5], off offset:8
	s_endpgm
	.section	.rodata,"a",@progbits
	.p2align	6, 0x0
	.amdhsa_kernel _ZN12_GLOBAL__N_127rocblas_gemm_batched_kernelI19rocblas_complex_numIdELi16ELi16ELi64ELi64ELi4ELi64ELi4ELi4ELi64ELc84ELc67EKS2_S3_S2_EEvlllT_PT11_llS6_llS4_PT12_llPT13_lli
		.amdhsa_group_segment_fixed_size 8192
		.amdhsa_private_segment_fixed_size 0
		.amdhsa_kernarg_size 156
		.amdhsa_user_sgpr_count 2
		.amdhsa_user_sgpr_dispatch_ptr 0
		.amdhsa_user_sgpr_queue_ptr 0
		.amdhsa_user_sgpr_kernarg_segment_ptr 1
		.amdhsa_user_sgpr_dispatch_id 0
		.amdhsa_user_sgpr_kernarg_preload_length 0
		.amdhsa_user_sgpr_kernarg_preload_offset 0
		.amdhsa_user_sgpr_private_segment_size 0
		.amdhsa_uses_dynamic_stack 0
		.amdhsa_enable_private_segment 0
		.amdhsa_system_sgpr_workgroup_id_x 1
		.amdhsa_system_sgpr_workgroup_id_y 1
		.amdhsa_system_sgpr_workgroup_id_z 1
		.amdhsa_system_sgpr_workgroup_info 0
		.amdhsa_system_vgpr_workitem_id 1
		.amdhsa_next_free_vgpr 138
		.amdhsa_next_free_sgpr 52
		.amdhsa_accum_offset 140
		.amdhsa_reserve_vcc 1
		.amdhsa_float_round_mode_32 0
		.amdhsa_float_round_mode_16_64 0
		.amdhsa_float_denorm_mode_32 3
		.amdhsa_float_denorm_mode_16_64 3
		.amdhsa_dx10_clamp 1
		.amdhsa_ieee_mode 1
		.amdhsa_fp16_overflow 0
		.amdhsa_tg_split 0
		.amdhsa_exception_fp_ieee_invalid_op 0
		.amdhsa_exception_fp_denorm_src 0
		.amdhsa_exception_fp_ieee_div_zero 0
		.amdhsa_exception_fp_ieee_overflow 0
		.amdhsa_exception_fp_ieee_underflow 0
		.amdhsa_exception_fp_ieee_inexact 0
		.amdhsa_exception_int_div_zero 0
	.end_amdhsa_kernel
	.section	.text._ZN12_GLOBAL__N_127rocblas_gemm_batched_kernelI19rocblas_complex_numIdELi16ELi16ELi64ELi64ELi4ELi64ELi4ELi4ELi64ELc84ELc67EKS2_S3_S2_EEvlllT_PT11_llS6_llS4_PT12_llPT13_lli,"axG",@progbits,_ZN12_GLOBAL__N_127rocblas_gemm_batched_kernelI19rocblas_complex_numIdELi16ELi16ELi64ELi64ELi4ELi64ELi4ELi4ELi64ELc84ELc67EKS2_S3_S2_EEvlllT_PT11_llS6_llS4_PT12_llPT13_lli,comdat
.Lfunc_end126:
	.size	_ZN12_GLOBAL__N_127rocblas_gemm_batched_kernelI19rocblas_complex_numIdELi16ELi16ELi64ELi64ELi4ELi64ELi4ELi4ELi64ELc84ELc67EKS2_S3_S2_EEvlllT_PT11_llS6_llS4_PT12_llPT13_lli, .Lfunc_end126-_ZN12_GLOBAL__N_127rocblas_gemm_batched_kernelI19rocblas_complex_numIdELi16ELi16ELi64ELi64ELi4ELi64ELi4ELi4ELi64ELc84ELc67EKS2_S3_S2_EEvlllT_PT11_llS6_llS4_PT12_llPT13_lli
                                        ; -- End function
	.set _ZN12_GLOBAL__N_127rocblas_gemm_batched_kernelI19rocblas_complex_numIdELi16ELi16ELi64ELi64ELi4ELi64ELi4ELi4ELi64ELc84ELc67EKS2_S3_S2_EEvlllT_PT11_llS6_llS4_PT12_llPT13_lli.num_vgpr, 138
	.set _ZN12_GLOBAL__N_127rocblas_gemm_batched_kernelI19rocblas_complex_numIdELi16ELi16ELi64ELi64ELi4ELi64ELi4ELi4ELi64ELc84ELc67EKS2_S3_S2_EEvlllT_PT11_llS6_llS4_PT12_llPT13_lli.num_agpr, 0
	.set _ZN12_GLOBAL__N_127rocblas_gemm_batched_kernelI19rocblas_complex_numIdELi16ELi16ELi64ELi64ELi4ELi64ELi4ELi4ELi64ELc84ELc67EKS2_S3_S2_EEvlllT_PT11_llS6_llS4_PT12_llPT13_lli.numbered_sgpr, 52
	.set _ZN12_GLOBAL__N_127rocblas_gemm_batched_kernelI19rocblas_complex_numIdELi16ELi16ELi64ELi64ELi4ELi64ELi4ELi4ELi64ELc84ELc67EKS2_S3_S2_EEvlllT_PT11_llS6_llS4_PT12_llPT13_lli.num_named_barrier, 0
	.set _ZN12_GLOBAL__N_127rocblas_gemm_batched_kernelI19rocblas_complex_numIdELi16ELi16ELi64ELi64ELi4ELi64ELi4ELi4ELi64ELc84ELc67EKS2_S3_S2_EEvlllT_PT11_llS6_llS4_PT12_llPT13_lli.private_seg_size, 0
	.set _ZN12_GLOBAL__N_127rocblas_gemm_batched_kernelI19rocblas_complex_numIdELi16ELi16ELi64ELi64ELi4ELi64ELi4ELi4ELi64ELc84ELc67EKS2_S3_S2_EEvlllT_PT11_llS6_llS4_PT12_llPT13_lli.uses_vcc, 1
	.set _ZN12_GLOBAL__N_127rocblas_gemm_batched_kernelI19rocblas_complex_numIdELi16ELi16ELi64ELi64ELi4ELi64ELi4ELi4ELi64ELc84ELc67EKS2_S3_S2_EEvlllT_PT11_llS6_llS4_PT12_llPT13_lli.uses_flat_scratch, 0
	.set _ZN12_GLOBAL__N_127rocblas_gemm_batched_kernelI19rocblas_complex_numIdELi16ELi16ELi64ELi64ELi4ELi64ELi4ELi4ELi64ELc84ELc67EKS2_S3_S2_EEvlllT_PT11_llS6_llS4_PT12_llPT13_lli.has_dyn_sized_stack, 0
	.set _ZN12_GLOBAL__N_127rocblas_gemm_batched_kernelI19rocblas_complex_numIdELi16ELi16ELi64ELi64ELi4ELi64ELi4ELi4ELi64ELc84ELc67EKS2_S3_S2_EEvlllT_PT11_llS6_llS4_PT12_llPT13_lli.has_recursion, 0
	.set _ZN12_GLOBAL__N_127rocblas_gemm_batched_kernelI19rocblas_complex_numIdELi16ELi16ELi64ELi64ELi4ELi64ELi4ELi4ELi64ELc84ELc67EKS2_S3_S2_EEvlllT_PT11_llS6_llS4_PT12_llPT13_lli.has_indirect_call, 0
	.section	.AMDGPU.csdata,"",@progbits
; Kernel info:
; codeLenInByte = 6464
; TotalNumSgprs: 58
; NumVgprs: 138
; NumAgprs: 0
; TotalNumVgprs: 138
; ScratchSize: 0
; MemoryBound: 0
; FloatMode: 240
; IeeeMode: 1
; LDSByteSize: 8192 bytes/workgroup (compile time only)
; SGPRBlocks: 7
; VGPRBlocks: 17
; NumSGPRsForWavesPerEU: 58
; NumVGPRsForWavesPerEU: 138
; AccumOffset: 140
; Occupancy: 3
; WaveLimiterHint : 1
; COMPUTE_PGM_RSRC2:SCRATCH_EN: 0
; COMPUTE_PGM_RSRC2:USER_SGPR: 2
; COMPUTE_PGM_RSRC2:TRAP_HANDLER: 0
; COMPUTE_PGM_RSRC2:TGID_X_EN: 1
; COMPUTE_PGM_RSRC2:TGID_Y_EN: 1
; COMPUTE_PGM_RSRC2:TGID_Z_EN: 1
; COMPUTE_PGM_RSRC2:TIDIG_COMP_CNT: 1
; COMPUTE_PGM_RSRC3_GFX90A:ACCUM_OFFSET: 34
; COMPUTE_PGM_RSRC3_GFX90A:TG_SPLIT: 0
	.section	.text._ZN12_GLOBAL__N_127rocblas_gemm_batched_kernelI19rocblas_complex_numIdELi16ELi16ELi32ELi32ELi8ELi32ELi8ELi8ELi32ELc78ELc78EKS2_S3_S2_EEvlllT_PT11_llS6_llS4_PT12_llPT13_lli,"axG",@progbits,_ZN12_GLOBAL__N_127rocblas_gemm_batched_kernelI19rocblas_complex_numIdELi16ELi16ELi32ELi32ELi8ELi32ELi8ELi8ELi32ELc78ELc78EKS2_S3_S2_EEvlllT_PT11_llS6_llS4_PT12_llPT13_lli,comdat
	.globl	_ZN12_GLOBAL__N_127rocblas_gemm_batched_kernelI19rocblas_complex_numIdELi16ELi16ELi32ELi32ELi8ELi32ELi8ELi8ELi32ELc78ELc78EKS2_S3_S2_EEvlllT_PT11_llS6_llS4_PT12_llPT13_lli ; -- Begin function _ZN12_GLOBAL__N_127rocblas_gemm_batched_kernelI19rocblas_complex_numIdELi16ELi16ELi32ELi32ELi8ELi32ELi8ELi8ELi32ELc78ELc78EKS2_S3_S2_EEvlllT_PT11_llS6_llS4_PT12_llPT13_lli
	.p2align	8
	.type	_ZN12_GLOBAL__N_127rocblas_gemm_batched_kernelI19rocblas_complex_numIdELi16ELi16ELi32ELi32ELi8ELi32ELi8ELi8ELi32ELc78ELc78EKS2_S3_S2_EEvlllT_PT11_llS6_llS4_PT12_llPT13_lli,@function
_ZN12_GLOBAL__N_127rocblas_gemm_batched_kernelI19rocblas_complex_numIdELi16ELi16ELi32ELi32ELi8ELi32ELi8ELi8ELi32ELc78ELc78EKS2_S3_S2_EEvlllT_PT11_llS6_llS4_PT12_llPT13_lli: ; @_ZN12_GLOBAL__N_127rocblas_gemm_batched_kernelI19rocblas_complex_numIdELi16ELi16ELi32ELi32ELi8ELi32ELi8ELi8ELi32ELc78ELc78EKS2_S3_S2_EEvlllT_PT11_llS6_llS4_PT12_llPT13_lli
; %bb.0:
	s_load_dwordx16 s[36:51], s[0:1], 0x10
	s_load_dwordx16 s[8:23], s[0:1], 0x50
	s_mov_b32 s6, s3
	v_mov_b32_e32 v3, 0
	s_ashr_i32 s3, s2, 31
	s_ashr_i32 s7, s6, 31
	s_waitcnt lgkmcnt(0)
	v_cmp_lt_i64_e64 s[24:25], s[36:37], 1
	v_bfe_u32 v2, v0, 10, 10
	v_and_b32_e32 v0, 0x3ff, v0
	v_mov_b32_e32 v1, v3
	s_lshl_b64 s[2:3], s[2:3], 5
	s_lshl_b64 s[6:7], s[6:7], 5
	s_and_b64 vcc, exec, s[24:25]
	s_cbranch_vccnz .LBB127_3
; %bb.1:
	v_lshl_add_u32 v10, v2, 4, v0
	v_lshrrev_b32_e32 v4, 3, v10
	v_mov_b32_e32 v5, v3
	v_and_b32_e32 v8, 31, v10
	v_lshl_add_u64 v[6:7], v[4:5], 0, s[6:7]
	v_and_b32_e32 v5, 7, v0
	v_lshrrev_b32_e32 v11, 5, v10
	v_lshlrev_b32_e32 v10, 4, v8
	v_lshl_or_b32 v26, v11, 9, v10
	v_lshlrev_b32_e32 v10, 4, v5
	v_lshl_or_b32 v4, v4, 7, v10
	v_add_u32_e32 v27, 0x1000, v4
	v_mov_b32_e32 v4, 0x1000
	v_lshl_add_u32 v29, v2, 7, v4
	v_mov_b64_e32 v[4:5], s[2:3]
	s_mul_i32 s5, s47, s4
	s_mul_hi_u32 s24, s46, s4
	v_mad_u64_u32 v[4:5], s[26:27], s44, v11, v[4:5]
	s_add_i32 s25, s24, s5
	s_mul_i32 s24, s46, s4
	v_mov_b32_e32 v12, v5
	s_lshl_b64 s[24:25], s[24:25], 4
	v_mad_u64_u32 v[12:13], s[26:27], s45, v11, v[12:13]
	v_mov_b32_e32 v9, v3
	v_mov_b32_e32 v5, v12
	s_add_u32 s24, s42, s24
	s_mul_i32 s5, s9, s4
	s_mul_hi_u32 s9, s8, s4
	v_lshl_add_u64 v[4:5], v[4:5], 0, v[8:9]
	s_addc_u32 s25, s43, s25
	v_mul_lo_u32 v8, s51, v6
	v_mul_lo_u32 v9, s50, v7
	v_mad_u64_u32 v[6:7], s[26:27], s50, v6, 0
	s_add_i32 s9, s9, s5
	s_mul_i32 s8, s8, s4
	v_add3_u32 v7, v7, v9, v8
	s_lshl_b64 s[8:9], s[8:9], 4
	v_lshl_add_u64 v[6:7], v[6:7], 4, s[8:9]
	v_mov_b32_e32 v11, v3
	v_lshl_add_u64 v[6:7], v[6:7], 0, v[10:11]
	v_lshlrev_b32_e32 v28, 4, v0
	v_lshl_add_u64 v[4:5], v[4:5], 4, s[24:25]
	s_lshl_b64 s[24:25], s[44:45], 7
	v_lshl_add_u64 v[6:7], s[48:49], 0, v[6:7]
	s_mov_b64 s[8:9], 0
	v_mov_b64_e32 v[12:13], 0
	s_mov_b64 s[26:27], 0x80
	v_mov_b64_e32 v[8:9], s[36:37]
	v_mov_b64_e32 v[10:11], 0
	;; [unrolled: 1-line block ×8, first 2 shown]
.LBB127_2:                              ; =>This Inner Loop Header: Depth=1
	global_load_dwordx4 v[30:33], v[4:5], off
	s_add_u32 s8, s8, 8
	s_addc_u32 s9, s9, 0
	v_cmp_lt_i64_e32 vcc, s[8:9], v[8:9]
	v_lshl_add_u64 v[4:5], v[4:5], 0, s[24:25]
	s_and_b64 vcc, exec, vcc
	s_waitcnt vmcnt(0)
	ds_write2_b64 v26, v[30:31], v[32:33] offset1:1
	global_load_dwordx4 v[30:33], v[6:7], off
	v_lshl_add_u64 v[6:7], v[6:7], 0, s[26:27]
	s_waitcnt vmcnt(0)
	ds_write2_b64 v27, v[30:31], v[32:33] offset1:1
	s_waitcnt lgkmcnt(0)
	s_barrier
	ds_read_b128 v[30:33], v29
	ds_read_b128 v[34:37], v29 offset:16
	ds_read_b128 v[38:41], v29 offset:32
	;; [unrolled: 1-line block ×3, first 2 shown]
	ds_read_b128 v[46:49], v28
	s_waitcnt lgkmcnt(0)
	v_mul_f64 v[50:51], v[32:33], v[48:49]
	v_mul_f64 v[52:53], v[30:31], v[48:49]
	v_fma_f64 v[50:51], v[30:31], v[46:47], -v[50:51]
	v_fmac_f64_e32 v[52:53], v[32:33], v[46:47]
	v_add_f64 v[50:51], v[22:23], v[50:51]
	v_add_f64 v[52:53], v[52:53], v[24:25]
	ds_read_b128 v[22:25], v28 offset:256
	s_waitcnt lgkmcnt(0)
	v_mul_f64 v[54:55], v[32:33], v[24:25]
	v_fma_f64 v[54:55], v[30:31], v[22:23], -v[54:55]
	v_mul_f64 v[30:31], v[30:31], v[24:25]
	v_fmac_f64_e32 v[30:31], v[32:33], v[22:23]
	v_add_f64 v[32:33], v[14:15], v[54:55]
	v_add_f64 v[30:31], v[30:31], v[16:17]
	ds_read_b128 v[14:17], v29 offset:2048
	s_waitcnt lgkmcnt(0)
	v_mul_f64 v[54:55], v[16:17], v[48:49]
	v_fma_f64 v[54:55], v[14:15], v[46:47], -v[54:55]
	v_mul_f64 v[48:49], v[14:15], v[48:49]
	v_fmac_f64_e32 v[48:49], v[16:17], v[46:47]
	v_add_f64 v[46:47], v[18:19], v[54:55]
	v_mul_f64 v[18:19], v[16:17], v[24:25]
	v_fma_f64 v[18:19], v[14:15], v[22:23], -v[18:19]
	v_mul_f64 v[14:15], v[14:15], v[24:25]
	v_fmac_f64_e32 v[14:15], v[16:17], v[22:23]
	v_add_f64 v[22:23], v[10:11], v[18:19]
	v_add_f64 v[24:25], v[14:15], v[12:13]
	ds_read_b128 v[10:13], v28 offset:512
	v_add_f64 v[48:49], v[48:49], v[20:21]
	s_waitcnt lgkmcnt(0)
	v_mul_f64 v[14:15], v[36:37], v[12:13]
	v_mul_f64 v[16:17], v[34:35], v[12:13]
	v_fma_f64 v[14:15], v[34:35], v[10:11], -v[14:15]
	v_fmac_f64_e32 v[16:17], v[36:37], v[10:11]
	v_add_f64 v[50:51], v[50:51], v[14:15]
	v_add_f64 v[52:53], v[16:17], v[52:53]
	ds_read_b128 v[14:17], v28 offset:768
	s_waitcnt lgkmcnt(0)
	v_mul_f64 v[18:19], v[36:37], v[16:17]
	v_mul_f64 v[20:21], v[34:35], v[16:17]
	v_fma_f64 v[18:19], v[34:35], v[14:15], -v[18:19]
	v_fmac_f64_e32 v[20:21], v[36:37], v[14:15]
	v_add_f64 v[32:33], v[32:33], v[18:19]
	v_add_f64 v[30:31], v[20:21], v[30:31]
	ds_read_b128 v[18:21], v29 offset:2064
	s_waitcnt lgkmcnt(0)
	v_mul_f64 v[34:35], v[20:21], v[12:13]
	v_mul_f64 v[12:13], v[18:19], v[12:13]
	v_fmac_f64_e32 v[12:13], v[20:21], v[10:11]
	v_fma_f64 v[34:35], v[18:19], v[10:11], -v[34:35]
	v_add_f64 v[36:37], v[12:13], v[48:49]
	v_mul_f64 v[10:11], v[20:21], v[16:17]
	v_mul_f64 v[12:13], v[18:19], v[16:17]
	v_fma_f64 v[10:11], v[18:19], v[14:15], -v[10:11]
	v_fmac_f64_e32 v[12:13], v[20:21], v[14:15]
	v_add_f64 v[22:23], v[22:23], v[10:11]
	v_add_f64 v[24:25], v[12:13], v[24:25]
	ds_read_b128 v[10:13], v28 offset:1024
	v_add_f64 v[34:35], v[46:47], v[34:35]
	s_waitcnt lgkmcnt(0)
	v_mul_f64 v[14:15], v[40:41], v[12:13]
	v_mul_f64 v[16:17], v[38:39], v[12:13]
	v_fma_f64 v[14:15], v[38:39], v[10:11], -v[14:15]
	v_fmac_f64_e32 v[16:17], v[40:41], v[10:11]
	v_add_f64 v[46:47], v[50:51], v[14:15]
	v_add_f64 v[48:49], v[16:17], v[52:53]
	ds_read_b128 v[14:17], v28 offset:1280
	s_waitcnt lgkmcnt(0)
	v_mul_f64 v[18:19], v[40:41], v[16:17]
	v_mul_f64 v[20:21], v[38:39], v[16:17]
	v_fma_f64 v[18:19], v[38:39], v[14:15], -v[18:19]
	v_fmac_f64_e32 v[20:21], v[40:41], v[14:15]
	v_add_f64 v[32:33], v[32:33], v[18:19]
	v_add_f64 v[30:31], v[20:21], v[30:31]
	ds_read_b128 v[18:21], v29 offset:2080
	s_waitcnt lgkmcnt(0)
	v_mul_f64 v[38:39], v[20:21], v[12:13]
	v_mul_f64 v[12:13], v[18:19], v[12:13]
	v_fmac_f64_e32 v[12:13], v[20:21], v[10:11]
	v_fma_f64 v[38:39], v[18:19], v[10:11], -v[38:39]
	v_add_f64 v[36:37], v[12:13], v[36:37]
	v_mul_f64 v[10:11], v[20:21], v[16:17]
	v_mul_f64 v[12:13], v[18:19], v[16:17]
	v_fma_f64 v[10:11], v[18:19], v[14:15], -v[10:11]
	;; [unrolled: 30-line block ×3, first 2 shown]
	v_fmac_f64_e32 v[12:13], v[20:21], v[14:15]
	v_add_f64 v[22:23], v[22:23], v[10:11]
	v_add_f64 v[24:25], v[12:13], v[24:25]
	ds_read_b128 v[10:13], v29 offset:64
	ds_read_b128 v[14:17], v28 offset:2048
	v_add_f64 v[34:35], v[34:35], v[42:43]
	s_waitcnt lgkmcnt(0)
	v_mul_f64 v[18:19], v[12:13], v[16:17]
	v_mul_f64 v[20:21], v[10:11], v[16:17]
	v_fma_f64 v[18:19], v[10:11], v[14:15], -v[18:19]
	v_fmac_f64_e32 v[20:21], v[12:13], v[14:15]
	v_add_f64 v[38:39], v[38:39], v[18:19]
	v_add_f64 v[40:41], v[20:21], v[40:41]
	ds_read_b128 v[18:21], v28 offset:2304
	s_waitcnt lgkmcnt(0)
	v_mul_f64 v[42:43], v[12:13], v[20:21]
	v_fma_f64 v[42:43], v[10:11], v[18:19], -v[42:43]
	v_mul_f64 v[10:11], v[10:11], v[20:21]
	v_fmac_f64_e32 v[10:11], v[12:13], v[18:19]
	v_add_f64 v[30:31], v[10:11], v[30:31]
	ds_read_b128 v[10:13], v29 offset:2112
	v_add_f64 v[32:33], v[32:33], v[42:43]
	s_waitcnt lgkmcnt(0)
	v_mul_f64 v[42:43], v[12:13], v[16:17]
	v_mul_f64 v[16:17], v[10:11], v[16:17]
	v_fma_f64 v[42:43], v[10:11], v[14:15], -v[42:43]
	v_fmac_f64_e32 v[16:17], v[12:13], v[14:15]
	v_mul_f64 v[14:15], v[12:13], v[20:21]
	v_fma_f64 v[14:15], v[10:11], v[18:19], -v[14:15]
	v_mul_f64 v[10:11], v[10:11], v[20:21]
	v_fmac_f64_e32 v[10:11], v[12:13], v[18:19]
	v_add_f64 v[36:37], v[16:17], v[36:37]
	v_add_f64 v[22:23], v[22:23], v[14:15]
	v_add_f64 v[24:25], v[10:11], v[24:25]
	ds_read_b128 v[10:13], v29 offset:80
	ds_read_b128 v[14:17], v28 offset:2560
	v_add_f64 v[34:35], v[34:35], v[42:43]
	s_waitcnt lgkmcnt(0)
	v_mul_f64 v[18:19], v[12:13], v[16:17]
	v_mul_f64 v[20:21], v[10:11], v[16:17]
	v_fma_f64 v[18:19], v[10:11], v[14:15], -v[18:19]
	v_fmac_f64_e32 v[20:21], v[12:13], v[14:15]
	v_add_f64 v[38:39], v[38:39], v[18:19]
	v_add_f64 v[40:41], v[20:21], v[40:41]
	ds_read_b128 v[18:21], v28 offset:2816
	s_waitcnt lgkmcnt(0)
	v_mul_f64 v[42:43], v[12:13], v[20:21]
	v_fma_f64 v[42:43], v[10:11], v[18:19], -v[42:43]
	v_mul_f64 v[10:11], v[10:11], v[20:21]
	v_fmac_f64_e32 v[10:11], v[12:13], v[18:19]
	v_add_f64 v[30:31], v[10:11], v[30:31]
	ds_read_b128 v[10:13], v29 offset:2128
	v_add_f64 v[32:33], v[32:33], v[42:43]
	s_waitcnt lgkmcnt(0)
	v_mul_f64 v[42:43], v[12:13], v[16:17]
	v_mul_f64 v[16:17], v[10:11], v[16:17]
	v_fma_f64 v[42:43], v[10:11], v[14:15], -v[42:43]
	v_fmac_f64_e32 v[16:17], v[12:13], v[14:15]
	v_mul_f64 v[14:15], v[12:13], v[20:21]
	v_fma_f64 v[14:15], v[10:11], v[18:19], -v[14:15]
	v_mul_f64 v[10:11], v[10:11], v[20:21]
	v_fmac_f64_e32 v[10:11], v[12:13], v[18:19]
	v_add_f64 v[36:37], v[16:17], v[36:37]
	;; [unrolled: 31-line block ×3, first 2 shown]
	ds_read_b128 v[10:13], v29 offset:112
	ds_read_b128 v[18:21], v28 offset:3584
	v_add_f64 v[34:35], v[34:35], v[30:31]
	ds_read_b128 v[30:33], v28 offset:3840
	v_add_f64 v[46:47], v[22:23], v[14:15]
	v_add_f64 v[36:37], v[16:17], v[36:37]
	s_waitcnt lgkmcnt(1)
	v_mul_f64 v[14:15], v[12:13], v[20:21]
	v_fma_f64 v[14:15], v[10:11], v[18:19], -v[14:15]
	v_add_f64 v[22:23], v[38:39], v[14:15]
	s_waitcnt lgkmcnt(0)
	v_mul_f64 v[14:15], v[12:13], v[32:33]
	v_mul_f64 v[16:17], v[10:11], v[20:21]
	v_fma_f64 v[14:15], v[10:11], v[30:31], -v[14:15]
	v_mul_f64 v[10:11], v[10:11], v[32:33]
	v_fmac_f64_e32 v[16:17], v[12:13], v[18:19]
	v_fmac_f64_e32 v[10:11], v[12:13], v[30:31]
	v_add_f64 v[24:25], v[16:17], v[40:41]
	v_add_f64 v[16:17], v[10:11], v[44:45]
	ds_read_b128 v[10:13], v29 offset:2160
	v_add_f64 v[14:15], v[42:43], v[14:15]
	s_waitcnt lgkmcnt(0)
	s_barrier
	v_mul_f64 v[38:39], v[12:13], v[20:21]
	v_fma_f64 v[38:39], v[10:11], v[18:19], -v[38:39]
	v_mul_f64 v[20:21], v[10:11], v[20:21]
	v_fmac_f64_e32 v[20:21], v[12:13], v[18:19]
	v_add_f64 v[18:19], v[34:35], v[38:39]
	v_mul_f64 v[34:35], v[12:13], v[32:33]
	v_mul_f64 v[32:33], v[10:11], v[32:33]
	v_fma_f64 v[34:35], v[10:11], v[30:31], -v[34:35]
	v_fmac_f64_e32 v[32:33], v[12:13], v[30:31]
	v_add_f64 v[20:21], v[20:21], v[36:37]
	v_add_f64 v[10:11], v[46:47], v[34:35]
	;; [unrolled: 1-line block ×3, first 2 shown]
	s_cbranch_vccnz .LBB127_2
	s_branch .LBB127_4
.LBB127_3:
	v_mov_b64_e32 v[22:23], 0
	v_mov_b64_e32 v[24:25], 0
	;; [unrolled: 1-line block ×8, first 2 shown]
.LBB127_4:
	s_load_dwordx2 s[0:1], s[0:1], 0x90
	v_cmp_neq_f64_e64 s[8:9], s[10:11], 0
	v_lshl_add_u64 v[2:3], s[6:7], 0, v[2:3]
	s_mov_b64 s[6:7], 0
	v_lshl_add_u64 v[0:1], s[2:3], 0, v[0:1]
	s_waitcnt lgkmcnt(0)
	s_mul_i32 s1, s1, s4
	s_mul_hi_u32 s5, s0, s4
	s_mul_i32 s0, s0, s4
	s_add_i32 s1, s5, s1
	s_lshl_b64 s[0:1], s[0:1], 4
	s_add_u32 s0, s20, s0
	s_addc_u32 s1, s21, s1
	v_cmp_neq_f64_e64 s[20:21], s[12:13], 0
	s_or_b64 s[8:9], s[8:9], s[20:21]
	s_and_b64 vcc, exec, s[8:9]
	s_cbranch_vccnz .LBB127_6
; %bb.5:
	v_mul_lo_u32 v6, v3, s22
	v_mul_lo_u32 v7, v2, s23
	v_mad_u64_u32 v[4:5], s[2:3], v2, s22, 0
	v_add3_u32 v5, v5, v7, v6
	v_lshl_add_u64 v[8:9], v[4:5], 4, s[0:1]
	v_mul_f64 v[4:5], s[40:41], v[24:25]
	v_mul_f64 v[6:7], s[38:39], v[24:25]
	v_lshlrev_b64 v[26:27], 4, v[0:1]
	v_fma_f64 v[4:5], s[38:39], v[22:23], -v[4:5]
	v_fmac_f64_e32 v[6:7], s[40:41], v[22:23]
	v_lshl_add_u64 v[28:29], v[8:9], 0, v[26:27]
	global_store_dwordx4 v[28:29], v[4:7], off
	s_lshl_b64 s[2:3], s[22:23], 8
	v_lshl_add_u64 v[8:9], v[8:9], 0, s[2:3]
	v_mul_f64 v[4:5], s[40:41], v[16:17]
	v_mul_f64 v[6:7], s[38:39], v[16:17]
	v_fma_f64 v[4:5], s[38:39], v[14:15], -v[4:5]
	v_fmac_f64_e32 v[6:7], s[40:41], v[14:15]
	global_store_dwordx4 v[28:29], v[4:7], off offset:256
	v_lshl_add_u64 v[8:9], v[8:9], 0, v[26:27]
	s_mov_b64 s[2:3], 0x100
	v_mul_f64 v[4:5], s[40:41], v[20:21]
	v_mul_f64 v[6:7], s[38:39], v[20:21]
	v_fma_f64 v[4:5], s[38:39], v[18:19], -v[4:5]
	v_fmac_f64_e32 v[6:7], s[40:41], v[18:19]
	global_store_dwordx4 v[8:9], v[4:7], off
	s_nop 1
	v_mul_f64 v[4:5], s[40:41], v[12:13]
	v_fma_f64 v[26:27], s[38:39], v[10:11], -v[4:5]
	v_mul_f64 v[4:5], s[38:39], v[12:13]
	v_fmac_f64_e32 v[4:5], s[40:41], v[10:11]
	v_lshl_add_u64 v[6:7], v[8:9], 0, s[2:3]
	global_store_dwordx2 v[8:9], v[26:27], off offset:256
	s_andn2_b64 vcc, exec, s[6:7]
	s_cbranch_vccz .LBB127_7
	s_branch .LBB127_8
.LBB127_6:
                                        ; implicit-def: $vgpr4_vgpr5
                                        ; implicit-def: $vgpr6_vgpr7
.LBB127_7:
	s_mul_i32 s2, s19, s4
	s_mul_hi_u32 s3, s18, s4
	s_add_i32 s3, s3, s2
	s_mul_i32 s2, s18, s4
	s_lshl_b64 s[2:3], s[2:3], 4
	s_add_u32 s2, s14, s2
	v_mul_lo_u32 v6, v3, s16
	v_mul_lo_u32 v7, v2, s17
	v_mad_u64_u32 v[4:5], s[4:5], v2, s16, 0
	s_addc_u32 s3, s15, s3
	v_add3_u32 v5, v5, v7, v6
	v_lshl_add_u64 v[8:9], v[4:5], 4, s[2:3]
	v_lshlrev_b64 v[26:27], 4, v[0:1]
	v_lshl_add_u64 v[28:29], v[8:9], 0, v[26:27]
	global_load_dwordx4 v[4:7], v[28:29], off
	v_mul_lo_u32 v30, v3, s22
	v_mul_lo_u32 v31, v2, s23
	v_mad_u64_u32 v[0:1], s[2:3], v2, s22, 0
	v_mul_f64 v[2:3], s[40:41], v[24:25]
	v_mul_f64 v[24:25], s[38:39], v[24:25]
	v_add3_u32 v1, v1, v31, v30
	v_fma_f64 v[2:3], s[38:39], v[22:23], -v[2:3]
	v_fmac_f64_e32 v[24:25], s[40:41], v[22:23]
	v_lshl_add_u64 v[22:23], v[0:1], 4, s[0:1]
	v_lshl_add_u64 v[30:31], v[22:23], 0, v[26:27]
	s_lshl_b64 s[0:1], s[16:17], 8
	v_lshl_add_u64 v[8:9], v[8:9], 0, s[0:1]
	v_lshl_add_u64 v[8:9], v[8:9], 0, v[26:27]
	s_lshl_b64 s[0:1], s[22:23], 8
	s_waitcnt vmcnt(0)
	v_mul_f64 v[0:1], s[12:13], v[6:7]
	v_mul_f64 v[6:7], s[10:11], v[6:7]
	v_fma_f64 v[0:1], s[10:11], v[4:5], -v[0:1]
	v_fmac_f64_e32 v[6:7], s[12:13], v[4:5]
	v_add_f64 v[0:1], v[2:3], v[0:1]
	v_add_f64 v[2:3], v[24:25], v[6:7]
	global_store_dwordx4 v[30:31], v[0:3], off
	global_load_dwordx4 v[0:3], v[28:29], off offset:256
	v_mul_f64 v[4:5], s[40:41], v[16:17]
	v_mul_f64 v[6:7], s[38:39], v[16:17]
	v_fma_f64 v[4:5], s[38:39], v[14:15], -v[4:5]
	v_fmac_f64_e32 v[6:7], s[40:41], v[14:15]
	s_waitcnt vmcnt(0)
	v_mul_f64 v[14:15], s[12:13], v[2:3]
	v_mul_f64 v[2:3], s[10:11], v[2:3]
	v_fma_f64 v[14:15], s[10:11], v[0:1], -v[14:15]
	v_fmac_f64_e32 v[2:3], s[12:13], v[0:1]
	v_add_f64 v[0:1], v[4:5], v[14:15]
	v_add_f64 v[2:3], v[6:7], v[2:3]
	global_store_dwordx4 v[30:31], v[0:3], off offset:256
	global_load_dwordx4 v[0:3], v[8:9], off
	v_mul_f64 v[4:5], s[40:41], v[20:21]
	v_mul_f64 v[6:7], s[38:39], v[20:21]
	v_fma_f64 v[4:5], s[38:39], v[18:19], -v[4:5]
	v_fmac_f64_e32 v[6:7], s[40:41], v[18:19]
	v_lshl_add_u64 v[14:15], v[22:23], 0, s[0:1]
	v_lshl_add_u64 v[14:15], v[14:15], 0, v[26:27]
	s_mov_b64 s[0:1], 0x100
	s_waitcnt vmcnt(0)
	v_mul_f64 v[16:17], s[12:13], v[2:3]
	v_mul_f64 v[2:3], s[10:11], v[2:3]
	v_fma_f64 v[16:17], s[10:11], v[0:1], -v[16:17]
	v_fmac_f64_e32 v[2:3], s[12:13], v[0:1]
	v_add_f64 v[0:1], v[4:5], v[16:17]
	v_add_f64 v[2:3], v[6:7], v[2:3]
	global_store_dwordx4 v[14:15], v[0:3], off
	global_load_dwordx4 v[0:3], v[8:9], off offset:256
	v_mul_f64 v[4:5], s[40:41], v[12:13]
	v_mul_f64 v[6:7], s[38:39], v[12:13]
	v_fma_f64 v[4:5], s[38:39], v[10:11], -v[4:5]
	v_fmac_f64_e32 v[6:7], s[40:41], v[10:11]
	s_waitcnt vmcnt(0)
	v_mul_f64 v[8:9], s[12:13], v[2:3]
	v_mul_f64 v[2:3], s[10:11], v[2:3]
	v_fma_f64 v[8:9], s[10:11], v[0:1], -v[8:9]
	v_fmac_f64_e32 v[2:3], s[12:13], v[0:1]
	v_add_f64 v[0:1], v[4:5], v[8:9]
	v_add_f64 v[4:5], v[6:7], v[2:3]
	v_lshl_add_u64 v[6:7], v[14:15], 0, s[0:1]
	global_store_dwordx2 v[14:15], v[0:1], off offset:256
.LBB127_8:
	global_store_dwordx2 v[6:7], v[4:5], off offset:8
	s_endpgm
	.section	.rodata,"a",@progbits
	.p2align	6, 0x0
	.amdhsa_kernel _ZN12_GLOBAL__N_127rocblas_gemm_batched_kernelI19rocblas_complex_numIdELi16ELi16ELi32ELi32ELi8ELi32ELi8ELi8ELi32ELc78ELc78EKS2_S3_S2_EEvlllT_PT11_llS6_llS4_PT12_llPT13_lli
		.amdhsa_group_segment_fixed_size 8192
		.amdhsa_private_segment_fixed_size 0
		.amdhsa_kernarg_size 156
		.amdhsa_user_sgpr_count 2
		.amdhsa_user_sgpr_dispatch_ptr 0
		.amdhsa_user_sgpr_queue_ptr 0
		.amdhsa_user_sgpr_kernarg_segment_ptr 1
		.amdhsa_user_sgpr_dispatch_id 0
		.amdhsa_user_sgpr_kernarg_preload_length 0
		.amdhsa_user_sgpr_kernarg_preload_offset 0
		.amdhsa_user_sgpr_private_segment_size 0
		.amdhsa_uses_dynamic_stack 0
		.amdhsa_enable_private_segment 0
		.amdhsa_system_sgpr_workgroup_id_x 1
		.amdhsa_system_sgpr_workgroup_id_y 1
		.amdhsa_system_sgpr_workgroup_id_z 1
		.amdhsa_system_sgpr_workgroup_info 0
		.amdhsa_system_vgpr_workitem_id 1
		.amdhsa_next_free_vgpr 56
		.amdhsa_next_free_sgpr 52
		.amdhsa_accum_offset 56
		.amdhsa_reserve_vcc 1
		.amdhsa_float_round_mode_32 0
		.amdhsa_float_round_mode_16_64 0
		.amdhsa_float_denorm_mode_32 3
		.amdhsa_float_denorm_mode_16_64 3
		.amdhsa_dx10_clamp 1
		.amdhsa_ieee_mode 1
		.amdhsa_fp16_overflow 0
		.amdhsa_tg_split 0
		.amdhsa_exception_fp_ieee_invalid_op 0
		.amdhsa_exception_fp_denorm_src 0
		.amdhsa_exception_fp_ieee_div_zero 0
		.amdhsa_exception_fp_ieee_overflow 0
		.amdhsa_exception_fp_ieee_underflow 0
		.amdhsa_exception_fp_ieee_inexact 0
		.amdhsa_exception_int_div_zero 0
	.end_amdhsa_kernel
	.section	.text._ZN12_GLOBAL__N_127rocblas_gemm_batched_kernelI19rocblas_complex_numIdELi16ELi16ELi32ELi32ELi8ELi32ELi8ELi8ELi32ELc78ELc78EKS2_S3_S2_EEvlllT_PT11_llS6_llS4_PT12_llPT13_lli,"axG",@progbits,_ZN12_GLOBAL__N_127rocblas_gemm_batched_kernelI19rocblas_complex_numIdELi16ELi16ELi32ELi32ELi8ELi32ELi8ELi8ELi32ELc78ELc78EKS2_S3_S2_EEvlllT_PT11_llS6_llS4_PT12_llPT13_lli,comdat
.Lfunc_end127:
	.size	_ZN12_GLOBAL__N_127rocblas_gemm_batched_kernelI19rocblas_complex_numIdELi16ELi16ELi32ELi32ELi8ELi32ELi8ELi8ELi32ELc78ELc78EKS2_S3_S2_EEvlllT_PT11_llS6_llS4_PT12_llPT13_lli, .Lfunc_end127-_ZN12_GLOBAL__N_127rocblas_gemm_batched_kernelI19rocblas_complex_numIdELi16ELi16ELi32ELi32ELi8ELi32ELi8ELi8ELi32ELc78ELc78EKS2_S3_S2_EEvlllT_PT11_llS6_llS4_PT12_llPT13_lli
                                        ; -- End function
	.set _ZN12_GLOBAL__N_127rocblas_gemm_batched_kernelI19rocblas_complex_numIdELi16ELi16ELi32ELi32ELi8ELi32ELi8ELi8ELi32ELc78ELc78EKS2_S3_S2_EEvlllT_PT11_llS6_llS4_PT12_llPT13_lli.num_vgpr, 56
	.set _ZN12_GLOBAL__N_127rocblas_gemm_batched_kernelI19rocblas_complex_numIdELi16ELi16ELi32ELi32ELi8ELi32ELi8ELi8ELi32ELc78ELc78EKS2_S3_S2_EEvlllT_PT11_llS6_llS4_PT12_llPT13_lli.num_agpr, 0
	.set _ZN12_GLOBAL__N_127rocblas_gemm_batched_kernelI19rocblas_complex_numIdELi16ELi16ELi32ELi32ELi8ELi32ELi8ELi8ELi32ELc78ELc78EKS2_S3_S2_EEvlllT_PT11_llS6_llS4_PT12_llPT13_lli.numbered_sgpr, 52
	.set _ZN12_GLOBAL__N_127rocblas_gemm_batched_kernelI19rocblas_complex_numIdELi16ELi16ELi32ELi32ELi8ELi32ELi8ELi8ELi32ELc78ELc78EKS2_S3_S2_EEvlllT_PT11_llS6_llS4_PT12_llPT13_lli.num_named_barrier, 0
	.set _ZN12_GLOBAL__N_127rocblas_gemm_batched_kernelI19rocblas_complex_numIdELi16ELi16ELi32ELi32ELi8ELi32ELi8ELi8ELi32ELc78ELc78EKS2_S3_S2_EEvlllT_PT11_llS6_llS4_PT12_llPT13_lli.private_seg_size, 0
	.set _ZN12_GLOBAL__N_127rocblas_gemm_batched_kernelI19rocblas_complex_numIdELi16ELi16ELi32ELi32ELi8ELi32ELi8ELi8ELi32ELc78ELc78EKS2_S3_S2_EEvlllT_PT11_llS6_llS4_PT12_llPT13_lli.uses_vcc, 1
	.set _ZN12_GLOBAL__N_127rocblas_gemm_batched_kernelI19rocblas_complex_numIdELi16ELi16ELi32ELi32ELi8ELi32ELi8ELi8ELi32ELc78ELc78EKS2_S3_S2_EEvlllT_PT11_llS6_llS4_PT12_llPT13_lli.uses_flat_scratch, 0
	.set _ZN12_GLOBAL__N_127rocblas_gemm_batched_kernelI19rocblas_complex_numIdELi16ELi16ELi32ELi32ELi8ELi32ELi8ELi8ELi32ELc78ELc78EKS2_S3_S2_EEvlllT_PT11_llS6_llS4_PT12_llPT13_lli.has_dyn_sized_stack, 0
	.set _ZN12_GLOBAL__N_127rocblas_gemm_batched_kernelI19rocblas_complex_numIdELi16ELi16ELi32ELi32ELi8ELi32ELi8ELi8ELi32ELc78ELc78EKS2_S3_S2_EEvlllT_PT11_llS6_llS4_PT12_llPT13_lli.has_recursion, 0
	.set _ZN12_GLOBAL__N_127rocblas_gemm_batched_kernelI19rocblas_complex_numIdELi16ELi16ELi32ELi32ELi8ELi32ELi8ELi8ELi32ELc78ELc78EKS2_S3_S2_EEvlllT_PT11_llS6_llS4_PT12_llPT13_lli.has_indirect_call, 0
	.section	.AMDGPU.csdata,"",@progbits
; Kernel info:
; codeLenInByte = 3168
; TotalNumSgprs: 58
; NumVgprs: 56
; NumAgprs: 0
; TotalNumVgprs: 56
; ScratchSize: 0
; MemoryBound: 0
; FloatMode: 240
; IeeeMode: 1
; LDSByteSize: 8192 bytes/workgroup (compile time only)
; SGPRBlocks: 7
; VGPRBlocks: 6
; NumSGPRsForWavesPerEU: 58
; NumVGPRsForWavesPerEU: 56
; AccumOffset: 56
; Occupancy: 8
; WaveLimiterHint : 1
; COMPUTE_PGM_RSRC2:SCRATCH_EN: 0
; COMPUTE_PGM_RSRC2:USER_SGPR: 2
; COMPUTE_PGM_RSRC2:TRAP_HANDLER: 0
; COMPUTE_PGM_RSRC2:TGID_X_EN: 1
; COMPUTE_PGM_RSRC2:TGID_Y_EN: 1
; COMPUTE_PGM_RSRC2:TGID_Z_EN: 1
; COMPUTE_PGM_RSRC2:TIDIG_COMP_CNT: 1
; COMPUTE_PGM_RSRC3_GFX90A:ACCUM_OFFSET: 13
; COMPUTE_PGM_RSRC3_GFX90A:TG_SPLIT: 0
	.section	.text._ZN12_GLOBAL__N_127rocblas_gemm_batched_kernelI19rocblas_complex_numIdELi16ELi16ELi32ELi32ELi8ELi32ELi8ELi8ELi32ELc84ELc78EKS2_S3_S2_EEvlllT_PT11_llS6_llS4_PT12_llPT13_lli,"axG",@progbits,_ZN12_GLOBAL__N_127rocblas_gemm_batched_kernelI19rocblas_complex_numIdELi16ELi16ELi32ELi32ELi8ELi32ELi8ELi8ELi32ELc84ELc78EKS2_S3_S2_EEvlllT_PT11_llS6_llS4_PT12_llPT13_lli,comdat
	.globl	_ZN12_GLOBAL__N_127rocblas_gemm_batched_kernelI19rocblas_complex_numIdELi16ELi16ELi32ELi32ELi8ELi32ELi8ELi8ELi32ELc84ELc78EKS2_S3_S2_EEvlllT_PT11_llS6_llS4_PT12_llPT13_lli ; -- Begin function _ZN12_GLOBAL__N_127rocblas_gemm_batched_kernelI19rocblas_complex_numIdELi16ELi16ELi32ELi32ELi8ELi32ELi8ELi8ELi32ELc84ELc78EKS2_S3_S2_EEvlllT_PT11_llS6_llS4_PT12_llPT13_lli
	.p2align	8
	.type	_ZN12_GLOBAL__N_127rocblas_gemm_batched_kernelI19rocblas_complex_numIdELi16ELi16ELi32ELi32ELi8ELi32ELi8ELi8ELi32ELc84ELc78EKS2_S3_S2_EEvlllT_PT11_llS6_llS4_PT12_llPT13_lli,@function
_ZN12_GLOBAL__N_127rocblas_gemm_batched_kernelI19rocblas_complex_numIdELi16ELi16ELi32ELi32ELi8ELi32ELi8ELi8ELi32ELc84ELc78EKS2_S3_S2_EEvlllT_PT11_llS6_llS4_PT12_llPT13_lli: ; @_ZN12_GLOBAL__N_127rocblas_gemm_batched_kernelI19rocblas_complex_numIdELi16ELi16ELi32ELi32ELi8ELi32ELi8ELi8ELi32ELc84ELc78EKS2_S3_S2_EEvlllT_PT11_llS6_llS4_PT12_llPT13_lli
; %bb.0:
	s_load_dwordx16 s[36:51], s[0:1], 0x10
	s_load_dwordx16 s[8:23], s[0:1], 0x50
	s_mov_b32 s6, s3
	v_mov_b32_e32 v3, 0
	s_ashr_i32 s3, s2, 31
	s_ashr_i32 s7, s6, 31
	s_waitcnt lgkmcnt(0)
	v_cmp_lt_i64_e64 s[24:25], s[36:37], 1
	v_bfe_u32 v2, v0, 10, 10
	v_and_b32_e32 v0, 0x3ff, v0
	v_mov_b32_e32 v1, v3
	s_lshl_b64 s[2:3], s[2:3], 5
	s_lshl_b64 s[6:7], s[6:7], 5
	s_and_b64 vcc, exec, s[24:25]
	s_cbranch_vccnz .LBB128_3
; %bb.1:
	v_lshl_add_u32 v10, v2, 4, v0
	v_lshrrev_b32_e32 v4, 3, v10
	v_mov_b32_e32 v5, v3
	v_and_b32_e32 v8, 31, v10
	v_lshl_add_u64 v[6:7], v[4:5], 0, s[6:7]
	v_and_b32_e32 v5, 7, v0
	v_lshrrev_b32_e32 v11, 5, v10
	v_lshlrev_b32_e32 v10, 4, v8
	v_lshl_or_b32 v26, v11, 9, v10
	v_lshlrev_b32_e32 v10, 4, v5
	v_lshl_or_b32 v4, v4, 7, v10
	v_mov_b32_e32 v9, v3
	v_add_u32_e32 v27, 0x1000, v4
	v_mov_b32_e32 v4, 0x1000
	v_lshl_add_u32 v29, v2, 7, v4
	v_lshl_add_u64 v[4:5], s[2:3], 0, v[8:9]
	v_mul_lo_u32 v8, s45, v4
	v_mul_lo_u32 v9, s44, v5
	v_mad_u64_u32 v[4:5], s[24:25], s44, v4, 0
	s_mul_i32 s5, s47, s4
	s_mul_hi_u32 s24, s46, s4
	s_add_i32 s25, s24, s5
	s_mul_i32 s24, s46, s4
	v_add3_u32 v5, v5, v9, v8
	s_lshl_b64 s[24:25], s[24:25], 4
	v_lshl_add_u64 v[4:5], v[4:5], 4, s[24:25]
	v_lshlrev_b32_e32 v8, 4, v11
	v_mov_b32_e32 v9, v3
	s_mul_i32 s5, s9, s4
	s_mul_hi_u32 s9, s8, s4
	v_lshl_add_u64 v[4:5], v[4:5], 0, v[8:9]
	v_mul_lo_u32 v8, s51, v6
	v_mul_lo_u32 v9, s50, v7
	v_mad_u64_u32 v[6:7], s[24:25], s50, v6, 0
	s_add_i32 s9, s9, s5
	s_mul_i32 s8, s8, s4
	v_add3_u32 v7, v7, v9, v8
	s_lshl_b64 s[8:9], s[8:9], 4
	v_lshl_add_u64 v[6:7], v[6:7], 4, s[8:9]
	v_mov_b32_e32 v11, v3
	v_lshl_add_u64 v[6:7], v[6:7], 0, v[10:11]
	v_lshlrev_b32_e32 v28, 4, v0
	v_lshl_add_u64 v[4:5], s[42:43], 0, v[4:5]
	v_lshl_add_u64 v[6:7], s[48:49], 0, v[6:7]
	s_mov_b64 s[8:9], 0
	v_mov_b64_e32 v[12:13], 0
	s_mov_b64 s[24:25], 0x80
	v_mov_b64_e32 v[8:9], s[36:37]
	v_mov_b64_e32 v[10:11], 0
	;; [unrolled: 1-line block ×8, first 2 shown]
.LBB128_2:                              ; =>This Inner Loop Header: Depth=1
	global_load_dwordx4 v[30:33], v[4:5], off
	s_add_u32 s8, s8, 8
	s_addc_u32 s9, s9, 0
	v_cmp_lt_i64_e32 vcc, s[8:9], v[8:9]
	v_lshl_add_u64 v[4:5], v[4:5], 0, s[24:25]
	s_and_b64 vcc, exec, vcc
	s_waitcnt vmcnt(0)
	ds_write2_b64 v26, v[30:31], v[32:33] offset1:1
	global_load_dwordx4 v[30:33], v[6:7], off
	v_lshl_add_u64 v[6:7], v[6:7], 0, s[24:25]
	s_waitcnt vmcnt(0)
	ds_write2_b64 v27, v[30:31], v[32:33] offset1:1
	s_waitcnt lgkmcnt(0)
	s_barrier
	ds_read_b128 v[30:33], v29
	ds_read_b128 v[34:37], v29 offset:16
	ds_read_b128 v[38:41], v29 offset:32
	;; [unrolled: 1-line block ×3, first 2 shown]
	ds_read_b128 v[46:49], v28
	s_waitcnt lgkmcnt(0)
	v_mul_f64 v[50:51], v[32:33], v[48:49]
	v_mul_f64 v[52:53], v[30:31], v[48:49]
	v_fma_f64 v[50:51], v[30:31], v[46:47], -v[50:51]
	v_fmac_f64_e32 v[52:53], v[32:33], v[46:47]
	v_add_f64 v[50:51], v[22:23], v[50:51]
	v_add_f64 v[52:53], v[52:53], v[24:25]
	ds_read_b128 v[22:25], v28 offset:256
	s_waitcnt lgkmcnt(0)
	v_mul_f64 v[54:55], v[32:33], v[24:25]
	v_fma_f64 v[54:55], v[30:31], v[22:23], -v[54:55]
	v_mul_f64 v[30:31], v[30:31], v[24:25]
	v_fmac_f64_e32 v[30:31], v[32:33], v[22:23]
	v_add_f64 v[32:33], v[14:15], v[54:55]
	v_add_f64 v[30:31], v[30:31], v[16:17]
	ds_read_b128 v[14:17], v29 offset:2048
	s_waitcnt lgkmcnt(0)
	v_mul_f64 v[54:55], v[16:17], v[48:49]
	v_fma_f64 v[54:55], v[14:15], v[46:47], -v[54:55]
	v_mul_f64 v[48:49], v[14:15], v[48:49]
	v_fmac_f64_e32 v[48:49], v[16:17], v[46:47]
	v_add_f64 v[46:47], v[18:19], v[54:55]
	v_mul_f64 v[18:19], v[16:17], v[24:25]
	v_fma_f64 v[18:19], v[14:15], v[22:23], -v[18:19]
	v_mul_f64 v[14:15], v[14:15], v[24:25]
	v_fmac_f64_e32 v[14:15], v[16:17], v[22:23]
	v_add_f64 v[22:23], v[10:11], v[18:19]
	v_add_f64 v[24:25], v[14:15], v[12:13]
	ds_read_b128 v[10:13], v28 offset:512
	v_add_f64 v[48:49], v[48:49], v[20:21]
	s_waitcnt lgkmcnt(0)
	v_mul_f64 v[14:15], v[36:37], v[12:13]
	v_mul_f64 v[16:17], v[34:35], v[12:13]
	v_fma_f64 v[14:15], v[34:35], v[10:11], -v[14:15]
	v_fmac_f64_e32 v[16:17], v[36:37], v[10:11]
	v_add_f64 v[50:51], v[50:51], v[14:15]
	v_add_f64 v[52:53], v[16:17], v[52:53]
	ds_read_b128 v[14:17], v28 offset:768
	s_waitcnt lgkmcnt(0)
	v_mul_f64 v[18:19], v[36:37], v[16:17]
	v_mul_f64 v[20:21], v[34:35], v[16:17]
	v_fma_f64 v[18:19], v[34:35], v[14:15], -v[18:19]
	v_fmac_f64_e32 v[20:21], v[36:37], v[14:15]
	v_add_f64 v[32:33], v[32:33], v[18:19]
	v_add_f64 v[30:31], v[20:21], v[30:31]
	ds_read_b128 v[18:21], v29 offset:2064
	s_waitcnt lgkmcnt(0)
	v_mul_f64 v[34:35], v[20:21], v[12:13]
	v_mul_f64 v[12:13], v[18:19], v[12:13]
	v_fmac_f64_e32 v[12:13], v[20:21], v[10:11]
	v_fma_f64 v[34:35], v[18:19], v[10:11], -v[34:35]
	v_add_f64 v[36:37], v[12:13], v[48:49]
	v_mul_f64 v[10:11], v[20:21], v[16:17]
	v_mul_f64 v[12:13], v[18:19], v[16:17]
	v_fma_f64 v[10:11], v[18:19], v[14:15], -v[10:11]
	v_fmac_f64_e32 v[12:13], v[20:21], v[14:15]
	v_add_f64 v[22:23], v[22:23], v[10:11]
	v_add_f64 v[24:25], v[12:13], v[24:25]
	ds_read_b128 v[10:13], v28 offset:1024
	v_add_f64 v[34:35], v[46:47], v[34:35]
	s_waitcnt lgkmcnt(0)
	v_mul_f64 v[14:15], v[40:41], v[12:13]
	v_mul_f64 v[16:17], v[38:39], v[12:13]
	v_fma_f64 v[14:15], v[38:39], v[10:11], -v[14:15]
	v_fmac_f64_e32 v[16:17], v[40:41], v[10:11]
	v_add_f64 v[46:47], v[50:51], v[14:15]
	v_add_f64 v[48:49], v[16:17], v[52:53]
	ds_read_b128 v[14:17], v28 offset:1280
	s_waitcnt lgkmcnt(0)
	v_mul_f64 v[18:19], v[40:41], v[16:17]
	v_mul_f64 v[20:21], v[38:39], v[16:17]
	v_fma_f64 v[18:19], v[38:39], v[14:15], -v[18:19]
	v_fmac_f64_e32 v[20:21], v[40:41], v[14:15]
	v_add_f64 v[32:33], v[32:33], v[18:19]
	v_add_f64 v[30:31], v[20:21], v[30:31]
	ds_read_b128 v[18:21], v29 offset:2080
	s_waitcnt lgkmcnt(0)
	v_mul_f64 v[38:39], v[20:21], v[12:13]
	v_mul_f64 v[12:13], v[18:19], v[12:13]
	v_fmac_f64_e32 v[12:13], v[20:21], v[10:11]
	v_fma_f64 v[38:39], v[18:19], v[10:11], -v[38:39]
	v_add_f64 v[36:37], v[12:13], v[36:37]
	v_mul_f64 v[10:11], v[20:21], v[16:17]
	v_mul_f64 v[12:13], v[18:19], v[16:17]
	v_fma_f64 v[10:11], v[18:19], v[14:15], -v[10:11]
	;; [unrolled: 30-line block ×3, first 2 shown]
	v_fmac_f64_e32 v[12:13], v[20:21], v[14:15]
	v_add_f64 v[22:23], v[22:23], v[10:11]
	v_add_f64 v[24:25], v[12:13], v[24:25]
	ds_read_b128 v[10:13], v29 offset:64
	ds_read_b128 v[14:17], v28 offset:2048
	v_add_f64 v[34:35], v[34:35], v[42:43]
	s_waitcnt lgkmcnt(0)
	v_mul_f64 v[18:19], v[12:13], v[16:17]
	v_mul_f64 v[20:21], v[10:11], v[16:17]
	v_fma_f64 v[18:19], v[10:11], v[14:15], -v[18:19]
	v_fmac_f64_e32 v[20:21], v[12:13], v[14:15]
	v_add_f64 v[38:39], v[38:39], v[18:19]
	v_add_f64 v[40:41], v[20:21], v[40:41]
	ds_read_b128 v[18:21], v28 offset:2304
	s_waitcnt lgkmcnt(0)
	v_mul_f64 v[42:43], v[12:13], v[20:21]
	v_fma_f64 v[42:43], v[10:11], v[18:19], -v[42:43]
	v_mul_f64 v[10:11], v[10:11], v[20:21]
	v_fmac_f64_e32 v[10:11], v[12:13], v[18:19]
	v_add_f64 v[30:31], v[10:11], v[30:31]
	ds_read_b128 v[10:13], v29 offset:2112
	v_add_f64 v[32:33], v[32:33], v[42:43]
	s_waitcnt lgkmcnt(0)
	v_mul_f64 v[42:43], v[12:13], v[16:17]
	v_mul_f64 v[16:17], v[10:11], v[16:17]
	v_fma_f64 v[42:43], v[10:11], v[14:15], -v[42:43]
	v_fmac_f64_e32 v[16:17], v[12:13], v[14:15]
	v_mul_f64 v[14:15], v[12:13], v[20:21]
	v_fma_f64 v[14:15], v[10:11], v[18:19], -v[14:15]
	v_mul_f64 v[10:11], v[10:11], v[20:21]
	v_fmac_f64_e32 v[10:11], v[12:13], v[18:19]
	v_add_f64 v[36:37], v[16:17], v[36:37]
	v_add_f64 v[22:23], v[22:23], v[14:15]
	v_add_f64 v[24:25], v[10:11], v[24:25]
	ds_read_b128 v[10:13], v29 offset:80
	ds_read_b128 v[14:17], v28 offset:2560
	v_add_f64 v[34:35], v[34:35], v[42:43]
	s_waitcnt lgkmcnt(0)
	v_mul_f64 v[18:19], v[12:13], v[16:17]
	v_mul_f64 v[20:21], v[10:11], v[16:17]
	v_fma_f64 v[18:19], v[10:11], v[14:15], -v[18:19]
	v_fmac_f64_e32 v[20:21], v[12:13], v[14:15]
	v_add_f64 v[38:39], v[38:39], v[18:19]
	v_add_f64 v[40:41], v[20:21], v[40:41]
	ds_read_b128 v[18:21], v28 offset:2816
	s_waitcnt lgkmcnt(0)
	v_mul_f64 v[42:43], v[12:13], v[20:21]
	v_fma_f64 v[42:43], v[10:11], v[18:19], -v[42:43]
	v_mul_f64 v[10:11], v[10:11], v[20:21]
	v_fmac_f64_e32 v[10:11], v[12:13], v[18:19]
	v_add_f64 v[30:31], v[10:11], v[30:31]
	ds_read_b128 v[10:13], v29 offset:2128
	v_add_f64 v[32:33], v[32:33], v[42:43]
	s_waitcnt lgkmcnt(0)
	v_mul_f64 v[42:43], v[12:13], v[16:17]
	v_mul_f64 v[16:17], v[10:11], v[16:17]
	v_fma_f64 v[42:43], v[10:11], v[14:15], -v[42:43]
	v_fmac_f64_e32 v[16:17], v[12:13], v[14:15]
	v_mul_f64 v[14:15], v[12:13], v[20:21]
	v_fma_f64 v[14:15], v[10:11], v[18:19], -v[14:15]
	v_mul_f64 v[10:11], v[10:11], v[20:21]
	v_fmac_f64_e32 v[10:11], v[12:13], v[18:19]
	v_add_f64 v[36:37], v[16:17], v[36:37]
	;; [unrolled: 31-line block ×3, first 2 shown]
	ds_read_b128 v[10:13], v29 offset:112
	ds_read_b128 v[18:21], v28 offset:3584
	v_add_f64 v[34:35], v[34:35], v[30:31]
	ds_read_b128 v[30:33], v28 offset:3840
	v_add_f64 v[46:47], v[22:23], v[14:15]
	v_add_f64 v[36:37], v[16:17], v[36:37]
	s_waitcnt lgkmcnt(1)
	v_mul_f64 v[14:15], v[12:13], v[20:21]
	v_fma_f64 v[14:15], v[10:11], v[18:19], -v[14:15]
	v_add_f64 v[22:23], v[38:39], v[14:15]
	s_waitcnt lgkmcnt(0)
	v_mul_f64 v[14:15], v[12:13], v[32:33]
	v_mul_f64 v[16:17], v[10:11], v[20:21]
	v_fma_f64 v[14:15], v[10:11], v[30:31], -v[14:15]
	v_mul_f64 v[10:11], v[10:11], v[32:33]
	v_fmac_f64_e32 v[16:17], v[12:13], v[18:19]
	v_fmac_f64_e32 v[10:11], v[12:13], v[30:31]
	v_add_f64 v[24:25], v[16:17], v[40:41]
	v_add_f64 v[16:17], v[10:11], v[44:45]
	ds_read_b128 v[10:13], v29 offset:2160
	v_add_f64 v[14:15], v[42:43], v[14:15]
	s_waitcnt lgkmcnt(0)
	s_barrier
	v_mul_f64 v[38:39], v[12:13], v[20:21]
	v_fma_f64 v[38:39], v[10:11], v[18:19], -v[38:39]
	v_mul_f64 v[20:21], v[10:11], v[20:21]
	v_fmac_f64_e32 v[20:21], v[12:13], v[18:19]
	v_add_f64 v[18:19], v[34:35], v[38:39]
	v_mul_f64 v[34:35], v[12:13], v[32:33]
	v_mul_f64 v[32:33], v[10:11], v[32:33]
	v_fma_f64 v[34:35], v[10:11], v[30:31], -v[34:35]
	v_fmac_f64_e32 v[32:33], v[12:13], v[30:31]
	v_add_f64 v[20:21], v[20:21], v[36:37]
	v_add_f64 v[10:11], v[46:47], v[34:35]
	;; [unrolled: 1-line block ×3, first 2 shown]
	s_cbranch_vccnz .LBB128_2
	s_branch .LBB128_4
.LBB128_3:
	v_mov_b64_e32 v[22:23], 0
	v_mov_b64_e32 v[24:25], 0
	;; [unrolled: 1-line block ×8, first 2 shown]
.LBB128_4:
	s_load_dwordx2 s[0:1], s[0:1], 0x90
	v_cmp_neq_f64_e64 s[8:9], s[10:11], 0
	v_lshl_add_u64 v[2:3], s[6:7], 0, v[2:3]
	s_mov_b64 s[6:7], 0
	v_lshl_add_u64 v[0:1], s[2:3], 0, v[0:1]
	s_waitcnt lgkmcnt(0)
	s_mul_i32 s1, s1, s4
	s_mul_hi_u32 s5, s0, s4
	s_mul_i32 s0, s0, s4
	s_add_i32 s1, s5, s1
	s_lshl_b64 s[0:1], s[0:1], 4
	s_add_u32 s0, s20, s0
	s_addc_u32 s1, s21, s1
	v_cmp_neq_f64_e64 s[20:21], s[12:13], 0
	s_or_b64 s[8:9], s[8:9], s[20:21]
	s_and_b64 vcc, exec, s[8:9]
	s_cbranch_vccnz .LBB128_6
; %bb.5:
	v_mul_lo_u32 v6, v3, s22
	v_mul_lo_u32 v7, v2, s23
	v_mad_u64_u32 v[4:5], s[2:3], v2, s22, 0
	v_add3_u32 v5, v5, v7, v6
	v_lshl_add_u64 v[8:9], v[4:5], 4, s[0:1]
	v_mul_f64 v[4:5], s[40:41], v[24:25]
	v_mul_f64 v[6:7], s[38:39], v[24:25]
	v_lshlrev_b64 v[26:27], 4, v[0:1]
	v_fma_f64 v[4:5], s[38:39], v[22:23], -v[4:5]
	v_fmac_f64_e32 v[6:7], s[40:41], v[22:23]
	v_lshl_add_u64 v[28:29], v[8:9], 0, v[26:27]
	global_store_dwordx4 v[28:29], v[4:7], off
	s_lshl_b64 s[2:3], s[22:23], 8
	v_lshl_add_u64 v[8:9], v[8:9], 0, s[2:3]
	v_mul_f64 v[4:5], s[40:41], v[16:17]
	v_mul_f64 v[6:7], s[38:39], v[16:17]
	v_fma_f64 v[4:5], s[38:39], v[14:15], -v[4:5]
	v_fmac_f64_e32 v[6:7], s[40:41], v[14:15]
	global_store_dwordx4 v[28:29], v[4:7], off offset:256
	v_lshl_add_u64 v[8:9], v[8:9], 0, v[26:27]
	s_mov_b64 s[2:3], 0x100
	v_mul_f64 v[4:5], s[40:41], v[20:21]
	v_mul_f64 v[6:7], s[38:39], v[20:21]
	v_fma_f64 v[4:5], s[38:39], v[18:19], -v[4:5]
	v_fmac_f64_e32 v[6:7], s[40:41], v[18:19]
	global_store_dwordx4 v[8:9], v[4:7], off
	s_nop 1
	v_mul_f64 v[4:5], s[40:41], v[12:13]
	v_fma_f64 v[26:27], s[38:39], v[10:11], -v[4:5]
	v_mul_f64 v[4:5], s[38:39], v[12:13]
	v_fmac_f64_e32 v[4:5], s[40:41], v[10:11]
	v_lshl_add_u64 v[6:7], v[8:9], 0, s[2:3]
	global_store_dwordx2 v[8:9], v[26:27], off offset:256
	s_andn2_b64 vcc, exec, s[6:7]
	s_cbranch_vccz .LBB128_7
	s_branch .LBB128_8
.LBB128_6:
                                        ; implicit-def: $vgpr4_vgpr5
                                        ; implicit-def: $vgpr6_vgpr7
.LBB128_7:
	s_mul_i32 s2, s19, s4
	s_mul_hi_u32 s3, s18, s4
	s_add_i32 s3, s3, s2
	s_mul_i32 s2, s18, s4
	s_lshl_b64 s[2:3], s[2:3], 4
	s_add_u32 s2, s14, s2
	v_mul_lo_u32 v6, v3, s16
	v_mul_lo_u32 v7, v2, s17
	v_mad_u64_u32 v[4:5], s[4:5], v2, s16, 0
	s_addc_u32 s3, s15, s3
	v_add3_u32 v5, v5, v7, v6
	v_lshl_add_u64 v[8:9], v[4:5], 4, s[2:3]
	v_lshlrev_b64 v[26:27], 4, v[0:1]
	v_lshl_add_u64 v[28:29], v[8:9], 0, v[26:27]
	global_load_dwordx4 v[4:7], v[28:29], off
	v_mul_lo_u32 v30, v3, s22
	v_mul_lo_u32 v31, v2, s23
	v_mad_u64_u32 v[0:1], s[2:3], v2, s22, 0
	v_mul_f64 v[2:3], s[40:41], v[24:25]
	v_mul_f64 v[24:25], s[38:39], v[24:25]
	v_add3_u32 v1, v1, v31, v30
	v_fma_f64 v[2:3], s[38:39], v[22:23], -v[2:3]
	v_fmac_f64_e32 v[24:25], s[40:41], v[22:23]
	v_lshl_add_u64 v[22:23], v[0:1], 4, s[0:1]
	v_lshl_add_u64 v[30:31], v[22:23], 0, v[26:27]
	s_lshl_b64 s[0:1], s[16:17], 8
	v_lshl_add_u64 v[8:9], v[8:9], 0, s[0:1]
	v_lshl_add_u64 v[8:9], v[8:9], 0, v[26:27]
	s_lshl_b64 s[0:1], s[22:23], 8
	s_waitcnt vmcnt(0)
	v_mul_f64 v[0:1], s[12:13], v[6:7]
	v_mul_f64 v[6:7], s[10:11], v[6:7]
	v_fma_f64 v[0:1], s[10:11], v[4:5], -v[0:1]
	v_fmac_f64_e32 v[6:7], s[12:13], v[4:5]
	v_add_f64 v[0:1], v[2:3], v[0:1]
	v_add_f64 v[2:3], v[24:25], v[6:7]
	global_store_dwordx4 v[30:31], v[0:3], off
	global_load_dwordx4 v[0:3], v[28:29], off offset:256
	v_mul_f64 v[4:5], s[40:41], v[16:17]
	v_mul_f64 v[6:7], s[38:39], v[16:17]
	v_fma_f64 v[4:5], s[38:39], v[14:15], -v[4:5]
	v_fmac_f64_e32 v[6:7], s[40:41], v[14:15]
	s_waitcnt vmcnt(0)
	v_mul_f64 v[14:15], s[12:13], v[2:3]
	v_mul_f64 v[2:3], s[10:11], v[2:3]
	v_fma_f64 v[14:15], s[10:11], v[0:1], -v[14:15]
	v_fmac_f64_e32 v[2:3], s[12:13], v[0:1]
	v_add_f64 v[0:1], v[4:5], v[14:15]
	v_add_f64 v[2:3], v[6:7], v[2:3]
	global_store_dwordx4 v[30:31], v[0:3], off offset:256
	global_load_dwordx4 v[0:3], v[8:9], off
	v_mul_f64 v[4:5], s[40:41], v[20:21]
	v_mul_f64 v[6:7], s[38:39], v[20:21]
	v_fma_f64 v[4:5], s[38:39], v[18:19], -v[4:5]
	v_fmac_f64_e32 v[6:7], s[40:41], v[18:19]
	v_lshl_add_u64 v[14:15], v[22:23], 0, s[0:1]
	v_lshl_add_u64 v[14:15], v[14:15], 0, v[26:27]
	s_mov_b64 s[0:1], 0x100
	s_waitcnt vmcnt(0)
	v_mul_f64 v[16:17], s[12:13], v[2:3]
	v_mul_f64 v[2:3], s[10:11], v[2:3]
	v_fma_f64 v[16:17], s[10:11], v[0:1], -v[16:17]
	v_fmac_f64_e32 v[2:3], s[12:13], v[0:1]
	v_add_f64 v[0:1], v[4:5], v[16:17]
	v_add_f64 v[2:3], v[6:7], v[2:3]
	global_store_dwordx4 v[14:15], v[0:3], off
	global_load_dwordx4 v[0:3], v[8:9], off offset:256
	v_mul_f64 v[4:5], s[40:41], v[12:13]
	v_mul_f64 v[6:7], s[38:39], v[12:13]
	v_fma_f64 v[4:5], s[38:39], v[10:11], -v[4:5]
	v_fmac_f64_e32 v[6:7], s[40:41], v[10:11]
	s_waitcnt vmcnt(0)
	v_mul_f64 v[8:9], s[12:13], v[2:3]
	v_mul_f64 v[2:3], s[10:11], v[2:3]
	v_fma_f64 v[8:9], s[10:11], v[0:1], -v[8:9]
	v_fmac_f64_e32 v[2:3], s[12:13], v[0:1]
	v_add_f64 v[0:1], v[4:5], v[8:9]
	v_add_f64 v[4:5], v[6:7], v[2:3]
	v_lshl_add_u64 v[6:7], v[14:15], 0, s[0:1]
	global_store_dwordx2 v[14:15], v[0:1], off offset:256
.LBB128_8:
	global_store_dwordx2 v[6:7], v[4:5], off offset:8
	s_endpgm
	.section	.rodata,"a",@progbits
	.p2align	6, 0x0
	.amdhsa_kernel _ZN12_GLOBAL__N_127rocblas_gemm_batched_kernelI19rocblas_complex_numIdELi16ELi16ELi32ELi32ELi8ELi32ELi8ELi8ELi32ELc84ELc78EKS2_S3_S2_EEvlllT_PT11_llS6_llS4_PT12_llPT13_lli
		.amdhsa_group_segment_fixed_size 8192
		.amdhsa_private_segment_fixed_size 0
		.amdhsa_kernarg_size 156
		.amdhsa_user_sgpr_count 2
		.amdhsa_user_sgpr_dispatch_ptr 0
		.amdhsa_user_sgpr_queue_ptr 0
		.amdhsa_user_sgpr_kernarg_segment_ptr 1
		.amdhsa_user_sgpr_dispatch_id 0
		.amdhsa_user_sgpr_kernarg_preload_length 0
		.amdhsa_user_sgpr_kernarg_preload_offset 0
		.amdhsa_user_sgpr_private_segment_size 0
		.amdhsa_uses_dynamic_stack 0
		.amdhsa_enable_private_segment 0
		.amdhsa_system_sgpr_workgroup_id_x 1
		.amdhsa_system_sgpr_workgroup_id_y 1
		.amdhsa_system_sgpr_workgroup_id_z 1
		.amdhsa_system_sgpr_workgroup_info 0
		.amdhsa_system_vgpr_workitem_id 1
		.amdhsa_next_free_vgpr 56
		.amdhsa_next_free_sgpr 52
		.amdhsa_accum_offset 56
		.amdhsa_reserve_vcc 1
		.amdhsa_float_round_mode_32 0
		.amdhsa_float_round_mode_16_64 0
		.amdhsa_float_denorm_mode_32 3
		.amdhsa_float_denorm_mode_16_64 3
		.amdhsa_dx10_clamp 1
		.amdhsa_ieee_mode 1
		.amdhsa_fp16_overflow 0
		.amdhsa_tg_split 0
		.amdhsa_exception_fp_ieee_invalid_op 0
		.amdhsa_exception_fp_denorm_src 0
		.amdhsa_exception_fp_ieee_div_zero 0
		.amdhsa_exception_fp_ieee_overflow 0
		.amdhsa_exception_fp_ieee_underflow 0
		.amdhsa_exception_fp_ieee_inexact 0
		.amdhsa_exception_int_div_zero 0
	.end_amdhsa_kernel
	.section	.text._ZN12_GLOBAL__N_127rocblas_gemm_batched_kernelI19rocblas_complex_numIdELi16ELi16ELi32ELi32ELi8ELi32ELi8ELi8ELi32ELc84ELc78EKS2_S3_S2_EEvlllT_PT11_llS6_llS4_PT12_llPT13_lli,"axG",@progbits,_ZN12_GLOBAL__N_127rocblas_gemm_batched_kernelI19rocblas_complex_numIdELi16ELi16ELi32ELi32ELi8ELi32ELi8ELi8ELi32ELc84ELc78EKS2_S3_S2_EEvlllT_PT11_llS6_llS4_PT12_llPT13_lli,comdat
.Lfunc_end128:
	.size	_ZN12_GLOBAL__N_127rocblas_gemm_batched_kernelI19rocblas_complex_numIdELi16ELi16ELi32ELi32ELi8ELi32ELi8ELi8ELi32ELc84ELc78EKS2_S3_S2_EEvlllT_PT11_llS6_llS4_PT12_llPT13_lli, .Lfunc_end128-_ZN12_GLOBAL__N_127rocblas_gemm_batched_kernelI19rocblas_complex_numIdELi16ELi16ELi32ELi32ELi8ELi32ELi8ELi8ELi32ELc84ELc78EKS2_S3_S2_EEvlllT_PT11_llS6_llS4_PT12_llPT13_lli
                                        ; -- End function
	.set _ZN12_GLOBAL__N_127rocblas_gemm_batched_kernelI19rocblas_complex_numIdELi16ELi16ELi32ELi32ELi8ELi32ELi8ELi8ELi32ELc84ELc78EKS2_S3_S2_EEvlllT_PT11_llS6_llS4_PT12_llPT13_lli.num_vgpr, 56
	.set _ZN12_GLOBAL__N_127rocblas_gemm_batched_kernelI19rocblas_complex_numIdELi16ELi16ELi32ELi32ELi8ELi32ELi8ELi8ELi32ELc84ELc78EKS2_S3_S2_EEvlllT_PT11_llS6_llS4_PT12_llPT13_lli.num_agpr, 0
	.set _ZN12_GLOBAL__N_127rocblas_gemm_batched_kernelI19rocblas_complex_numIdELi16ELi16ELi32ELi32ELi8ELi32ELi8ELi8ELi32ELc84ELc78EKS2_S3_S2_EEvlllT_PT11_llS6_llS4_PT12_llPT13_lli.numbered_sgpr, 52
	.set _ZN12_GLOBAL__N_127rocblas_gemm_batched_kernelI19rocblas_complex_numIdELi16ELi16ELi32ELi32ELi8ELi32ELi8ELi8ELi32ELc84ELc78EKS2_S3_S2_EEvlllT_PT11_llS6_llS4_PT12_llPT13_lli.num_named_barrier, 0
	.set _ZN12_GLOBAL__N_127rocblas_gemm_batched_kernelI19rocblas_complex_numIdELi16ELi16ELi32ELi32ELi8ELi32ELi8ELi8ELi32ELc84ELc78EKS2_S3_S2_EEvlllT_PT11_llS6_llS4_PT12_llPT13_lli.private_seg_size, 0
	.set _ZN12_GLOBAL__N_127rocblas_gemm_batched_kernelI19rocblas_complex_numIdELi16ELi16ELi32ELi32ELi8ELi32ELi8ELi8ELi32ELc84ELc78EKS2_S3_S2_EEvlllT_PT11_llS6_llS4_PT12_llPT13_lli.uses_vcc, 1
	.set _ZN12_GLOBAL__N_127rocblas_gemm_batched_kernelI19rocblas_complex_numIdELi16ELi16ELi32ELi32ELi8ELi32ELi8ELi8ELi32ELc84ELc78EKS2_S3_S2_EEvlllT_PT11_llS6_llS4_PT12_llPT13_lli.uses_flat_scratch, 0
	.set _ZN12_GLOBAL__N_127rocblas_gemm_batched_kernelI19rocblas_complex_numIdELi16ELi16ELi32ELi32ELi8ELi32ELi8ELi8ELi32ELc84ELc78EKS2_S3_S2_EEvlllT_PT11_llS6_llS4_PT12_llPT13_lli.has_dyn_sized_stack, 0
	.set _ZN12_GLOBAL__N_127rocblas_gemm_batched_kernelI19rocblas_complex_numIdELi16ELi16ELi32ELi32ELi8ELi32ELi8ELi8ELi32ELc84ELc78EKS2_S3_S2_EEvlllT_PT11_llS6_llS4_PT12_llPT13_lli.has_recursion, 0
	.set _ZN12_GLOBAL__N_127rocblas_gemm_batched_kernelI19rocblas_complex_numIdELi16ELi16ELi32ELi32ELi8ELi32ELi8ELi8ELi32ELc84ELc78EKS2_S3_S2_EEvlllT_PT11_llS6_llS4_PT12_llPT13_lli.has_indirect_call, 0
	.section	.AMDGPU.csdata,"",@progbits
; Kernel info:
; codeLenInByte = 3184
; TotalNumSgprs: 58
; NumVgprs: 56
; NumAgprs: 0
; TotalNumVgprs: 56
; ScratchSize: 0
; MemoryBound: 0
; FloatMode: 240
; IeeeMode: 1
; LDSByteSize: 8192 bytes/workgroup (compile time only)
; SGPRBlocks: 7
; VGPRBlocks: 6
; NumSGPRsForWavesPerEU: 58
; NumVGPRsForWavesPerEU: 56
; AccumOffset: 56
; Occupancy: 8
; WaveLimiterHint : 1
; COMPUTE_PGM_RSRC2:SCRATCH_EN: 0
; COMPUTE_PGM_RSRC2:USER_SGPR: 2
; COMPUTE_PGM_RSRC2:TRAP_HANDLER: 0
; COMPUTE_PGM_RSRC2:TGID_X_EN: 1
; COMPUTE_PGM_RSRC2:TGID_Y_EN: 1
; COMPUTE_PGM_RSRC2:TGID_Z_EN: 1
; COMPUTE_PGM_RSRC2:TIDIG_COMP_CNT: 1
; COMPUTE_PGM_RSRC3_GFX90A:ACCUM_OFFSET: 13
; COMPUTE_PGM_RSRC3_GFX90A:TG_SPLIT: 0
	.section	.text._ZN12_GLOBAL__N_127rocblas_gemm_batched_kernelI19rocblas_complex_numIdELi16ELi16ELi32ELi32ELi8ELi32ELi8ELi8ELi32ELc78ELc84EKS2_S3_S2_EEvlllT_PT11_llS6_llS4_PT12_llPT13_lli,"axG",@progbits,_ZN12_GLOBAL__N_127rocblas_gemm_batched_kernelI19rocblas_complex_numIdELi16ELi16ELi32ELi32ELi8ELi32ELi8ELi8ELi32ELc78ELc84EKS2_S3_S2_EEvlllT_PT11_llS6_llS4_PT12_llPT13_lli,comdat
	.globl	_ZN12_GLOBAL__N_127rocblas_gemm_batched_kernelI19rocblas_complex_numIdELi16ELi16ELi32ELi32ELi8ELi32ELi8ELi8ELi32ELc78ELc84EKS2_S3_S2_EEvlllT_PT11_llS6_llS4_PT12_llPT13_lli ; -- Begin function _ZN12_GLOBAL__N_127rocblas_gemm_batched_kernelI19rocblas_complex_numIdELi16ELi16ELi32ELi32ELi8ELi32ELi8ELi8ELi32ELc78ELc84EKS2_S3_S2_EEvlllT_PT11_llS6_llS4_PT12_llPT13_lli
	.p2align	8
	.type	_ZN12_GLOBAL__N_127rocblas_gemm_batched_kernelI19rocblas_complex_numIdELi16ELi16ELi32ELi32ELi8ELi32ELi8ELi8ELi32ELc78ELc84EKS2_S3_S2_EEvlllT_PT11_llS6_llS4_PT12_llPT13_lli,@function
_ZN12_GLOBAL__N_127rocblas_gemm_batched_kernelI19rocblas_complex_numIdELi16ELi16ELi32ELi32ELi8ELi32ELi8ELi8ELi32ELc78ELc84EKS2_S3_S2_EEvlllT_PT11_llS6_llS4_PT12_llPT13_lli: ; @_ZN12_GLOBAL__N_127rocblas_gemm_batched_kernelI19rocblas_complex_numIdELi16ELi16ELi32ELi32ELi8ELi32ELi8ELi8ELi32ELc78ELc84EKS2_S3_S2_EEvlllT_PT11_llS6_llS4_PT12_llPT13_lli
; %bb.0:
	s_load_dwordx16 s[36:51], s[0:1], 0x10
	s_load_dwordx16 s[8:23], s[0:1], 0x50
	s_mov_b32 s6, s3
	v_mov_b32_e32 v3, 0
	s_ashr_i32 s3, s2, 31
	s_ashr_i32 s7, s6, 31
	s_waitcnt lgkmcnt(0)
	v_cmp_lt_i64_e64 s[24:25], s[36:37], 1
	v_bfe_u32 v2, v0, 10, 10
	v_and_b32_e32 v0, 0x3ff, v0
	v_mov_b32_e32 v1, v3
	s_lshl_b64 s[2:3], s[2:3], 5
	s_lshl_b64 s[6:7], s[6:7], 5
	s_and_b64 vcc, exec, s[24:25]
	s_cbranch_vccnz .LBB129_3
; %bb.1:
	v_lshl_add_u32 v10, v2, 4, v0
	v_lshrrev_b32_e32 v4, 3, v10
	v_mov_b32_e32 v5, v3
	v_lshl_add_u64 v[6:7], v[4:5], 0, s[6:7]
	v_and_b32_e32 v5, 7, v0
	v_mad_u64_u32 v[6:7], s[24:25], s50, v5, v[6:7]
	v_mov_b32_e32 v8, v7
	v_mad_u64_u32 v[8:9], s[24:25], s51, v5, v[8:9]
	v_lshlrev_b32_e32 v5, 4, v5
	v_lshl_or_b32 v4, v4, 7, v5
	v_add_u32_e32 v27, 0x1000, v4
	v_mov_b32_e32 v4, 0x1000
	v_mov_b32_e32 v7, v8
	v_and_b32_e32 v8, 31, v10
	v_lshrrev_b32_e32 v11, 5, v10
	v_lshl_add_u32 v29, v2, 7, v4
	v_mov_b64_e32 v[4:5], s[2:3]
	v_lshlrev_b32_e32 v10, 4, v8
	s_mul_i32 s5, s47, s4
	s_mul_hi_u32 s24, s46, s4
	v_mad_u64_u32 v[4:5], s[26:27], s44, v11, v[4:5]
	v_lshl_or_b32 v26, v11, 9, v10
	s_add_i32 s25, s24, s5
	s_mul_i32 s24, s46, s4
	v_mov_b32_e32 v10, v5
	s_lshl_b64 s[24:25], s[24:25], 4
	v_mad_u64_u32 v[10:11], s[26:27], s45, v11, v[10:11]
	v_mov_b32_e32 v9, v3
	v_mov_b32_e32 v5, v10
	s_add_u32 s24, s42, s24
	s_mul_i32 s5, s9, s4
	s_mul_hi_u32 s9, s8, s4
	v_lshl_add_u64 v[4:5], v[4:5], 0, v[8:9]
	s_addc_u32 s25, s43, s25
	s_add_i32 s9, s9, s5
	s_mul_i32 s8, s8, s4
	v_lshl_add_u64 v[4:5], v[4:5], 4, s[24:25]
	s_lshl_b64 s[24:25], s[44:45], 7
	s_lshl_b64 s[8:9], s[8:9], 4
	s_add_u32 s8, s48, s8
	s_addc_u32 s9, s49, s9
	v_lshlrev_b32_e32 v28, 4, v0
	v_lshl_add_u64 v[6:7], v[6:7], 4, s[8:9]
	s_lshl_b64 s[8:9], s[50:51], 7
	s_mov_b64 s[26:27], 0
	v_mov_b64_e32 v[12:13], 0
	v_mov_b64_e32 v[8:9], s[36:37]
	;; [unrolled: 1-line block ×9, first 2 shown]
.LBB129_2:                              ; =>This Inner Loop Header: Depth=1
	global_load_dwordx4 v[30:33], v[4:5], off
	s_add_u32 s26, s26, 8
	s_addc_u32 s27, s27, 0
	v_cmp_lt_i64_e32 vcc, s[26:27], v[8:9]
	v_lshl_add_u64 v[4:5], v[4:5], 0, s[24:25]
	s_and_b64 vcc, exec, vcc
	s_waitcnt vmcnt(0)
	ds_write2_b64 v26, v[30:31], v[32:33] offset1:1
	global_load_dwordx4 v[30:33], v[6:7], off
	v_lshl_add_u64 v[6:7], v[6:7], 0, s[8:9]
	s_waitcnt vmcnt(0)
	ds_write2_b64 v27, v[30:31], v[32:33] offset1:1
	s_waitcnt lgkmcnt(0)
	s_barrier
	ds_read_b128 v[30:33], v29
	ds_read_b128 v[34:37], v29 offset:16
	ds_read_b128 v[38:41], v29 offset:32
	;; [unrolled: 1-line block ×3, first 2 shown]
	ds_read_b128 v[46:49], v28
	s_waitcnt lgkmcnt(0)
	v_mul_f64 v[50:51], v[32:33], v[48:49]
	v_mul_f64 v[52:53], v[30:31], v[48:49]
	v_fma_f64 v[50:51], v[30:31], v[46:47], -v[50:51]
	v_fmac_f64_e32 v[52:53], v[32:33], v[46:47]
	v_add_f64 v[50:51], v[22:23], v[50:51]
	v_add_f64 v[52:53], v[52:53], v[24:25]
	ds_read_b128 v[22:25], v28 offset:256
	s_waitcnt lgkmcnt(0)
	v_mul_f64 v[54:55], v[32:33], v[24:25]
	v_fma_f64 v[54:55], v[30:31], v[22:23], -v[54:55]
	v_mul_f64 v[30:31], v[30:31], v[24:25]
	v_fmac_f64_e32 v[30:31], v[32:33], v[22:23]
	v_add_f64 v[32:33], v[14:15], v[54:55]
	v_add_f64 v[30:31], v[30:31], v[16:17]
	ds_read_b128 v[14:17], v29 offset:2048
	s_waitcnt lgkmcnt(0)
	v_mul_f64 v[54:55], v[16:17], v[48:49]
	v_fma_f64 v[54:55], v[14:15], v[46:47], -v[54:55]
	v_mul_f64 v[48:49], v[14:15], v[48:49]
	v_fmac_f64_e32 v[48:49], v[16:17], v[46:47]
	v_add_f64 v[46:47], v[18:19], v[54:55]
	v_mul_f64 v[18:19], v[16:17], v[24:25]
	v_fma_f64 v[18:19], v[14:15], v[22:23], -v[18:19]
	v_mul_f64 v[14:15], v[14:15], v[24:25]
	v_fmac_f64_e32 v[14:15], v[16:17], v[22:23]
	v_add_f64 v[22:23], v[10:11], v[18:19]
	v_add_f64 v[24:25], v[14:15], v[12:13]
	ds_read_b128 v[10:13], v28 offset:512
	v_add_f64 v[48:49], v[48:49], v[20:21]
	s_waitcnt lgkmcnt(0)
	v_mul_f64 v[14:15], v[36:37], v[12:13]
	v_mul_f64 v[16:17], v[34:35], v[12:13]
	v_fma_f64 v[14:15], v[34:35], v[10:11], -v[14:15]
	v_fmac_f64_e32 v[16:17], v[36:37], v[10:11]
	v_add_f64 v[50:51], v[50:51], v[14:15]
	v_add_f64 v[52:53], v[16:17], v[52:53]
	ds_read_b128 v[14:17], v28 offset:768
	s_waitcnt lgkmcnt(0)
	v_mul_f64 v[18:19], v[36:37], v[16:17]
	v_mul_f64 v[20:21], v[34:35], v[16:17]
	v_fma_f64 v[18:19], v[34:35], v[14:15], -v[18:19]
	v_fmac_f64_e32 v[20:21], v[36:37], v[14:15]
	v_add_f64 v[32:33], v[32:33], v[18:19]
	v_add_f64 v[30:31], v[20:21], v[30:31]
	ds_read_b128 v[18:21], v29 offset:2064
	s_waitcnt lgkmcnt(0)
	v_mul_f64 v[34:35], v[20:21], v[12:13]
	v_mul_f64 v[12:13], v[18:19], v[12:13]
	v_fmac_f64_e32 v[12:13], v[20:21], v[10:11]
	v_fma_f64 v[34:35], v[18:19], v[10:11], -v[34:35]
	v_add_f64 v[36:37], v[12:13], v[48:49]
	v_mul_f64 v[10:11], v[20:21], v[16:17]
	v_mul_f64 v[12:13], v[18:19], v[16:17]
	v_fma_f64 v[10:11], v[18:19], v[14:15], -v[10:11]
	v_fmac_f64_e32 v[12:13], v[20:21], v[14:15]
	v_add_f64 v[22:23], v[22:23], v[10:11]
	v_add_f64 v[24:25], v[12:13], v[24:25]
	ds_read_b128 v[10:13], v28 offset:1024
	v_add_f64 v[34:35], v[46:47], v[34:35]
	s_waitcnt lgkmcnt(0)
	v_mul_f64 v[14:15], v[40:41], v[12:13]
	v_mul_f64 v[16:17], v[38:39], v[12:13]
	v_fma_f64 v[14:15], v[38:39], v[10:11], -v[14:15]
	v_fmac_f64_e32 v[16:17], v[40:41], v[10:11]
	v_add_f64 v[46:47], v[50:51], v[14:15]
	v_add_f64 v[48:49], v[16:17], v[52:53]
	ds_read_b128 v[14:17], v28 offset:1280
	s_waitcnt lgkmcnt(0)
	v_mul_f64 v[18:19], v[40:41], v[16:17]
	v_mul_f64 v[20:21], v[38:39], v[16:17]
	v_fma_f64 v[18:19], v[38:39], v[14:15], -v[18:19]
	v_fmac_f64_e32 v[20:21], v[40:41], v[14:15]
	v_add_f64 v[32:33], v[32:33], v[18:19]
	v_add_f64 v[30:31], v[20:21], v[30:31]
	ds_read_b128 v[18:21], v29 offset:2080
	s_waitcnt lgkmcnt(0)
	v_mul_f64 v[38:39], v[20:21], v[12:13]
	v_mul_f64 v[12:13], v[18:19], v[12:13]
	v_fmac_f64_e32 v[12:13], v[20:21], v[10:11]
	v_fma_f64 v[38:39], v[18:19], v[10:11], -v[38:39]
	v_add_f64 v[36:37], v[12:13], v[36:37]
	v_mul_f64 v[10:11], v[20:21], v[16:17]
	v_mul_f64 v[12:13], v[18:19], v[16:17]
	v_fma_f64 v[10:11], v[18:19], v[14:15], -v[10:11]
	;; [unrolled: 30-line block ×3, first 2 shown]
	v_fmac_f64_e32 v[12:13], v[20:21], v[14:15]
	v_add_f64 v[22:23], v[22:23], v[10:11]
	v_add_f64 v[24:25], v[12:13], v[24:25]
	ds_read_b128 v[10:13], v29 offset:64
	ds_read_b128 v[14:17], v28 offset:2048
	v_add_f64 v[34:35], v[34:35], v[42:43]
	s_waitcnt lgkmcnt(0)
	v_mul_f64 v[18:19], v[12:13], v[16:17]
	v_mul_f64 v[20:21], v[10:11], v[16:17]
	v_fma_f64 v[18:19], v[10:11], v[14:15], -v[18:19]
	v_fmac_f64_e32 v[20:21], v[12:13], v[14:15]
	v_add_f64 v[38:39], v[38:39], v[18:19]
	v_add_f64 v[40:41], v[20:21], v[40:41]
	ds_read_b128 v[18:21], v28 offset:2304
	s_waitcnt lgkmcnt(0)
	v_mul_f64 v[42:43], v[12:13], v[20:21]
	v_fma_f64 v[42:43], v[10:11], v[18:19], -v[42:43]
	v_mul_f64 v[10:11], v[10:11], v[20:21]
	v_fmac_f64_e32 v[10:11], v[12:13], v[18:19]
	v_add_f64 v[30:31], v[10:11], v[30:31]
	ds_read_b128 v[10:13], v29 offset:2112
	v_add_f64 v[32:33], v[32:33], v[42:43]
	s_waitcnt lgkmcnt(0)
	v_mul_f64 v[42:43], v[12:13], v[16:17]
	v_mul_f64 v[16:17], v[10:11], v[16:17]
	v_fma_f64 v[42:43], v[10:11], v[14:15], -v[42:43]
	v_fmac_f64_e32 v[16:17], v[12:13], v[14:15]
	v_mul_f64 v[14:15], v[12:13], v[20:21]
	v_fma_f64 v[14:15], v[10:11], v[18:19], -v[14:15]
	v_mul_f64 v[10:11], v[10:11], v[20:21]
	v_fmac_f64_e32 v[10:11], v[12:13], v[18:19]
	v_add_f64 v[36:37], v[16:17], v[36:37]
	v_add_f64 v[22:23], v[22:23], v[14:15]
	v_add_f64 v[24:25], v[10:11], v[24:25]
	ds_read_b128 v[10:13], v29 offset:80
	ds_read_b128 v[14:17], v28 offset:2560
	v_add_f64 v[34:35], v[34:35], v[42:43]
	s_waitcnt lgkmcnt(0)
	v_mul_f64 v[18:19], v[12:13], v[16:17]
	v_mul_f64 v[20:21], v[10:11], v[16:17]
	v_fma_f64 v[18:19], v[10:11], v[14:15], -v[18:19]
	v_fmac_f64_e32 v[20:21], v[12:13], v[14:15]
	v_add_f64 v[38:39], v[38:39], v[18:19]
	v_add_f64 v[40:41], v[20:21], v[40:41]
	ds_read_b128 v[18:21], v28 offset:2816
	s_waitcnt lgkmcnt(0)
	v_mul_f64 v[42:43], v[12:13], v[20:21]
	v_fma_f64 v[42:43], v[10:11], v[18:19], -v[42:43]
	v_mul_f64 v[10:11], v[10:11], v[20:21]
	v_fmac_f64_e32 v[10:11], v[12:13], v[18:19]
	v_add_f64 v[30:31], v[10:11], v[30:31]
	ds_read_b128 v[10:13], v29 offset:2128
	v_add_f64 v[32:33], v[32:33], v[42:43]
	s_waitcnt lgkmcnt(0)
	v_mul_f64 v[42:43], v[12:13], v[16:17]
	v_mul_f64 v[16:17], v[10:11], v[16:17]
	v_fma_f64 v[42:43], v[10:11], v[14:15], -v[42:43]
	v_fmac_f64_e32 v[16:17], v[12:13], v[14:15]
	v_mul_f64 v[14:15], v[12:13], v[20:21]
	v_fma_f64 v[14:15], v[10:11], v[18:19], -v[14:15]
	v_mul_f64 v[10:11], v[10:11], v[20:21]
	v_fmac_f64_e32 v[10:11], v[12:13], v[18:19]
	v_add_f64 v[36:37], v[16:17], v[36:37]
	;; [unrolled: 31-line block ×3, first 2 shown]
	ds_read_b128 v[10:13], v29 offset:112
	ds_read_b128 v[18:21], v28 offset:3584
	v_add_f64 v[34:35], v[34:35], v[30:31]
	ds_read_b128 v[30:33], v28 offset:3840
	v_add_f64 v[46:47], v[22:23], v[14:15]
	v_add_f64 v[36:37], v[16:17], v[36:37]
	s_waitcnt lgkmcnt(1)
	v_mul_f64 v[14:15], v[12:13], v[20:21]
	v_fma_f64 v[14:15], v[10:11], v[18:19], -v[14:15]
	v_add_f64 v[22:23], v[38:39], v[14:15]
	s_waitcnt lgkmcnt(0)
	v_mul_f64 v[14:15], v[12:13], v[32:33]
	v_mul_f64 v[16:17], v[10:11], v[20:21]
	v_fma_f64 v[14:15], v[10:11], v[30:31], -v[14:15]
	v_mul_f64 v[10:11], v[10:11], v[32:33]
	v_fmac_f64_e32 v[16:17], v[12:13], v[18:19]
	v_fmac_f64_e32 v[10:11], v[12:13], v[30:31]
	v_add_f64 v[24:25], v[16:17], v[40:41]
	v_add_f64 v[16:17], v[10:11], v[44:45]
	ds_read_b128 v[10:13], v29 offset:2160
	v_add_f64 v[14:15], v[42:43], v[14:15]
	s_waitcnt lgkmcnt(0)
	s_barrier
	v_mul_f64 v[38:39], v[12:13], v[20:21]
	v_fma_f64 v[38:39], v[10:11], v[18:19], -v[38:39]
	v_mul_f64 v[20:21], v[10:11], v[20:21]
	v_fmac_f64_e32 v[20:21], v[12:13], v[18:19]
	v_add_f64 v[18:19], v[34:35], v[38:39]
	v_mul_f64 v[34:35], v[12:13], v[32:33]
	v_mul_f64 v[32:33], v[10:11], v[32:33]
	v_fma_f64 v[34:35], v[10:11], v[30:31], -v[34:35]
	v_fmac_f64_e32 v[32:33], v[12:13], v[30:31]
	v_add_f64 v[20:21], v[20:21], v[36:37]
	v_add_f64 v[10:11], v[46:47], v[34:35]
	;; [unrolled: 1-line block ×3, first 2 shown]
	s_cbranch_vccnz .LBB129_2
	s_branch .LBB129_4
.LBB129_3:
	v_mov_b64_e32 v[22:23], 0
	v_mov_b64_e32 v[24:25], 0
	v_mov_b64_e32 v[14:15], 0
	v_mov_b64_e32 v[16:17], 0
	v_mov_b64_e32 v[18:19], 0
	v_mov_b64_e32 v[20:21], 0
	v_mov_b64_e32 v[10:11], 0
	v_mov_b64_e32 v[12:13], 0
.LBB129_4:
	s_load_dwordx2 s[0:1], s[0:1], 0x90
	v_cmp_neq_f64_e64 s[8:9], s[10:11], 0
	v_lshl_add_u64 v[2:3], s[6:7], 0, v[2:3]
	s_mov_b64 s[6:7], 0
	v_lshl_add_u64 v[0:1], s[2:3], 0, v[0:1]
	s_waitcnt lgkmcnt(0)
	s_mul_i32 s1, s1, s4
	s_mul_hi_u32 s5, s0, s4
	s_mul_i32 s0, s0, s4
	s_add_i32 s1, s5, s1
	s_lshl_b64 s[0:1], s[0:1], 4
	s_add_u32 s0, s20, s0
	s_addc_u32 s1, s21, s1
	v_cmp_neq_f64_e64 s[20:21], s[12:13], 0
	s_or_b64 s[8:9], s[8:9], s[20:21]
	s_and_b64 vcc, exec, s[8:9]
	s_cbranch_vccnz .LBB129_6
; %bb.5:
	v_mul_lo_u32 v6, v3, s22
	v_mul_lo_u32 v7, v2, s23
	v_mad_u64_u32 v[4:5], s[2:3], v2, s22, 0
	v_add3_u32 v5, v5, v7, v6
	v_lshl_add_u64 v[8:9], v[4:5], 4, s[0:1]
	v_mul_f64 v[4:5], s[40:41], v[24:25]
	v_mul_f64 v[6:7], s[38:39], v[24:25]
	v_lshlrev_b64 v[26:27], 4, v[0:1]
	v_fma_f64 v[4:5], s[38:39], v[22:23], -v[4:5]
	v_fmac_f64_e32 v[6:7], s[40:41], v[22:23]
	v_lshl_add_u64 v[28:29], v[8:9], 0, v[26:27]
	global_store_dwordx4 v[28:29], v[4:7], off
	s_lshl_b64 s[2:3], s[22:23], 8
	v_lshl_add_u64 v[8:9], v[8:9], 0, s[2:3]
	v_mul_f64 v[4:5], s[40:41], v[16:17]
	v_mul_f64 v[6:7], s[38:39], v[16:17]
	v_fma_f64 v[4:5], s[38:39], v[14:15], -v[4:5]
	v_fmac_f64_e32 v[6:7], s[40:41], v[14:15]
	global_store_dwordx4 v[28:29], v[4:7], off offset:256
	v_lshl_add_u64 v[8:9], v[8:9], 0, v[26:27]
	s_mov_b64 s[2:3], 0x100
	v_mul_f64 v[4:5], s[40:41], v[20:21]
	v_mul_f64 v[6:7], s[38:39], v[20:21]
	v_fma_f64 v[4:5], s[38:39], v[18:19], -v[4:5]
	v_fmac_f64_e32 v[6:7], s[40:41], v[18:19]
	global_store_dwordx4 v[8:9], v[4:7], off
	s_nop 1
	v_mul_f64 v[4:5], s[40:41], v[12:13]
	v_fma_f64 v[26:27], s[38:39], v[10:11], -v[4:5]
	v_mul_f64 v[4:5], s[38:39], v[12:13]
	v_fmac_f64_e32 v[4:5], s[40:41], v[10:11]
	v_lshl_add_u64 v[6:7], v[8:9], 0, s[2:3]
	global_store_dwordx2 v[8:9], v[26:27], off offset:256
	s_andn2_b64 vcc, exec, s[6:7]
	s_cbranch_vccz .LBB129_7
	s_branch .LBB129_8
.LBB129_6:
                                        ; implicit-def: $vgpr4_vgpr5
                                        ; implicit-def: $vgpr6_vgpr7
.LBB129_7:
	s_mul_i32 s2, s19, s4
	s_mul_hi_u32 s3, s18, s4
	s_add_i32 s3, s3, s2
	s_mul_i32 s2, s18, s4
	s_lshl_b64 s[2:3], s[2:3], 4
	s_add_u32 s2, s14, s2
	v_mul_lo_u32 v6, v3, s16
	v_mul_lo_u32 v7, v2, s17
	v_mad_u64_u32 v[4:5], s[4:5], v2, s16, 0
	s_addc_u32 s3, s15, s3
	v_add3_u32 v5, v5, v7, v6
	v_lshl_add_u64 v[8:9], v[4:5], 4, s[2:3]
	v_lshlrev_b64 v[26:27], 4, v[0:1]
	v_lshl_add_u64 v[28:29], v[8:9], 0, v[26:27]
	global_load_dwordx4 v[4:7], v[28:29], off
	v_mul_lo_u32 v30, v3, s22
	v_mul_lo_u32 v31, v2, s23
	v_mad_u64_u32 v[0:1], s[2:3], v2, s22, 0
	v_mul_f64 v[2:3], s[40:41], v[24:25]
	v_mul_f64 v[24:25], s[38:39], v[24:25]
	v_add3_u32 v1, v1, v31, v30
	v_fma_f64 v[2:3], s[38:39], v[22:23], -v[2:3]
	v_fmac_f64_e32 v[24:25], s[40:41], v[22:23]
	v_lshl_add_u64 v[22:23], v[0:1], 4, s[0:1]
	v_lshl_add_u64 v[30:31], v[22:23], 0, v[26:27]
	s_lshl_b64 s[0:1], s[16:17], 8
	v_lshl_add_u64 v[8:9], v[8:9], 0, s[0:1]
	v_lshl_add_u64 v[8:9], v[8:9], 0, v[26:27]
	s_lshl_b64 s[0:1], s[22:23], 8
	s_waitcnt vmcnt(0)
	v_mul_f64 v[0:1], s[12:13], v[6:7]
	v_mul_f64 v[6:7], s[10:11], v[6:7]
	v_fma_f64 v[0:1], s[10:11], v[4:5], -v[0:1]
	v_fmac_f64_e32 v[6:7], s[12:13], v[4:5]
	v_add_f64 v[0:1], v[2:3], v[0:1]
	v_add_f64 v[2:3], v[24:25], v[6:7]
	global_store_dwordx4 v[30:31], v[0:3], off
	global_load_dwordx4 v[0:3], v[28:29], off offset:256
	v_mul_f64 v[4:5], s[40:41], v[16:17]
	v_mul_f64 v[6:7], s[38:39], v[16:17]
	v_fma_f64 v[4:5], s[38:39], v[14:15], -v[4:5]
	v_fmac_f64_e32 v[6:7], s[40:41], v[14:15]
	s_waitcnt vmcnt(0)
	v_mul_f64 v[14:15], s[12:13], v[2:3]
	v_mul_f64 v[2:3], s[10:11], v[2:3]
	v_fma_f64 v[14:15], s[10:11], v[0:1], -v[14:15]
	v_fmac_f64_e32 v[2:3], s[12:13], v[0:1]
	v_add_f64 v[0:1], v[4:5], v[14:15]
	v_add_f64 v[2:3], v[6:7], v[2:3]
	global_store_dwordx4 v[30:31], v[0:3], off offset:256
	global_load_dwordx4 v[0:3], v[8:9], off
	v_mul_f64 v[4:5], s[40:41], v[20:21]
	v_mul_f64 v[6:7], s[38:39], v[20:21]
	v_fma_f64 v[4:5], s[38:39], v[18:19], -v[4:5]
	v_fmac_f64_e32 v[6:7], s[40:41], v[18:19]
	v_lshl_add_u64 v[14:15], v[22:23], 0, s[0:1]
	v_lshl_add_u64 v[14:15], v[14:15], 0, v[26:27]
	s_mov_b64 s[0:1], 0x100
	s_waitcnt vmcnt(0)
	v_mul_f64 v[16:17], s[12:13], v[2:3]
	v_mul_f64 v[2:3], s[10:11], v[2:3]
	v_fma_f64 v[16:17], s[10:11], v[0:1], -v[16:17]
	v_fmac_f64_e32 v[2:3], s[12:13], v[0:1]
	v_add_f64 v[0:1], v[4:5], v[16:17]
	v_add_f64 v[2:3], v[6:7], v[2:3]
	global_store_dwordx4 v[14:15], v[0:3], off
	global_load_dwordx4 v[0:3], v[8:9], off offset:256
	v_mul_f64 v[4:5], s[40:41], v[12:13]
	v_mul_f64 v[6:7], s[38:39], v[12:13]
	v_fma_f64 v[4:5], s[38:39], v[10:11], -v[4:5]
	v_fmac_f64_e32 v[6:7], s[40:41], v[10:11]
	s_waitcnt vmcnt(0)
	v_mul_f64 v[8:9], s[12:13], v[2:3]
	v_mul_f64 v[2:3], s[10:11], v[2:3]
	v_fma_f64 v[8:9], s[10:11], v[0:1], -v[8:9]
	v_fmac_f64_e32 v[2:3], s[12:13], v[0:1]
	v_add_f64 v[0:1], v[4:5], v[8:9]
	v_add_f64 v[4:5], v[6:7], v[2:3]
	v_lshl_add_u64 v[6:7], v[14:15], 0, s[0:1]
	global_store_dwordx2 v[14:15], v[0:1], off offset:256
.LBB129_8:
	global_store_dwordx2 v[6:7], v[4:5], off offset:8
	s_endpgm
	.section	.rodata,"a",@progbits
	.p2align	6, 0x0
	.amdhsa_kernel _ZN12_GLOBAL__N_127rocblas_gemm_batched_kernelI19rocblas_complex_numIdELi16ELi16ELi32ELi32ELi8ELi32ELi8ELi8ELi32ELc78ELc84EKS2_S3_S2_EEvlllT_PT11_llS6_llS4_PT12_llPT13_lli
		.amdhsa_group_segment_fixed_size 8192
		.amdhsa_private_segment_fixed_size 0
		.amdhsa_kernarg_size 156
		.amdhsa_user_sgpr_count 2
		.amdhsa_user_sgpr_dispatch_ptr 0
		.amdhsa_user_sgpr_queue_ptr 0
		.amdhsa_user_sgpr_kernarg_segment_ptr 1
		.amdhsa_user_sgpr_dispatch_id 0
		.amdhsa_user_sgpr_kernarg_preload_length 0
		.amdhsa_user_sgpr_kernarg_preload_offset 0
		.amdhsa_user_sgpr_private_segment_size 0
		.amdhsa_uses_dynamic_stack 0
		.amdhsa_enable_private_segment 0
		.amdhsa_system_sgpr_workgroup_id_x 1
		.amdhsa_system_sgpr_workgroup_id_y 1
		.amdhsa_system_sgpr_workgroup_id_z 1
		.amdhsa_system_sgpr_workgroup_info 0
		.amdhsa_system_vgpr_workitem_id 1
		.amdhsa_next_free_vgpr 56
		.amdhsa_next_free_sgpr 52
		.amdhsa_accum_offset 56
		.amdhsa_reserve_vcc 1
		.amdhsa_float_round_mode_32 0
		.amdhsa_float_round_mode_16_64 0
		.amdhsa_float_denorm_mode_32 3
		.amdhsa_float_denorm_mode_16_64 3
		.amdhsa_dx10_clamp 1
		.amdhsa_ieee_mode 1
		.amdhsa_fp16_overflow 0
		.amdhsa_tg_split 0
		.amdhsa_exception_fp_ieee_invalid_op 0
		.amdhsa_exception_fp_denorm_src 0
		.amdhsa_exception_fp_ieee_div_zero 0
		.amdhsa_exception_fp_ieee_overflow 0
		.amdhsa_exception_fp_ieee_underflow 0
		.amdhsa_exception_fp_ieee_inexact 0
		.amdhsa_exception_int_div_zero 0
	.end_amdhsa_kernel
	.section	.text._ZN12_GLOBAL__N_127rocblas_gemm_batched_kernelI19rocblas_complex_numIdELi16ELi16ELi32ELi32ELi8ELi32ELi8ELi8ELi32ELc78ELc84EKS2_S3_S2_EEvlllT_PT11_llS6_llS4_PT12_llPT13_lli,"axG",@progbits,_ZN12_GLOBAL__N_127rocblas_gemm_batched_kernelI19rocblas_complex_numIdELi16ELi16ELi32ELi32ELi8ELi32ELi8ELi8ELi32ELc78ELc84EKS2_S3_S2_EEvlllT_PT11_llS6_llS4_PT12_llPT13_lli,comdat
.Lfunc_end129:
	.size	_ZN12_GLOBAL__N_127rocblas_gemm_batched_kernelI19rocblas_complex_numIdELi16ELi16ELi32ELi32ELi8ELi32ELi8ELi8ELi32ELc78ELc84EKS2_S3_S2_EEvlllT_PT11_llS6_llS4_PT12_llPT13_lli, .Lfunc_end129-_ZN12_GLOBAL__N_127rocblas_gemm_batched_kernelI19rocblas_complex_numIdELi16ELi16ELi32ELi32ELi8ELi32ELi8ELi8ELi32ELc78ELc84EKS2_S3_S2_EEvlllT_PT11_llS6_llS4_PT12_llPT13_lli
                                        ; -- End function
	.set _ZN12_GLOBAL__N_127rocblas_gemm_batched_kernelI19rocblas_complex_numIdELi16ELi16ELi32ELi32ELi8ELi32ELi8ELi8ELi32ELc78ELc84EKS2_S3_S2_EEvlllT_PT11_llS6_llS4_PT12_llPT13_lli.num_vgpr, 56
	.set _ZN12_GLOBAL__N_127rocblas_gemm_batched_kernelI19rocblas_complex_numIdELi16ELi16ELi32ELi32ELi8ELi32ELi8ELi8ELi32ELc78ELc84EKS2_S3_S2_EEvlllT_PT11_llS6_llS4_PT12_llPT13_lli.num_agpr, 0
	.set _ZN12_GLOBAL__N_127rocblas_gemm_batched_kernelI19rocblas_complex_numIdELi16ELi16ELi32ELi32ELi8ELi32ELi8ELi8ELi32ELc78ELc84EKS2_S3_S2_EEvlllT_PT11_llS6_llS4_PT12_llPT13_lli.numbered_sgpr, 52
	.set _ZN12_GLOBAL__N_127rocblas_gemm_batched_kernelI19rocblas_complex_numIdELi16ELi16ELi32ELi32ELi8ELi32ELi8ELi8ELi32ELc78ELc84EKS2_S3_S2_EEvlllT_PT11_llS6_llS4_PT12_llPT13_lli.num_named_barrier, 0
	.set _ZN12_GLOBAL__N_127rocblas_gemm_batched_kernelI19rocblas_complex_numIdELi16ELi16ELi32ELi32ELi8ELi32ELi8ELi8ELi32ELc78ELc84EKS2_S3_S2_EEvlllT_PT11_llS6_llS4_PT12_llPT13_lli.private_seg_size, 0
	.set _ZN12_GLOBAL__N_127rocblas_gemm_batched_kernelI19rocblas_complex_numIdELi16ELi16ELi32ELi32ELi8ELi32ELi8ELi8ELi32ELc78ELc84EKS2_S3_S2_EEvlllT_PT11_llS6_llS4_PT12_llPT13_lli.uses_vcc, 1
	.set _ZN12_GLOBAL__N_127rocblas_gemm_batched_kernelI19rocblas_complex_numIdELi16ELi16ELi32ELi32ELi8ELi32ELi8ELi8ELi32ELc78ELc84EKS2_S3_S2_EEvlllT_PT11_llS6_llS4_PT12_llPT13_lli.uses_flat_scratch, 0
	.set _ZN12_GLOBAL__N_127rocblas_gemm_batched_kernelI19rocblas_complex_numIdELi16ELi16ELi32ELi32ELi8ELi32ELi8ELi8ELi32ELc78ELc84EKS2_S3_S2_EEvlllT_PT11_llS6_llS4_PT12_llPT13_lli.has_dyn_sized_stack, 0
	.set _ZN12_GLOBAL__N_127rocblas_gemm_batched_kernelI19rocblas_complex_numIdELi16ELi16ELi32ELi32ELi8ELi32ELi8ELi8ELi32ELc78ELc84EKS2_S3_S2_EEvlllT_PT11_llS6_llS4_PT12_llPT13_lli.has_recursion, 0
	.set _ZN12_GLOBAL__N_127rocblas_gemm_batched_kernelI19rocblas_complex_numIdELi16ELi16ELi32ELi32ELi8ELi32ELi8ELi8ELi32ELc78ELc84EKS2_S3_S2_EEvlllT_PT11_llS6_llS4_PT12_llPT13_lli.has_indirect_call, 0
	.section	.AMDGPU.csdata,"",@progbits
; Kernel info:
; codeLenInByte = 3144
; TotalNumSgprs: 58
; NumVgprs: 56
; NumAgprs: 0
; TotalNumVgprs: 56
; ScratchSize: 0
; MemoryBound: 0
; FloatMode: 240
; IeeeMode: 1
; LDSByteSize: 8192 bytes/workgroup (compile time only)
; SGPRBlocks: 7
; VGPRBlocks: 6
; NumSGPRsForWavesPerEU: 58
; NumVGPRsForWavesPerEU: 56
; AccumOffset: 56
; Occupancy: 8
; WaveLimiterHint : 1
; COMPUTE_PGM_RSRC2:SCRATCH_EN: 0
; COMPUTE_PGM_RSRC2:USER_SGPR: 2
; COMPUTE_PGM_RSRC2:TRAP_HANDLER: 0
; COMPUTE_PGM_RSRC2:TGID_X_EN: 1
; COMPUTE_PGM_RSRC2:TGID_Y_EN: 1
; COMPUTE_PGM_RSRC2:TGID_Z_EN: 1
; COMPUTE_PGM_RSRC2:TIDIG_COMP_CNT: 1
; COMPUTE_PGM_RSRC3_GFX90A:ACCUM_OFFSET: 13
; COMPUTE_PGM_RSRC3_GFX90A:TG_SPLIT: 0
	.section	.text._ZN12_GLOBAL__N_127rocblas_gemm_batched_kernelI19rocblas_complex_numIdELi16ELi16ELi32ELi32ELi8ELi32ELi8ELi8ELi32ELc84ELc84EKS2_S3_S2_EEvlllT_PT11_llS6_llS4_PT12_llPT13_lli,"axG",@progbits,_ZN12_GLOBAL__N_127rocblas_gemm_batched_kernelI19rocblas_complex_numIdELi16ELi16ELi32ELi32ELi8ELi32ELi8ELi8ELi32ELc84ELc84EKS2_S3_S2_EEvlllT_PT11_llS6_llS4_PT12_llPT13_lli,comdat
	.globl	_ZN12_GLOBAL__N_127rocblas_gemm_batched_kernelI19rocblas_complex_numIdELi16ELi16ELi32ELi32ELi8ELi32ELi8ELi8ELi32ELc84ELc84EKS2_S3_S2_EEvlllT_PT11_llS6_llS4_PT12_llPT13_lli ; -- Begin function _ZN12_GLOBAL__N_127rocblas_gemm_batched_kernelI19rocblas_complex_numIdELi16ELi16ELi32ELi32ELi8ELi32ELi8ELi8ELi32ELc84ELc84EKS2_S3_S2_EEvlllT_PT11_llS6_llS4_PT12_llPT13_lli
	.p2align	8
	.type	_ZN12_GLOBAL__N_127rocblas_gemm_batched_kernelI19rocblas_complex_numIdELi16ELi16ELi32ELi32ELi8ELi32ELi8ELi8ELi32ELc84ELc84EKS2_S3_S2_EEvlllT_PT11_llS6_llS4_PT12_llPT13_lli,@function
_ZN12_GLOBAL__N_127rocblas_gemm_batched_kernelI19rocblas_complex_numIdELi16ELi16ELi32ELi32ELi8ELi32ELi8ELi8ELi32ELc84ELc84EKS2_S3_S2_EEvlllT_PT11_llS6_llS4_PT12_llPT13_lli: ; @_ZN12_GLOBAL__N_127rocblas_gemm_batched_kernelI19rocblas_complex_numIdELi16ELi16ELi32ELi32ELi8ELi32ELi8ELi8ELi32ELc84ELc84EKS2_S3_S2_EEvlllT_PT11_llS6_llS4_PT12_llPT13_lli
; %bb.0:
	s_load_dwordx16 s[36:51], s[0:1], 0x10
	s_load_dwordx16 s[8:23], s[0:1], 0x50
	s_mov_b32 s6, s3
	v_mov_b32_e32 v3, 0
	s_ashr_i32 s3, s2, 31
	s_ashr_i32 s7, s6, 31
	s_waitcnt lgkmcnt(0)
	v_cmp_lt_i64_e64 s[24:25], s[36:37], 1
	v_bfe_u32 v2, v0, 10, 10
	v_and_b32_e32 v0, 0x3ff, v0
	v_mov_b32_e32 v1, v3
	s_lshl_b64 s[2:3], s[2:3], 5
	s_lshl_b64 s[6:7], s[6:7], 5
	s_and_b64 vcc, exec, s[24:25]
	s_cbranch_vccnz .LBB130_3
; %bb.1:
	v_lshl_add_u32 v10, v2, 4, v0
	v_lshrrev_b32_e32 v4, 3, v10
	v_mov_b32_e32 v5, v3
	v_lshl_add_u64 v[6:7], v[4:5], 0, s[6:7]
	v_and_b32_e32 v5, 7, v0
	v_mad_u64_u32 v[6:7], s[24:25], s50, v5, v[6:7]
	v_mov_b32_e32 v8, v7
	v_mad_u64_u32 v[8:9], s[24:25], s51, v5, v[8:9]
	v_lshlrev_b32_e32 v5, 4, v5
	v_lshl_or_b32 v4, v4, 7, v5
	v_mov_b32_e32 v7, v8
	v_and_b32_e32 v8, 31, v10
	v_mov_b32_e32 v9, v3
	v_add_u32_e32 v27, 0x1000, v4
	v_mov_b32_e32 v4, 0x1000
	v_lshl_add_u32 v29, v2, 7, v4
	v_lshl_add_u64 v[4:5], s[2:3], 0, v[8:9]
	v_lshlrev_b32_e32 v11, 4, v8
	v_mul_lo_u32 v8, s45, v4
	v_mul_lo_u32 v9, s44, v5
	v_mad_u64_u32 v[4:5], s[24:25], s44, v4, 0
	s_mul_i32 s5, s47, s4
	s_mul_hi_u32 s24, s46, s4
	s_add_i32 s25, s24, s5
	s_mul_i32 s5, s9, s4
	s_mul_hi_u32 s9, s8, s4
	s_mul_i32 s24, s46, s4
	s_add_i32 s9, s9, s5
	s_mul_i32 s8, s8, s4
	v_lshrrev_b32_e32 v10, 5, v10
	v_add3_u32 v5, v5, v9, v8
	s_lshl_b64 s[24:25], s[24:25], 4
	s_lshl_b64 s[8:9], s[8:9], 4
	v_lshl_add_u64 v[4:5], v[4:5], 4, s[24:25]
	v_lshlrev_b32_e32 v8, 4, v10
	v_mov_b32_e32 v9, v3
	s_add_u32 s8, s48, s8
	v_lshl_add_u64 v[4:5], v[4:5], 0, v[8:9]
	s_addc_u32 s9, s49, s9
	v_lshl_or_b32 v26, v10, 9, v11
	v_lshlrev_b32_e32 v28, 4, v0
	v_lshl_add_u64 v[4:5], s[42:43], 0, v[4:5]
	v_lshl_add_u64 v[6:7], v[6:7], 4, s[8:9]
	s_lshl_b64 s[8:9], s[50:51], 7
	s_mov_b64 s[24:25], 0
	v_mov_b64_e32 v[12:13], 0
	s_mov_b64 s[26:27], 0x80
	v_mov_b64_e32 v[8:9], s[36:37]
	v_mov_b64_e32 v[10:11], 0
	;; [unrolled: 1-line block ×8, first 2 shown]
.LBB130_2:                              ; =>This Inner Loop Header: Depth=1
	global_load_dwordx4 v[30:33], v[4:5], off
	s_add_u32 s24, s24, 8
	s_addc_u32 s25, s25, 0
	v_cmp_lt_i64_e32 vcc, s[24:25], v[8:9]
	v_lshl_add_u64 v[4:5], v[4:5], 0, s[26:27]
	s_and_b64 vcc, exec, vcc
	s_waitcnt vmcnt(0)
	ds_write2_b64 v26, v[30:31], v[32:33] offset1:1
	global_load_dwordx4 v[30:33], v[6:7], off
	v_lshl_add_u64 v[6:7], v[6:7], 0, s[8:9]
	s_waitcnt vmcnt(0)
	ds_write2_b64 v27, v[30:31], v[32:33] offset1:1
	s_waitcnt lgkmcnt(0)
	s_barrier
	ds_read_b128 v[30:33], v29
	ds_read_b128 v[34:37], v29 offset:16
	ds_read_b128 v[38:41], v29 offset:32
	;; [unrolled: 1-line block ×3, first 2 shown]
	ds_read_b128 v[46:49], v28
	s_waitcnt lgkmcnt(0)
	v_mul_f64 v[50:51], v[32:33], v[48:49]
	v_mul_f64 v[52:53], v[30:31], v[48:49]
	v_fma_f64 v[50:51], v[30:31], v[46:47], -v[50:51]
	v_fmac_f64_e32 v[52:53], v[32:33], v[46:47]
	v_add_f64 v[50:51], v[22:23], v[50:51]
	v_add_f64 v[52:53], v[52:53], v[24:25]
	ds_read_b128 v[22:25], v28 offset:256
	s_waitcnt lgkmcnt(0)
	v_mul_f64 v[54:55], v[32:33], v[24:25]
	v_fma_f64 v[54:55], v[30:31], v[22:23], -v[54:55]
	v_mul_f64 v[30:31], v[30:31], v[24:25]
	v_fmac_f64_e32 v[30:31], v[32:33], v[22:23]
	v_add_f64 v[32:33], v[14:15], v[54:55]
	v_add_f64 v[30:31], v[30:31], v[16:17]
	ds_read_b128 v[14:17], v29 offset:2048
	s_waitcnt lgkmcnt(0)
	v_mul_f64 v[54:55], v[16:17], v[48:49]
	v_fma_f64 v[54:55], v[14:15], v[46:47], -v[54:55]
	v_mul_f64 v[48:49], v[14:15], v[48:49]
	v_fmac_f64_e32 v[48:49], v[16:17], v[46:47]
	v_add_f64 v[46:47], v[18:19], v[54:55]
	v_mul_f64 v[18:19], v[16:17], v[24:25]
	v_fma_f64 v[18:19], v[14:15], v[22:23], -v[18:19]
	v_mul_f64 v[14:15], v[14:15], v[24:25]
	v_fmac_f64_e32 v[14:15], v[16:17], v[22:23]
	v_add_f64 v[22:23], v[10:11], v[18:19]
	v_add_f64 v[24:25], v[14:15], v[12:13]
	ds_read_b128 v[10:13], v28 offset:512
	v_add_f64 v[48:49], v[48:49], v[20:21]
	s_waitcnt lgkmcnt(0)
	v_mul_f64 v[14:15], v[36:37], v[12:13]
	v_mul_f64 v[16:17], v[34:35], v[12:13]
	v_fma_f64 v[14:15], v[34:35], v[10:11], -v[14:15]
	v_fmac_f64_e32 v[16:17], v[36:37], v[10:11]
	v_add_f64 v[50:51], v[50:51], v[14:15]
	v_add_f64 v[52:53], v[16:17], v[52:53]
	ds_read_b128 v[14:17], v28 offset:768
	s_waitcnt lgkmcnt(0)
	v_mul_f64 v[18:19], v[36:37], v[16:17]
	v_mul_f64 v[20:21], v[34:35], v[16:17]
	v_fma_f64 v[18:19], v[34:35], v[14:15], -v[18:19]
	v_fmac_f64_e32 v[20:21], v[36:37], v[14:15]
	v_add_f64 v[32:33], v[32:33], v[18:19]
	v_add_f64 v[30:31], v[20:21], v[30:31]
	ds_read_b128 v[18:21], v29 offset:2064
	s_waitcnt lgkmcnt(0)
	v_mul_f64 v[34:35], v[20:21], v[12:13]
	v_mul_f64 v[12:13], v[18:19], v[12:13]
	v_fmac_f64_e32 v[12:13], v[20:21], v[10:11]
	v_fma_f64 v[34:35], v[18:19], v[10:11], -v[34:35]
	v_add_f64 v[36:37], v[12:13], v[48:49]
	v_mul_f64 v[10:11], v[20:21], v[16:17]
	v_mul_f64 v[12:13], v[18:19], v[16:17]
	v_fma_f64 v[10:11], v[18:19], v[14:15], -v[10:11]
	v_fmac_f64_e32 v[12:13], v[20:21], v[14:15]
	v_add_f64 v[22:23], v[22:23], v[10:11]
	v_add_f64 v[24:25], v[12:13], v[24:25]
	ds_read_b128 v[10:13], v28 offset:1024
	v_add_f64 v[34:35], v[46:47], v[34:35]
	s_waitcnt lgkmcnt(0)
	v_mul_f64 v[14:15], v[40:41], v[12:13]
	v_mul_f64 v[16:17], v[38:39], v[12:13]
	v_fma_f64 v[14:15], v[38:39], v[10:11], -v[14:15]
	v_fmac_f64_e32 v[16:17], v[40:41], v[10:11]
	v_add_f64 v[46:47], v[50:51], v[14:15]
	v_add_f64 v[48:49], v[16:17], v[52:53]
	ds_read_b128 v[14:17], v28 offset:1280
	s_waitcnt lgkmcnt(0)
	v_mul_f64 v[18:19], v[40:41], v[16:17]
	v_mul_f64 v[20:21], v[38:39], v[16:17]
	v_fma_f64 v[18:19], v[38:39], v[14:15], -v[18:19]
	v_fmac_f64_e32 v[20:21], v[40:41], v[14:15]
	v_add_f64 v[32:33], v[32:33], v[18:19]
	v_add_f64 v[30:31], v[20:21], v[30:31]
	ds_read_b128 v[18:21], v29 offset:2080
	s_waitcnt lgkmcnt(0)
	v_mul_f64 v[38:39], v[20:21], v[12:13]
	v_mul_f64 v[12:13], v[18:19], v[12:13]
	v_fmac_f64_e32 v[12:13], v[20:21], v[10:11]
	v_fma_f64 v[38:39], v[18:19], v[10:11], -v[38:39]
	v_add_f64 v[36:37], v[12:13], v[36:37]
	v_mul_f64 v[10:11], v[20:21], v[16:17]
	v_mul_f64 v[12:13], v[18:19], v[16:17]
	v_fma_f64 v[10:11], v[18:19], v[14:15], -v[10:11]
	;; [unrolled: 30-line block ×3, first 2 shown]
	v_fmac_f64_e32 v[12:13], v[20:21], v[14:15]
	v_add_f64 v[22:23], v[22:23], v[10:11]
	v_add_f64 v[24:25], v[12:13], v[24:25]
	ds_read_b128 v[10:13], v29 offset:64
	ds_read_b128 v[14:17], v28 offset:2048
	v_add_f64 v[34:35], v[34:35], v[42:43]
	s_waitcnt lgkmcnt(0)
	v_mul_f64 v[18:19], v[12:13], v[16:17]
	v_mul_f64 v[20:21], v[10:11], v[16:17]
	v_fma_f64 v[18:19], v[10:11], v[14:15], -v[18:19]
	v_fmac_f64_e32 v[20:21], v[12:13], v[14:15]
	v_add_f64 v[38:39], v[38:39], v[18:19]
	v_add_f64 v[40:41], v[20:21], v[40:41]
	ds_read_b128 v[18:21], v28 offset:2304
	s_waitcnt lgkmcnt(0)
	v_mul_f64 v[42:43], v[12:13], v[20:21]
	v_fma_f64 v[42:43], v[10:11], v[18:19], -v[42:43]
	v_mul_f64 v[10:11], v[10:11], v[20:21]
	v_fmac_f64_e32 v[10:11], v[12:13], v[18:19]
	v_add_f64 v[30:31], v[10:11], v[30:31]
	ds_read_b128 v[10:13], v29 offset:2112
	v_add_f64 v[32:33], v[32:33], v[42:43]
	s_waitcnt lgkmcnt(0)
	v_mul_f64 v[42:43], v[12:13], v[16:17]
	v_mul_f64 v[16:17], v[10:11], v[16:17]
	v_fma_f64 v[42:43], v[10:11], v[14:15], -v[42:43]
	v_fmac_f64_e32 v[16:17], v[12:13], v[14:15]
	v_mul_f64 v[14:15], v[12:13], v[20:21]
	v_fma_f64 v[14:15], v[10:11], v[18:19], -v[14:15]
	v_mul_f64 v[10:11], v[10:11], v[20:21]
	v_fmac_f64_e32 v[10:11], v[12:13], v[18:19]
	v_add_f64 v[36:37], v[16:17], v[36:37]
	v_add_f64 v[22:23], v[22:23], v[14:15]
	v_add_f64 v[24:25], v[10:11], v[24:25]
	ds_read_b128 v[10:13], v29 offset:80
	ds_read_b128 v[14:17], v28 offset:2560
	v_add_f64 v[34:35], v[34:35], v[42:43]
	s_waitcnt lgkmcnt(0)
	v_mul_f64 v[18:19], v[12:13], v[16:17]
	v_mul_f64 v[20:21], v[10:11], v[16:17]
	v_fma_f64 v[18:19], v[10:11], v[14:15], -v[18:19]
	v_fmac_f64_e32 v[20:21], v[12:13], v[14:15]
	v_add_f64 v[38:39], v[38:39], v[18:19]
	v_add_f64 v[40:41], v[20:21], v[40:41]
	ds_read_b128 v[18:21], v28 offset:2816
	s_waitcnt lgkmcnt(0)
	v_mul_f64 v[42:43], v[12:13], v[20:21]
	v_fma_f64 v[42:43], v[10:11], v[18:19], -v[42:43]
	v_mul_f64 v[10:11], v[10:11], v[20:21]
	v_fmac_f64_e32 v[10:11], v[12:13], v[18:19]
	v_add_f64 v[30:31], v[10:11], v[30:31]
	ds_read_b128 v[10:13], v29 offset:2128
	v_add_f64 v[32:33], v[32:33], v[42:43]
	s_waitcnt lgkmcnt(0)
	v_mul_f64 v[42:43], v[12:13], v[16:17]
	v_mul_f64 v[16:17], v[10:11], v[16:17]
	v_fma_f64 v[42:43], v[10:11], v[14:15], -v[42:43]
	v_fmac_f64_e32 v[16:17], v[12:13], v[14:15]
	v_mul_f64 v[14:15], v[12:13], v[20:21]
	v_fma_f64 v[14:15], v[10:11], v[18:19], -v[14:15]
	v_mul_f64 v[10:11], v[10:11], v[20:21]
	v_fmac_f64_e32 v[10:11], v[12:13], v[18:19]
	v_add_f64 v[36:37], v[16:17], v[36:37]
	v_add_f64 v[22:23], v[22:23], v[14:15]
	v_add_f64 v[24:25], v[10:11], v[24:25]
	ds_read_b128 v[10:13], v29 offset:96
	ds_read_b128 v[14:17], v28 offset:3072
	v_add_f64 v[34:35], v[34:35], v[42:43]
	s_waitcnt lgkmcnt(0)
	v_mul_f64 v[18:19], v[12:13], v[16:17]
	v_mul_f64 v[20:21], v[10:11], v[16:17]
	v_fma_f64 v[18:19], v[10:11], v[14:15], -v[18:19]
	v_fmac_f64_e32 v[20:21], v[12:13], v[14:15]
	v_add_f64 v[38:39], v[38:39], v[18:19]
	v_add_f64 v[40:41], v[20:21], v[40:41]
	ds_read_b128 v[18:21], v28 offset:3328
	s_waitcnt lgkmcnt(0)
	v_mul_f64 v[42:43], v[12:13], v[20:21]
	v_fma_f64 v[42:43], v[10:11], v[18:19], -v[42:43]
	v_mul_f64 v[10:11], v[10:11], v[20:21]
	v_fmac_f64_e32 v[10:11], v[12:13], v[18:19]
	v_add_f64 v[44:45], v[10:11], v[30:31]
	ds_read_b128 v[10:13], v29 offset:2144
	v_add_f64 v[42:43], v[32:33], v[42:43]
	s_waitcnt lgkmcnt(0)
	v_mul_f64 v[30:31], v[12:13], v[16:17]
	v_mul_f64 v[16:17], v[10:11], v[16:17]
	v_fma_f64 v[30:31], v[10:11], v[14:15], -v[30:31]
	v_fmac_f64_e32 v[16:17], v[12:13], v[14:15]
	v_mul_f64 v[14:15], v[12:13], v[20:21]
	v_fma_f64 v[14:15], v[10:11], v[18:19], -v[14:15]
	v_mul_f64 v[10:11], v[10:11], v[20:21]
	v_fmac_f64_e32 v[10:11], v[12:13], v[18:19]
	v_add_f64 v[48:49], v[10:11], v[24:25]
	ds_read_b128 v[10:13], v29 offset:112
	ds_read_b128 v[18:21], v28 offset:3584
	v_add_f64 v[34:35], v[34:35], v[30:31]
	ds_read_b128 v[30:33], v28 offset:3840
	v_add_f64 v[46:47], v[22:23], v[14:15]
	v_add_f64 v[36:37], v[16:17], v[36:37]
	s_waitcnt lgkmcnt(1)
	v_mul_f64 v[14:15], v[12:13], v[20:21]
	v_fma_f64 v[14:15], v[10:11], v[18:19], -v[14:15]
	v_add_f64 v[22:23], v[38:39], v[14:15]
	s_waitcnt lgkmcnt(0)
	v_mul_f64 v[14:15], v[12:13], v[32:33]
	v_mul_f64 v[16:17], v[10:11], v[20:21]
	v_fma_f64 v[14:15], v[10:11], v[30:31], -v[14:15]
	v_mul_f64 v[10:11], v[10:11], v[32:33]
	v_fmac_f64_e32 v[16:17], v[12:13], v[18:19]
	v_fmac_f64_e32 v[10:11], v[12:13], v[30:31]
	v_add_f64 v[24:25], v[16:17], v[40:41]
	v_add_f64 v[16:17], v[10:11], v[44:45]
	ds_read_b128 v[10:13], v29 offset:2160
	v_add_f64 v[14:15], v[42:43], v[14:15]
	s_waitcnt lgkmcnt(0)
	s_barrier
	v_mul_f64 v[38:39], v[12:13], v[20:21]
	v_fma_f64 v[38:39], v[10:11], v[18:19], -v[38:39]
	v_mul_f64 v[20:21], v[10:11], v[20:21]
	v_fmac_f64_e32 v[20:21], v[12:13], v[18:19]
	v_add_f64 v[18:19], v[34:35], v[38:39]
	v_mul_f64 v[34:35], v[12:13], v[32:33]
	v_mul_f64 v[32:33], v[10:11], v[32:33]
	v_fma_f64 v[34:35], v[10:11], v[30:31], -v[34:35]
	v_fmac_f64_e32 v[32:33], v[12:13], v[30:31]
	v_add_f64 v[20:21], v[20:21], v[36:37]
	v_add_f64 v[10:11], v[46:47], v[34:35]
	v_add_f64 v[12:13], v[32:33], v[48:49]
	s_cbranch_vccnz .LBB130_2
	s_branch .LBB130_4
.LBB130_3:
	v_mov_b64_e32 v[22:23], 0
	v_mov_b64_e32 v[24:25], 0
	;; [unrolled: 1-line block ×8, first 2 shown]
.LBB130_4:
	s_load_dwordx2 s[0:1], s[0:1], 0x90
	v_cmp_neq_f64_e64 s[8:9], s[10:11], 0
	v_lshl_add_u64 v[2:3], s[6:7], 0, v[2:3]
	s_mov_b64 s[6:7], 0
	v_lshl_add_u64 v[0:1], s[2:3], 0, v[0:1]
	s_waitcnt lgkmcnt(0)
	s_mul_i32 s1, s1, s4
	s_mul_hi_u32 s5, s0, s4
	s_mul_i32 s0, s0, s4
	s_add_i32 s1, s5, s1
	s_lshl_b64 s[0:1], s[0:1], 4
	s_add_u32 s0, s20, s0
	s_addc_u32 s1, s21, s1
	v_cmp_neq_f64_e64 s[20:21], s[12:13], 0
	s_or_b64 s[8:9], s[8:9], s[20:21]
	s_and_b64 vcc, exec, s[8:9]
	s_cbranch_vccnz .LBB130_6
; %bb.5:
	v_mul_lo_u32 v6, v3, s22
	v_mul_lo_u32 v7, v2, s23
	v_mad_u64_u32 v[4:5], s[2:3], v2, s22, 0
	v_add3_u32 v5, v5, v7, v6
	v_lshl_add_u64 v[8:9], v[4:5], 4, s[0:1]
	v_mul_f64 v[4:5], s[40:41], v[24:25]
	v_mul_f64 v[6:7], s[38:39], v[24:25]
	v_lshlrev_b64 v[26:27], 4, v[0:1]
	v_fma_f64 v[4:5], s[38:39], v[22:23], -v[4:5]
	v_fmac_f64_e32 v[6:7], s[40:41], v[22:23]
	v_lshl_add_u64 v[28:29], v[8:9], 0, v[26:27]
	global_store_dwordx4 v[28:29], v[4:7], off
	s_lshl_b64 s[2:3], s[22:23], 8
	v_lshl_add_u64 v[8:9], v[8:9], 0, s[2:3]
	v_mul_f64 v[4:5], s[40:41], v[16:17]
	v_mul_f64 v[6:7], s[38:39], v[16:17]
	v_fma_f64 v[4:5], s[38:39], v[14:15], -v[4:5]
	v_fmac_f64_e32 v[6:7], s[40:41], v[14:15]
	global_store_dwordx4 v[28:29], v[4:7], off offset:256
	v_lshl_add_u64 v[8:9], v[8:9], 0, v[26:27]
	s_mov_b64 s[2:3], 0x100
	v_mul_f64 v[4:5], s[40:41], v[20:21]
	v_mul_f64 v[6:7], s[38:39], v[20:21]
	v_fma_f64 v[4:5], s[38:39], v[18:19], -v[4:5]
	v_fmac_f64_e32 v[6:7], s[40:41], v[18:19]
	global_store_dwordx4 v[8:9], v[4:7], off
	s_nop 1
	v_mul_f64 v[4:5], s[40:41], v[12:13]
	v_fma_f64 v[26:27], s[38:39], v[10:11], -v[4:5]
	v_mul_f64 v[4:5], s[38:39], v[12:13]
	v_fmac_f64_e32 v[4:5], s[40:41], v[10:11]
	v_lshl_add_u64 v[6:7], v[8:9], 0, s[2:3]
	global_store_dwordx2 v[8:9], v[26:27], off offset:256
	s_andn2_b64 vcc, exec, s[6:7]
	s_cbranch_vccz .LBB130_7
	s_branch .LBB130_8
.LBB130_6:
                                        ; implicit-def: $vgpr4_vgpr5
                                        ; implicit-def: $vgpr6_vgpr7
.LBB130_7:
	s_mul_i32 s2, s19, s4
	s_mul_hi_u32 s3, s18, s4
	s_add_i32 s3, s3, s2
	s_mul_i32 s2, s18, s4
	s_lshl_b64 s[2:3], s[2:3], 4
	s_add_u32 s2, s14, s2
	v_mul_lo_u32 v6, v3, s16
	v_mul_lo_u32 v7, v2, s17
	v_mad_u64_u32 v[4:5], s[4:5], v2, s16, 0
	s_addc_u32 s3, s15, s3
	v_add3_u32 v5, v5, v7, v6
	v_lshl_add_u64 v[8:9], v[4:5], 4, s[2:3]
	v_lshlrev_b64 v[26:27], 4, v[0:1]
	v_lshl_add_u64 v[28:29], v[8:9], 0, v[26:27]
	global_load_dwordx4 v[4:7], v[28:29], off
	v_mul_lo_u32 v30, v3, s22
	v_mul_lo_u32 v31, v2, s23
	v_mad_u64_u32 v[0:1], s[2:3], v2, s22, 0
	v_mul_f64 v[2:3], s[40:41], v[24:25]
	v_mul_f64 v[24:25], s[38:39], v[24:25]
	v_add3_u32 v1, v1, v31, v30
	v_fma_f64 v[2:3], s[38:39], v[22:23], -v[2:3]
	v_fmac_f64_e32 v[24:25], s[40:41], v[22:23]
	v_lshl_add_u64 v[22:23], v[0:1], 4, s[0:1]
	v_lshl_add_u64 v[30:31], v[22:23], 0, v[26:27]
	s_lshl_b64 s[0:1], s[16:17], 8
	v_lshl_add_u64 v[8:9], v[8:9], 0, s[0:1]
	v_lshl_add_u64 v[8:9], v[8:9], 0, v[26:27]
	s_lshl_b64 s[0:1], s[22:23], 8
	s_waitcnt vmcnt(0)
	v_mul_f64 v[0:1], s[12:13], v[6:7]
	v_mul_f64 v[6:7], s[10:11], v[6:7]
	v_fma_f64 v[0:1], s[10:11], v[4:5], -v[0:1]
	v_fmac_f64_e32 v[6:7], s[12:13], v[4:5]
	v_add_f64 v[0:1], v[2:3], v[0:1]
	v_add_f64 v[2:3], v[24:25], v[6:7]
	global_store_dwordx4 v[30:31], v[0:3], off
	global_load_dwordx4 v[0:3], v[28:29], off offset:256
	v_mul_f64 v[4:5], s[40:41], v[16:17]
	v_mul_f64 v[6:7], s[38:39], v[16:17]
	v_fma_f64 v[4:5], s[38:39], v[14:15], -v[4:5]
	v_fmac_f64_e32 v[6:7], s[40:41], v[14:15]
	s_waitcnt vmcnt(0)
	v_mul_f64 v[14:15], s[12:13], v[2:3]
	v_mul_f64 v[2:3], s[10:11], v[2:3]
	v_fma_f64 v[14:15], s[10:11], v[0:1], -v[14:15]
	v_fmac_f64_e32 v[2:3], s[12:13], v[0:1]
	v_add_f64 v[0:1], v[4:5], v[14:15]
	v_add_f64 v[2:3], v[6:7], v[2:3]
	global_store_dwordx4 v[30:31], v[0:3], off offset:256
	global_load_dwordx4 v[0:3], v[8:9], off
	v_mul_f64 v[4:5], s[40:41], v[20:21]
	v_mul_f64 v[6:7], s[38:39], v[20:21]
	v_fma_f64 v[4:5], s[38:39], v[18:19], -v[4:5]
	v_fmac_f64_e32 v[6:7], s[40:41], v[18:19]
	v_lshl_add_u64 v[14:15], v[22:23], 0, s[0:1]
	v_lshl_add_u64 v[14:15], v[14:15], 0, v[26:27]
	s_mov_b64 s[0:1], 0x100
	s_waitcnt vmcnt(0)
	v_mul_f64 v[16:17], s[12:13], v[2:3]
	v_mul_f64 v[2:3], s[10:11], v[2:3]
	v_fma_f64 v[16:17], s[10:11], v[0:1], -v[16:17]
	v_fmac_f64_e32 v[2:3], s[12:13], v[0:1]
	v_add_f64 v[0:1], v[4:5], v[16:17]
	v_add_f64 v[2:3], v[6:7], v[2:3]
	global_store_dwordx4 v[14:15], v[0:3], off
	global_load_dwordx4 v[0:3], v[8:9], off offset:256
	v_mul_f64 v[4:5], s[40:41], v[12:13]
	v_mul_f64 v[6:7], s[38:39], v[12:13]
	v_fma_f64 v[4:5], s[38:39], v[10:11], -v[4:5]
	v_fmac_f64_e32 v[6:7], s[40:41], v[10:11]
	s_waitcnt vmcnt(0)
	v_mul_f64 v[8:9], s[12:13], v[2:3]
	v_mul_f64 v[2:3], s[10:11], v[2:3]
	v_fma_f64 v[8:9], s[10:11], v[0:1], -v[8:9]
	v_fmac_f64_e32 v[2:3], s[12:13], v[0:1]
	v_add_f64 v[0:1], v[4:5], v[8:9]
	v_add_f64 v[4:5], v[6:7], v[2:3]
	v_lshl_add_u64 v[6:7], v[14:15], 0, s[0:1]
	global_store_dwordx2 v[14:15], v[0:1], off offset:256
.LBB130_8:
	global_store_dwordx2 v[6:7], v[4:5], off offset:8
	s_endpgm
	.section	.rodata,"a",@progbits
	.p2align	6, 0x0
	.amdhsa_kernel _ZN12_GLOBAL__N_127rocblas_gemm_batched_kernelI19rocblas_complex_numIdELi16ELi16ELi32ELi32ELi8ELi32ELi8ELi8ELi32ELc84ELc84EKS2_S3_S2_EEvlllT_PT11_llS6_llS4_PT12_llPT13_lli
		.amdhsa_group_segment_fixed_size 8192
		.amdhsa_private_segment_fixed_size 0
		.amdhsa_kernarg_size 156
		.amdhsa_user_sgpr_count 2
		.amdhsa_user_sgpr_dispatch_ptr 0
		.amdhsa_user_sgpr_queue_ptr 0
		.amdhsa_user_sgpr_kernarg_segment_ptr 1
		.amdhsa_user_sgpr_dispatch_id 0
		.amdhsa_user_sgpr_kernarg_preload_length 0
		.amdhsa_user_sgpr_kernarg_preload_offset 0
		.amdhsa_user_sgpr_private_segment_size 0
		.amdhsa_uses_dynamic_stack 0
		.amdhsa_enable_private_segment 0
		.amdhsa_system_sgpr_workgroup_id_x 1
		.amdhsa_system_sgpr_workgroup_id_y 1
		.amdhsa_system_sgpr_workgroup_id_z 1
		.amdhsa_system_sgpr_workgroup_info 0
		.amdhsa_system_vgpr_workitem_id 1
		.amdhsa_next_free_vgpr 56
		.amdhsa_next_free_sgpr 52
		.amdhsa_accum_offset 56
		.amdhsa_reserve_vcc 1
		.amdhsa_float_round_mode_32 0
		.amdhsa_float_round_mode_16_64 0
		.amdhsa_float_denorm_mode_32 3
		.amdhsa_float_denorm_mode_16_64 3
		.amdhsa_dx10_clamp 1
		.amdhsa_ieee_mode 1
		.amdhsa_fp16_overflow 0
		.amdhsa_tg_split 0
		.amdhsa_exception_fp_ieee_invalid_op 0
		.amdhsa_exception_fp_denorm_src 0
		.amdhsa_exception_fp_ieee_div_zero 0
		.amdhsa_exception_fp_ieee_overflow 0
		.amdhsa_exception_fp_ieee_underflow 0
		.amdhsa_exception_fp_ieee_inexact 0
		.amdhsa_exception_int_div_zero 0
	.end_amdhsa_kernel
	.section	.text._ZN12_GLOBAL__N_127rocblas_gemm_batched_kernelI19rocblas_complex_numIdELi16ELi16ELi32ELi32ELi8ELi32ELi8ELi8ELi32ELc84ELc84EKS2_S3_S2_EEvlllT_PT11_llS6_llS4_PT12_llPT13_lli,"axG",@progbits,_ZN12_GLOBAL__N_127rocblas_gemm_batched_kernelI19rocblas_complex_numIdELi16ELi16ELi32ELi32ELi8ELi32ELi8ELi8ELi32ELc84ELc84EKS2_S3_S2_EEvlllT_PT11_llS6_llS4_PT12_llPT13_lli,comdat
.Lfunc_end130:
	.size	_ZN12_GLOBAL__N_127rocblas_gemm_batched_kernelI19rocblas_complex_numIdELi16ELi16ELi32ELi32ELi8ELi32ELi8ELi8ELi32ELc84ELc84EKS2_S3_S2_EEvlllT_PT11_llS6_llS4_PT12_llPT13_lli, .Lfunc_end130-_ZN12_GLOBAL__N_127rocblas_gemm_batched_kernelI19rocblas_complex_numIdELi16ELi16ELi32ELi32ELi8ELi32ELi8ELi8ELi32ELc84ELc84EKS2_S3_S2_EEvlllT_PT11_llS6_llS4_PT12_llPT13_lli
                                        ; -- End function
	.set _ZN12_GLOBAL__N_127rocblas_gemm_batched_kernelI19rocblas_complex_numIdELi16ELi16ELi32ELi32ELi8ELi32ELi8ELi8ELi32ELc84ELc84EKS2_S3_S2_EEvlllT_PT11_llS6_llS4_PT12_llPT13_lli.num_vgpr, 56
	.set _ZN12_GLOBAL__N_127rocblas_gemm_batched_kernelI19rocblas_complex_numIdELi16ELi16ELi32ELi32ELi8ELi32ELi8ELi8ELi32ELc84ELc84EKS2_S3_S2_EEvlllT_PT11_llS6_llS4_PT12_llPT13_lli.num_agpr, 0
	.set _ZN12_GLOBAL__N_127rocblas_gemm_batched_kernelI19rocblas_complex_numIdELi16ELi16ELi32ELi32ELi8ELi32ELi8ELi8ELi32ELc84ELc84EKS2_S3_S2_EEvlllT_PT11_llS6_llS4_PT12_llPT13_lli.numbered_sgpr, 52
	.set _ZN12_GLOBAL__N_127rocblas_gemm_batched_kernelI19rocblas_complex_numIdELi16ELi16ELi32ELi32ELi8ELi32ELi8ELi8ELi32ELc84ELc84EKS2_S3_S2_EEvlllT_PT11_llS6_llS4_PT12_llPT13_lli.num_named_barrier, 0
	.set _ZN12_GLOBAL__N_127rocblas_gemm_batched_kernelI19rocblas_complex_numIdELi16ELi16ELi32ELi32ELi8ELi32ELi8ELi8ELi32ELc84ELc84EKS2_S3_S2_EEvlllT_PT11_llS6_llS4_PT12_llPT13_lli.private_seg_size, 0
	.set _ZN12_GLOBAL__N_127rocblas_gemm_batched_kernelI19rocblas_complex_numIdELi16ELi16ELi32ELi32ELi8ELi32ELi8ELi8ELi32ELc84ELc84EKS2_S3_S2_EEvlllT_PT11_llS6_llS4_PT12_llPT13_lli.uses_vcc, 1
	.set _ZN12_GLOBAL__N_127rocblas_gemm_batched_kernelI19rocblas_complex_numIdELi16ELi16ELi32ELi32ELi8ELi32ELi8ELi8ELi32ELc84ELc84EKS2_S3_S2_EEvlllT_PT11_llS6_llS4_PT12_llPT13_lli.uses_flat_scratch, 0
	.set _ZN12_GLOBAL__N_127rocblas_gemm_batched_kernelI19rocblas_complex_numIdELi16ELi16ELi32ELi32ELi8ELi32ELi8ELi8ELi32ELc84ELc84EKS2_S3_S2_EEvlllT_PT11_llS6_llS4_PT12_llPT13_lli.has_dyn_sized_stack, 0
	.set _ZN12_GLOBAL__N_127rocblas_gemm_batched_kernelI19rocblas_complex_numIdELi16ELi16ELi32ELi32ELi8ELi32ELi8ELi8ELi32ELc84ELc84EKS2_S3_S2_EEvlllT_PT11_llS6_llS4_PT12_llPT13_lli.has_recursion, 0
	.set _ZN12_GLOBAL__N_127rocblas_gemm_batched_kernelI19rocblas_complex_numIdELi16ELi16ELi32ELi32ELi8ELi32ELi8ELi8ELi32ELc84ELc84EKS2_S3_S2_EEvlllT_PT11_llS6_llS4_PT12_llPT13_lli.has_indirect_call, 0
	.section	.AMDGPU.csdata,"",@progbits
; Kernel info:
; codeLenInByte = 3168
; TotalNumSgprs: 58
; NumVgprs: 56
; NumAgprs: 0
; TotalNumVgprs: 56
; ScratchSize: 0
; MemoryBound: 0
; FloatMode: 240
; IeeeMode: 1
; LDSByteSize: 8192 bytes/workgroup (compile time only)
; SGPRBlocks: 7
; VGPRBlocks: 6
; NumSGPRsForWavesPerEU: 58
; NumVGPRsForWavesPerEU: 56
; AccumOffset: 56
; Occupancy: 8
; WaveLimiterHint : 1
; COMPUTE_PGM_RSRC2:SCRATCH_EN: 0
; COMPUTE_PGM_RSRC2:USER_SGPR: 2
; COMPUTE_PGM_RSRC2:TRAP_HANDLER: 0
; COMPUTE_PGM_RSRC2:TGID_X_EN: 1
; COMPUTE_PGM_RSRC2:TGID_Y_EN: 1
; COMPUTE_PGM_RSRC2:TGID_Z_EN: 1
; COMPUTE_PGM_RSRC2:TIDIG_COMP_CNT: 1
; COMPUTE_PGM_RSRC3_GFX90A:ACCUM_OFFSET: 13
; COMPUTE_PGM_RSRC3_GFX90A:TG_SPLIT: 0
	.section	.text._ZN12_GLOBAL__N_127rocblas_gemm_batched_kernelI19rocblas_complex_numIdELi16ELi16ELi32ELi32ELi8ELi32ELi8ELi8ELi32ELc67ELc67EKS2_S3_S2_EEvlllT_PT11_llS6_llS4_PT12_llPT13_lli,"axG",@progbits,_ZN12_GLOBAL__N_127rocblas_gemm_batched_kernelI19rocblas_complex_numIdELi16ELi16ELi32ELi32ELi8ELi32ELi8ELi8ELi32ELc67ELc67EKS2_S3_S2_EEvlllT_PT11_llS6_llS4_PT12_llPT13_lli,comdat
	.globl	_ZN12_GLOBAL__N_127rocblas_gemm_batched_kernelI19rocblas_complex_numIdELi16ELi16ELi32ELi32ELi8ELi32ELi8ELi8ELi32ELc67ELc67EKS2_S3_S2_EEvlllT_PT11_llS6_llS4_PT12_llPT13_lli ; -- Begin function _ZN12_GLOBAL__N_127rocblas_gemm_batched_kernelI19rocblas_complex_numIdELi16ELi16ELi32ELi32ELi8ELi32ELi8ELi8ELi32ELc67ELc67EKS2_S3_S2_EEvlllT_PT11_llS6_llS4_PT12_llPT13_lli
	.p2align	8
	.type	_ZN12_GLOBAL__N_127rocblas_gemm_batched_kernelI19rocblas_complex_numIdELi16ELi16ELi32ELi32ELi8ELi32ELi8ELi8ELi32ELc67ELc67EKS2_S3_S2_EEvlllT_PT11_llS6_llS4_PT12_llPT13_lli,@function
_ZN12_GLOBAL__N_127rocblas_gemm_batched_kernelI19rocblas_complex_numIdELi16ELi16ELi32ELi32ELi8ELi32ELi8ELi8ELi32ELc67ELc67EKS2_S3_S2_EEvlllT_PT11_llS6_llS4_PT12_llPT13_lli: ; @_ZN12_GLOBAL__N_127rocblas_gemm_batched_kernelI19rocblas_complex_numIdELi16ELi16ELi32ELi32ELi8ELi32ELi8ELi8ELi32ELc67ELc67EKS2_S3_S2_EEvlllT_PT11_llS6_llS4_PT12_llPT13_lli
; %bb.0:
	s_load_dwordx16 s[36:51], s[0:1], 0x10
	s_load_dwordx16 s[8:23], s[0:1], 0x50
	s_mov_b32 s6, s3
	v_mov_b32_e32 v3, 0
	s_ashr_i32 s3, s2, 31
	s_ashr_i32 s7, s6, 31
	s_waitcnt lgkmcnt(0)
	v_cmp_lt_i64_e64 s[24:25], s[36:37], 1
	v_bfe_u32 v2, v0, 10, 10
	v_and_b32_e32 v0, 0x3ff, v0
	v_mov_b32_e32 v1, v3
	s_lshl_b64 s[2:3], s[2:3], 5
	s_lshl_b64 s[6:7], s[6:7], 5
	s_and_b64 vcc, exec, s[24:25]
	s_cbranch_vccnz .LBB131_3
; %bb.1:
	v_lshl_add_u32 v10, v2, 4, v0
	v_lshrrev_b32_e32 v4, 3, v10
	v_mov_b32_e32 v5, v3
	v_lshl_add_u64 v[6:7], v[4:5], 0, s[6:7]
	v_and_b32_e32 v5, 7, v0
	v_mad_u64_u32 v[6:7], s[24:25], s50, v5, v[6:7]
	v_mov_b32_e32 v8, v7
	v_mad_u64_u32 v[8:9], s[24:25], s51, v5, v[8:9]
	v_lshlrev_b32_e32 v5, 4, v5
	v_lshl_or_b32 v4, v4, 7, v5
	v_mov_b32_e32 v7, v8
	v_and_b32_e32 v8, 31, v10
	v_mov_b32_e32 v9, v3
	v_add_u32_e32 v27, 0x1000, v4
	v_mov_b32_e32 v4, 0x1000
	v_lshl_add_u32 v29, v2, 7, v4
	v_lshl_add_u64 v[4:5], s[2:3], 0, v[8:9]
	v_lshlrev_b32_e32 v11, 4, v8
	v_mul_lo_u32 v8, s45, v4
	v_mul_lo_u32 v9, s44, v5
	v_mad_u64_u32 v[4:5], s[24:25], s44, v4, 0
	s_mul_i32 s5, s47, s4
	s_mul_hi_u32 s24, s46, s4
	s_add_i32 s25, s24, s5
	s_mul_i32 s5, s9, s4
	s_mul_hi_u32 s9, s8, s4
	s_mul_i32 s24, s46, s4
	s_add_i32 s9, s9, s5
	s_mul_i32 s8, s8, s4
	v_lshrrev_b32_e32 v10, 5, v10
	v_add3_u32 v5, v5, v9, v8
	s_lshl_b64 s[24:25], s[24:25], 4
	s_lshl_b64 s[8:9], s[8:9], 4
	v_lshl_add_u64 v[4:5], v[4:5], 4, s[24:25]
	v_lshlrev_b32_e32 v8, 4, v10
	v_mov_b32_e32 v9, v3
	s_add_u32 s8, s48, s8
	v_lshl_add_u64 v[4:5], v[4:5], 0, v[8:9]
	s_addc_u32 s9, s49, s9
	v_lshl_add_u64 v[4:5], s[42:43], 0, v[4:5]
	v_lshl_add_u64 v[6:7], v[6:7], 4, s[8:9]
	v_lshl_or_b32 v26, v10, 9, v11
	v_lshlrev_b32_e32 v28, 4, v0
	v_lshl_add_u64 v[4:5], v[4:5], 0, 8
	v_lshl_add_u64 v[6:7], v[6:7], 0, 8
	s_lshl_b64 s[8:9], s[50:51], 7
	s_mov_b64 s[24:25], 0
	v_mov_b64_e32 v[12:13], 0
	s_mov_b64 s[26:27], 0x80
	v_mov_b64_e32 v[8:9], s[36:37]
	v_mov_b64_e32 v[10:11], 0
	;; [unrolled: 1-line block ×8, first 2 shown]
.LBB131_2:                              ; =>This Inner Loop Header: Depth=1
	global_load_dwordx4 v[30:33], v[4:5], off offset:-8
	s_add_u32 s24, s24, 8
	s_addc_u32 s25, s25, 0
	v_cmp_lt_i64_e32 vcc, s[24:25], v[8:9]
	v_lshl_add_u64 v[4:5], v[4:5], 0, s[26:27]
	s_and_b64 vcc, exec, vcc
	s_waitcnt vmcnt(0)
	v_xor_b32_e32 v33, 0x80000000, v33
	ds_write_b128 v26, v[30:33]
	global_load_dwordx4 v[30:33], v[6:7], off offset:-8
	v_lshl_add_u64 v[6:7], v[6:7], 0, s[8:9]
	s_waitcnt vmcnt(0)
	v_xor_b32_e32 v33, 0x80000000, v33
	ds_write_b128 v27, v[30:33]
	s_waitcnt lgkmcnt(0)
	s_barrier
	ds_read_b128 v[30:33], v29
	ds_read_b128 v[34:37], v29 offset:16
	ds_read_b128 v[38:41], v29 offset:32
	ds_read_b128 v[42:45], v29 offset:48
	ds_read_b128 v[46:49], v28
	s_waitcnt lgkmcnt(0)
	v_mul_f64 v[50:51], v[32:33], v[48:49]
	v_mul_f64 v[52:53], v[30:31], v[48:49]
	v_fma_f64 v[50:51], v[30:31], v[46:47], -v[50:51]
	v_fmac_f64_e32 v[52:53], v[32:33], v[46:47]
	v_add_f64 v[50:51], v[22:23], v[50:51]
	v_add_f64 v[52:53], v[52:53], v[24:25]
	ds_read_b128 v[22:25], v28 offset:256
	s_waitcnt lgkmcnt(0)
	v_mul_f64 v[54:55], v[32:33], v[24:25]
	v_fma_f64 v[54:55], v[30:31], v[22:23], -v[54:55]
	v_mul_f64 v[30:31], v[30:31], v[24:25]
	v_fmac_f64_e32 v[30:31], v[32:33], v[22:23]
	v_add_f64 v[32:33], v[14:15], v[54:55]
	v_add_f64 v[30:31], v[30:31], v[16:17]
	ds_read_b128 v[14:17], v29 offset:2048
	s_waitcnt lgkmcnt(0)
	v_mul_f64 v[54:55], v[16:17], v[48:49]
	v_fma_f64 v[54:55], v[14:15], v[46:47], -v[54:55]
	v_mul_f64 v[48:49], v[14:15], v[48:49]
	v_fmac_f64_e32 v[48:49], v[16:17], v[46:47]
	v_add_f64 v[46:47], v[18:19], v[54:55]
	v_mul_f64 v[18:19], v[16:17], v[24:25]
	v_fma_f64 v[18:19], v[14:15], v[22:23], -v[18:19]
	v_mul_f64 v[14:15], v[14:15], v[24:25]
	v_fmac_f64_e32 v[14:15], v[16:17], v[22:23]
	v_add_f64 v[22:23], v[10:11], v[18:19]
	v_add_f64 v[24:25], v[14:15], v[12:13]
	ds_read_b128 v[10:13], v28 offset:512
	v_add_f64 v[48:49], v[48:49], v[20:21]
	s_waitcnt lgkmcnt(0)
	v_mul_f64 v[14:15], v[36:37], v[12:13]
	v_mul_f64 v[16:17], v[34:35], v[12:13]
	v_fma_f64 v[14:15], v[34:35], v[10:11], -v[14:15]
	v_fmac_f64_e32 v[16:17], v[36:37], v[10:11]
	v_add_f64 v[50:51], v[50:51], v[14:15]
	v_add_f64 v[52:53], v[16:17], v[52:53]
	ds_read_b128 v[14:17], v28 offset:768
	s_waitcnt lgkmcnt(0)
	v_mul_f64 v[18:19], v[36:37], v[16:17]
	v_mul_f64 v[20:21], v[34:35], v[16:17]
	v_fma_f64 v[18:19], v[34:35], v[14:15], -v[18:19]
	v_fmac_f64_e32 v[20:21], v[36:37], v[14:15]
	v_add_f64 v[32:33], v[32:33], v[18:19]
	v_add_f64 v[30:31], v[20:21], v[30:31]
	ds_read_b128 v[18:21], v29 offset:2064
	s_waitcnt lgkmcnt(0)
	v_mul_f64 v[34:35], v[20:21], v[12:13]
	v_mul_f64 v[12:13], v[18:19], v[12:13]
	v_fmac_f64_e32 v[12:13], v[20:21], v[10:11]
	v_fma_f64 v[34:35], v[18:19], v[10:11], -v[34:35]
	v_add_f64 v[36:37], v[12:13], v[48:49]
	v_mul_f64 v[10:11], v[20:21], v[16:17]
	v_mul_f64 v[12:13], v[18:19], v[16:17]
	v_fma_f64 v[10:11], v[18:19], v[14:15], -v[10:11]
	v_fmac_f64_e32 v[12:13], v[20:21], v[14:15]
	v_add_f64 v[22:23], v[22:23], v[10:11]
	v_add_f64 v[24:25], v[12:13], v[24:25]
	ds_read_b128 v[10:13], v28 offset:1024
	v_add_f64 v[34:35], v[46:47], v[34:35]
	s_waitcnt lgkmcnt(0)
	v_mul_f64 v[14:15], v[40:41], v[12:13]
	v_mul_f64 v[16:17], v[38:39], v[12:13]
	v_fma_f64 v[14:15], v[38:39], v[10:11], -v[14:15]
	v_fmac_f64_e32 v[16:17], v[40:41], v[10:11]
	v_add_f64 v[46:47], v[50:51], v[14:15]
	v_add_f64 v[48:49], v[16:17], v[52:53]
	ds_read_b128 v[14:17], v28 offset:1280
	s_waitcnt lgkmcnt(0)
	v_mul_f64 v[18:19], v[40:41], v[16:17]
	v_mul_f64 v[20:21], v[38:39], v[16:17]
	v_fma_f64 v[18:19], v[38:39], v[14:15], -v[18:19]
	v_fmac_f64_e32 v[20:21], v[40:41], v[14:15]
	v_add_f64 v[32:33], v[32:33], v[18:19]
	v_add_f64 v[30:31], v[20:21], v[30:31]
	ds_read_b128 v[18:21], v29 offset:2080
	s_waitcnt lgkmcnt(0)
	v_mul_f64 v[38:39], v[20:21], v[12:13]
	v_mul_f64 v[12:13], v[18:19], v[12:13]
	v_fmac_f64_e32 v[12:13], v[20:21], v[10:11]
	v_fma_f64 v[38:39], v[18:19], v[10:11], -v[38:39]
	v_add_f64 v[36:37], v[12:13], v[36:37]
	v_mul_f64 v[10:11], v[20:21], v[16:17]
	v_mul_f64 v[12:13], v[18:19], v[16:17]
	v_fma_f64 v[10:11], v[18:19], v[14:15], -v[10:11]
	;; [unrolled: 30-line block ×3, first 2 shown]
	v_fmac_f64_e32 v[12:13], v[20:21], v[14:15]
	v_add_f64 v[22:23], v[22:23], v[10:11]
	v_add_f64 v[24:25], v[12:13], v[24:25]
	ds_read_b128 v[10:13], v29 offset:64
	ds_read_b128 v[14:17], v28 offset:2048
	v_add_f64 v[34:35], v[34:35], v[42:43]
	s_waitcnt lgkmcnt(0)
	v_mul_f64 v[18:19], v[12:13], v[16:17]
	v_mul_f64 v[20:21], v[10:11], v[16:17]
	v_fma_f64 v[18:19], v[10:11], v[14:15], -v[18:19]
	v_fmac_f64_e32 v[20:21], v[12:13], v[14:15]
	v_add_f64 v[38:39], v[38:39], v[18:19]
	v_add_f64 v[40:41], v[20:21], v[40:41]
	ds_read_b128 v[18:21], v28 offset:2304
	s_waitcnt lgkmcnt(0)
	v_mul_f64 v[42:43], v[12:13], v[20:21]
	v_fma_f64 v[42:43], v[10:11], v[18:19], -v[42:43]
	v_mul_f64 v[10:11], v[10:11], v[20:21]
	v_fmac_f64_e32 v[10:11], v[12:13], v[18:19]
	v_add_f64 v[30:31], v[10:11], v[30:31]
	ds_read_b128 v[10:13], v29 offset:2112
	v_add_f64 v[32:33], v[32:33], v[42:43]
	s_waitcnt lgkmcnt(0)
	v_mul_f64 v[42:43], v[12:13], v[16:17]
	v_mul_f64 v[16:17], v[10:11], v[16:17]
	v_fma_f64 v[42:43], v[10:11], v[14:15], -v[42:43]
	v_fmac_f64_e32 v[16:17], v[12:13], v[14:15]
	v_mul_f64 v[14:15], v[12:13], v[20:21]
	v_fma_f64 v[14:15], v[10:11], v[18:19], -v[14:15]
	v_mul_f64 v[10:11], v[10:11], v[20:21]
	v_fmac_f64_e32 v[10:11], v[12:13], v[18:19]
	v_add_f64 v[36:37], v[16:17], v[36:37]
	v_add_f64 v[22:23], v[22:23], v[14:15]
	v_add_f64 v[24:25], v[10:11], v[24:25]
	ds_read_b128 v[10:13], v29 offset:80
	ds_read_b128 v[14:17], v28 offset:2560
	v_add_f64 v[34:35], v[34:35], v[42:43]
	s_waitcnt lgkmcnt(0)
	v_mul_f64 v[18:19], v[12:13], v[16:17]
	v_mul_f64 v[20:21], v[10:11], v[16:17]
	v_fma_f64 v[18:19], v[10:11], v[14:15], -v[18:19]
	v_fmac_f64_e32 v[20:21], v[12:13], v[14:15]
	v_add_f64 v[38:39], v[38:39], v[18:19]
	v_add_f64 v[40:41], v[20:21], v[40:41]
	ds_read_b128 v[18:21], v28 offset:2816
	s_waitcnt lgkmcnt(0)
	v_mul_f64 v[42:43], v[12:13], v[20:21]
	v_fma_f64 v[42:43], v[10:11], v[18:19], -v[42:43]
	v_mul_f64 v[10:11], v[10:11], v[20:21]
	v_fmac_f64_e32 v[10:11], v[12:13], v[18:19]
	v_add_f64 v[30:31], v[10:11], v[30:31]
	ds_read_b128 v[10:13], v29 offset:2128
	v_add_f64 v[32:33], v[32:33], v[42:43]
	s_waitcnt lgkmcnt(0)
	v_mul_f64 v[42:43], v[12:13], v[16:17]
	v_mul_f64 v[16:17], v[10:11], v[16:17]
	v_fma_f64 v[42:43], v[10:11], v[14:15], -v[42:43]
	v_fmac_f64_e32 v[16:17], v[12:13], v[14:15]
	v_mul_f64 v[14:15], v[12:13], v[20:21]
	v_fma_f64 v[14:15], v[10:11], v[18:19], -v[14:15]
	v_mul_f64 v[10:11], v[10:11], v[20:21]
	v_fmac_f64_e32 v[10:11], v[12:13], v[18:19]
	v_add_f64 v[36:37], v[16:17], v[36:37]
	;; [unrolled: 31-line block ×3, first 2 shown]
	ds_read_b128 v[10:13], v29 offset:112
	ds_read_b128 v[18:21], v28 offset:3584
	v_add_f64 v[34:35], v[34:35], v[30:31]
	ds_read_b128 v[30:33], v28 offset:3840
	v_add_f64 v[46:47], v[22:23], v[14:15]
	v_add_f64 v[36:37], v[16:17], v[36:37]
	s_waitcnt lgkmcnt(1)
	v_mul_f64 v[14:15], v[12:13], v[20:21]
	v_fma_f64 v[14:15], v[10:11], v[18:19], -v[14:15]
	v_add_f64 v[22:23], v[38:39], v[14:15]
	s_waitcnt lgkmcnt(0)
	v_mul_f64 v[14:15], v[12:13], v[32:33]
	v_mul_f64 v[16:17], v[10:11], v[20:21]
	v_fma_f64 v[14:15], v[10:11], v[30:31], -v[14:15]
	v_mul_f64 v[10:11], v[10:11], v[32:33]
	v_fmac_f64_e32 v[16:17], v[12:13], v[18:19]
	v_fmac_f64_e32 v[10:11], v[12:13], v[30:31]
	v_add_f64 v[24:25], v[16:17], v[40:41]
	v_add_f64 v[16:17], v[10:11], v[44:45]
	ds_read_b128 v[10:13], v29 offset:2160
	v_add_f64 v[14:15], v[42:43], v[14:15]
	s_waitcnt lgkmcnt(0)
	s_barrier
	v_mul_f64 v[38:39], v[12:13], v[20:21]
	v_fma_f64 v[38:39], v[10:11], v[18:19], -v[38:39]
	v_mul_f64 v[20:21], v[10:11], v[20:21]
	v_fmac_f64_e32 v[20:21], v[12:13], v[18:19]
	v_add_f64 v[18:19], v[34:35], v[38:39]
	v_mul_f64 v[34:35], v[12:13], v[32:33]
	v_mul_f64 v[32:33], v[10:11], v[32:33]
	v_fma_f64 v[34:35], v[10:11], v[30:31], -v[34:35]
	v_fmac_f64_e32 v[32:33], v[12:13], v[30:31]
	v_add_f64 v[20:21], v[20:21], v[36:37]
	v_add_f64 v[10:11], v[46:47], v[34:35]
	;; [unrolled: 1-line block ×3, first 2 shown]
	s_cbranch_vccnz .LBB131_2
	s_branch .LBB131_4
.LBB131_3:
	v_mov_b64_e32 v[22:23], 0
	v_mov_b64_e32 v[24:25], 0
	;; [unrolled: 1-line block ×8, first 2 shown]
.LBB131_4:
	s_load_dwordx2 s[0:1], s[0:1], 0x90
	v_cmp_neq_f64_e64 s[8:9], s[10:11], 0
	v_lshl_add_u64 v[2:3], s[6:7], 0, v[2:3]
	s_mov_b64 s[6:7], 0
	v_lshl_add_u64 v[0:1], s[2:3], 0, v[0:1]
	s_waitcnt lgkmcnt(0)
	s_mul_i32 s1, s1, s4
	s_mul_hi_u32 s5, s0, s4
	s_mul_i32 s0, s0, s4
	s_add_i32 s1, s5, s1
	s_lshl_b64 s[0:1], s[0:1], 4
	s_add_u32 s0, s20, s0
	s_addc_u32 s1, s21, s1
	v_cmp_neq_f64_e64 s[20:21], s[12:13], 0
	s_or_b64 s[8:9], s[8:9], s[20:21]
	s_and_b64 vcc, exec, s[8:9]
	s_cbranch_vccnz .LBB131_6
; %bb.5:
	v_mul_lo_u32 v6, v3, s22
	v_mul_lo_u32 v7, v2, s23
	v_mad_u64_u32 v[4:5], s[2:3], v2, s22, 0
	v_add3_u32 v5, v5, v7, v6
	v_lshl_add_u64 v[8:9], v[4:5], 4, s[0:1]
	v_mul_f64 v[4:5], s[40:41], v[24:25]
	v_mul_f64 v[6:7], s[38:39], v[24:25]
	v_lshlrev_b64 v[26:27], 4, v[0:1]
	v_fma_f64 v[4:5], s[38:39], v[22:23], -v[4:5]
	v_fmac_f64_e32 v[6:7], s[40:41], v[22:23]
	v_lshl_add_u64 v[28:29], v[8:9], 0, v[26:27]
	global_store_dwordx4 v[28:29], v[4:7], off
	s_lshl_b64 s[2:3], s[22:23], 8
	v_lshl_add_u64 v[8:9], v[8:9], 0, s[2:3]
	v_mul_f64 v[4:5], s[40:41], v[16:17]
	v_mul_f64 v[6:7], s[38:39], v[16:17]
	v_fma_f64 v[4:5], s[38:39], v[14:15], -v[4:5]
	v_fmac_f64_e32 v[6:7], s[40:41], v[14:15]
	global_store_dwordx4 v[28:29], v[4:7], off offset:256
	v_lshl_add_u64 v[8:9], v[8:9], 0, v[26:27]
	s_mov_b64 s[2:3], 0x100
	v_mul_f64 v[4:5], s[40:41], v[20:21]
	v_mul_f64 v[6:7], s[38:39], v[20:21]
	v_fma_f64 v[4:5], s[38:39], v[18:19], -v[4:5]
	v_fmac_f64_e32 v[6:7], s[40:41], v[18:19]
	global_store_dwordx4 v[8:9], v[4:7], off
	s_nop 1
	v_mul_f64 v[4:5], s[40:41], v[12:13]
	v_fma_f64 v[26:27], s[38:39], v[10:11], -v[4:5]
	v_mul_f64 v[4:5], s[38:39], v[12:13]
	v_fmac_f64_e32 v[4:5], s[40:41], v[10:11]
	v_lshl_add_u64 v[6:7], v[8:9], 0, s[2:3]
	global_store_dwordx2 v[8:9], v[26:27], off offset:256
	s_andn2_b64 vcc, exec, s[6:7]
	s_cbranch_vccz .LBB131_7
	s_branch .LBB131_8
.LBB131_6:
                                        ; implicit-def: $vgpr4_vgpr5
                                        ; implicit-def: $vgpr6_vgpr7
.LBB131_7:
	s_mul_i32 s2, s19, s4
	s_mul_hi_u32 s3, s18, s4
	s_add_i32 s3, s3, s2
	s_mul_i32 s2, s18, s4
	s_lshl_b64 s[2:3], s[2:3], 4
	s_add_u32 s2, s14, s2
	v_mul_lo_u32 v6, v3, s16
	v_mul_lo_u32 v7, v2, s17
	v_mad_u64_u32 v[4:5], s[4:5], v2, s16, 0
	s_addc_u32 s3, s15, s3
	v_add3_u32 v5, v5, v7, v6
	v_lshl_add_u64 v[8:9], v[4:5], 4, s[2:3]
	v_lshlrev_b64 v[26:27], 4, v[0:1]
	v_lshl_add_u64 v[28:29], v[8:9], 0, v[26:27]
	global_load_dwordx4 v[4:7], v[28:29], off
	v_mul_lo_u32 v30, v3, s22
	v_mul_lo_u32 v31, v2, s23
	v_mad_u64_u32 v[0:1], s[2:3], v2, s22, 0
	v_mul_f64 v[2:3], s[40:41], v[24:25]
	v_mul_f64 v[24:25], s[38:39], v[24:25]
	v_add3_u32 v1, v1, v31, v30
	v_fma_f64 v[2:3], s[38:39], v[22:23], -v[2:3]
	v_fmac_f64_e32 v[24:25], s[40:41], v[22:23]
	v_lshl_add_u64 v[22:23], v[0:1], 4, s[0:1]
	v_lshl_add_u64 v[30:31], v[22:23], 0, v[26:27]
	s_lshl_b64 s[0:1], s[16:17], 8
	v_lshl_add_u64 v[8:9], v[8:9], 0, s[0:1]
	v_lshl_add_u64 v[8:9], v[8:9], 0, v[26:27]
	s_lshl_b64 s[0:1], s[22:23], 8
	s_waitcnt vmcnt(0)
	v_mul_f64 v[0:1], s[12:13], v[6:7]
	v_mul_f64 v[6:7], s[10:11], v[6:7]
	v_fma_f64 v[0:1], s[10:11], v[4:5], -v[0:1]
	v_fmac_f64_e32 v[6:7], s[12:13], v[4:5]
	v_add_f64 v[0:1], v[2:3], v[0:1]
	v_add_f64 v[2:3], v[24:25], v[6:7]
	global_store_dwordx4 v[30:31], v[0:3], off
	global_load_dwordx4 v[0:3], v[28:29], off offset:256
	v_mul_f64 v[4:5], s[40:41], v[16:17]
	v_mul_f64 v[6:7], s[38:39], v[16:17]
	v_fma_f64 v[4:5], s[38:39], v[14:15], -v[4:5]
	v_fmac_f64_e32 v[6:7], s[40:41], v[14:15]
	s_waitcnt vmcnt(0)
	v_mul_f64 v[14:15], s[12:13], v[2:3]
	v_mul_f64 v[2:3], s[10:11], v[2:3]
	v_fma_f64 v[14:15], s[10:11], v[0:1], -v[14:15]
	v_fmac_f64_e32 v[2:3], s[12:13], v[0:1]
	v_add_f64 v[0:1], v[4:5], v[14:15]
	v_add_f64 v[2:3], v[6:7], v[2:3]
	global_store_dwordx4 v[30:31], v[0:3], off offset:256
	global_load_dwordx4 v[0:3], v[8:9], off
	v_mul_f64 v[4:5], s[40:41], v[20:21]
	v_mul_f64 v[6:7], s[38:39], v[20:21]
	v_fma_f64 v[4:5], s[38:39], v[18:19], -v[4:5]
	v_fmac_f64_e32 v[6:7], s[40:41], v[18:19]
	v_lshl_add_u64 v[14:15], v[22:23], 0, s[0:1]
	v_lshl_add_u64 v[14:15], v[14:15], 0, v[26:27]
	s_mov_b64 s[0:1], 0x100
	s_waitcnt vmcnt(0)
	v_mul_f64 v[16:17], s[12:13], v[2:3]
	v_mul_f64 v[2:3], s[10:11], v[2:3]
	v_fma_f64 v[16:17], s[10:11], v[0:1], -v[16:17]
	v_fmac_f64_e32 v[2:3], s[12:13], v[0:1]
	v_add_f64 v[0:1], v[4:5], v[16:17]
	v_add_f64 v[2:3], v[6:7], v[2:3]
	global_store_dwordx4 v[14:15], v[0:3], off
	global_load_dwordx4 v[0:3], v[8:9], off offset:256
	v_mul_f64 v[4:5], s[40:41], v[12:13]
	v_mul_f64 v[6:7], s[38:39], v[12:13]
	v_fma_f64 v[4:5], s[38:39], v[10:11], -v[4:5]
	v_fmac_f64_e32 v[6:7], s[40:41], v[10:11]
	s_waitcnt vmcnt(0)
	v_mul_f64 v[8:9], s[12:13], v[2:3]
	v_mul_f64 v[2:3], s[10:11], v[2:3]
	v_fma_f64 v[8:9], s[10:11], v[0:1], -v[8:9]
	v_fmac_f64_e32 v[2:3], s[12:13], v[0:1]
	v_add_f64 v[0:1], v[4:5], v[8:9]
	v_add_f64 v[4:5], v[6:7], v[2:3]
	v_lshl_add_u64 v[6:7], v[14:15], 0, s[0:1]
	global_store_dwordx2 v[14:15], v[0:1], off offset:256
.LBB131_8:
	global_store_dwordx2 v[6:7], v[4:5], off offset:8
	s_endpgm
	.section	.rodata,"a",@progbits
	.p2align	6, 0x0
	.amdhsa_kernel _ZN12_GLOBAL__N_127rocblas_gemm_batched_kernelI19rocblas_complex_numIdELi16ELi16ELi32ELi32ELi8ELi32ELi8ELi8ELi32ELc67ELc67EKS2_S3_S2_EEvlllT_PT11_llS6_llS4_PT12_llPT13_lli
		.amdhsa_group_segment_fixed_size 8192
		.amdhsa_private_segment_fixed_size 0
		.amdhsa_kernarg_size 156
		.amdhsa_user_sgpr_count 2
		.amdhsa_user_sgpr_dispatch_ptr 0
		.amdhsa_user_sgpr_queue_ptr 0
		.amdhsa_user_sgpr_kernarg_segment_ptr 1
		.amdhsa_user_sgpr_dispatch_id 0
		.amdhsa_user_sgpr_kernarg_preload_length 0
		.amdhsa_user_sgpr_kernarg_preload_offset 0
		.amdhsa_user_sgpr_private_segment_size 0
		.amdhsa_uses_dynamic_stack 0
		.amdhsa_enable_private_segment 0
		.amdhsa_system_sgpr_workgroup_id_x 1
		.amdhsa_system_sgpr_workgroup_id_y 1
		.amdhsa_system_sgpr_workgroup_id_z 1
		.amdhsa_system_sgpr_workgroup_info 0
		.amdhsa_system_vgpr_workitem_id 1
		.amdhsa_next_free_vgpr 56
		.amdhsa_next_free_sgpr 52
		.amdhsa_accum_offset 56
		.amdhsa_reserve_vcc 1
		.amdhsa_float_round_mode_32 0
		.amdhsa_float_round_mode_16_64 0
		.amdhsa_float_denorm_mode_32 3
		.amdhsa_float_denorm_mode_16_64 3
		.amdhsa_dx10_clamp 1
		.amdhsa_ieee_mode 1
		.amdhsa_fp16_overflow 0
		.amdhsa_tg_split 0
		.amdhsa_exception_fp_ieee_invalid_op 0
		.amdhsa_exception_fp_denorm_src 0
		.amdhsa_exception_fp_ieee_div_zero 0
		.amdhsa_exception_fp_ieee_overflow 0
		.amdhsa_exception_fp_ieee_underflow 0
		.amdhsa_exception_fp_ieee_inexact 0
		.amdhsa_exception_int_div_zero 0
	.end_amdhsa_kernel
	.section	.text._ZN12_GLOBAL__N_127rocblas_gemm_batched_kernelI19rocblas_complex_numIdELi16ELi16ELi32ELi32ELi8ELi32ELi8ELi8ELi32ELc67ELc67EKS2_S3_S2_EEvlllT_PT11_llS6_llS4_PT12_llPT13_lli,"axG",@progbits,_ZN12_GLOBAL__N_127rocblas_gemm_batched_kernelI19rocblas_complex_numIdELi16ELi16ELi32ELi32ELi8ELi32ELi8ELi8ELi32ELc67ELc67EKS2_S3_S2_EEvlllT_PT11_llS6_llS4_PT12_llPT13_lli,comdat
.Lfunc_end131:
	.size	_ZN12_GLOBAL__N_127rocblas_gemm_batched_kernelI19rocblas_complex_numIdELi16ELi16ELi32ELi32ELi8ELi32ELi8ELi8ELi32ELc67ELc67EKS2_S3_S2_EEvlllT_PT11_llS6_llS4_PT12_llPT13_lli, .Lfunc_end131-_ZN12_GLOBAL__N_127rocblas_gemm_batched_kernelI19rocblas_complex_numIdELi16ELi16ELi32ELi32ELi8ELi32ELi8ELi8ELi32ELc67ELc67EKS2_S3_S2_EEvlllT_PT11_llS6_llS4_PT12_llPT13_lli
                                        ; -- End function
	.set _ZN12_GLOBAL__N_127rocblas_gemm_batched_kernelI19rocblas_complex_numIdELi16ELi16ELi32ELi32ELi8ELi32ELi8ELi8ELi32ELc67ELc67EKS2_S3_S2_EEvlllT_PT11_llS6_llS4_PT12_llPT13_lli.num_vgpr, 56
	.set _ZN12_GLOBAL__N_127rocblas_gemm_batched_kernelI19rocblas_complex_numIdELi16ELi16ELi32ELi32ELi8ELi32ELi8ELi8ELi32ELc67ELc67EKS2_S3_S2_EEvlllT_PT11_llS6_llS4_PT12_llPT13_lli.num_agpr, 0
	.set _ZN12_GLOBAL__N_127rocblas_gemm_batched_kernelI19rocblas_complex_numIdELi16ELi16ELi32ELi32ELi8ELi32ELi8ELi8ELi32ELc67ELc67EKS2_S3_S2_EEvlllT_PT11_llS6_llS4_PT12_llPT13_lli.numbered_sgpr, 52
	.set _ZN12_GLOBAL__N_127rocblas_gemm_batched_kernelI19rocblas_complex_numIdELi16ELi16ELi32ELi32ELi8ELi32ELi8ELi8ELi32ELc67ELc67EKS2_S3_S2_EEvlllT_PT11_llS6_llS4_PT12_llPT13_lli.num_named_barrier, 0
	.set _ZN12_GLOBAL__N_127rocblas_gemm_batched_kernelI19rocblas_complex_numIdELi16ELi16ELi32ELi32ELi8ELi32ELi8ELi8ELi32ELc67ELc67EKS2_S3_S2_EEvlllT_PT11_llS6_llS4_PT12_llPT13_lli.private_seg_size, 0
	.set _ZN12_GLOBAL__N_127rocblas_gemm_batched_kernelI19rocblas_complex_numIdELi16ELi16ELi32ELi32ELi8ELi32ELi8ELi8ELi32ELc67ELc67EKS2_S3_S2_EEvlllT_PT11_llS6_llS4_PT12_llPT13_lli.uses_vcc, 1
	.set _ZN12_GLOBAL__N_127rocblas_gemm_batched_kernelI19rocblas_complex_numIdELi16ELi16ELi32ELi32ELi8ELi32ELi8ELi8ELi32ELc67ELc67EKS2_S3_S2_EEvlllT_PT11_llS6_llS4_PT12_llPT13_lli.uses_flat_scratch, 0
	.set _ZN12_GLOBAL__N_127rocblas_gemm_batched_kernelI19rocblas_complex_numIdELi16ELi16ELi32ELi32ELi8ELi32ELi8ELi8ELi32ELc67ELc67EKS2_S3_S2_EEvlllT_PT11_llS6_llS4_PT12_llPT13_lli.has_dyn_sized_stack, 0
	.set _ZN12_GLOBAL__N_127rocblas_gemm_batched_kernelI19rocblas_complex_numIdELi16ELi16ELi32ELi32ELi8ELi32ELi8ELi8ELi32ELc67ELc67EKS2_S3_S2_EEvlllT_PT11_llS6_llS4_PT12_llPT13_lli.has_recursion, 0
	.set _ZN12_GLOBAL__N_127rocblas_gemm_batched_kernelI19rocblas_complex_numIdELi16ELi16ELi32ELi32ELi8ELi32ELi8ELi8ELi32ELc67ELc67EKS2_S3_S2_EEvlllT_PT11_llS6_llS4_PT12_llPT13_lli.has_indirect_call, 0
	.section	.AMDGPU.csdata,"",@progbits
; Kernel info:
; codeLenInByte = 3200
; TotalNumSgprs: 58
; NumVgprs: 56
; NumAgprs: 0
; TotalNumVgprs: 56
; ScratchSize: 0
; MemoryBound: 0
; FloatMode: 240
; IeeeMode: 1
; LDSByteSize: 8192 bytes/workgroup (compile time only)
; SGPRBlocks: 7
; VGPRBlocks: 6
; NumSGPRsForWavesPerEU: 58
; NumVGPRsForWavesPerEU: 56
; AccumOffset: 56
; Occupancy: 8
; WaveLimiterHint : 1
; COMPUTE_PGM_RSRC2:SCRATCH_EN: 0
; COMPUTE_PGM_RSRC2:USER_SGPR: 2
; COMPUTE_PGM_RSRC2:TRAP_HANDLER: 0
; COMPUTE_PGM_RSRC2:TGID_X_EN: 1
; COMPUTE_PGM_RSRC2:TGID_Y_EN: 1
; COMPUTE_PGM_RSRC2:TGID_Z_EN: 1
; COMPUTE_PGM_RSRC2:TIDIG_COMP_CNT: 1
; COMPUTE_PGM_RSRC3_GFX90A:ACCUM_OFFSET: 13
; COMPUTE_PGM_RSRC3_GFX90A:TG_SPLIT: 0
	.section	.text._ZN12_GLOBAL__N_127rocblas_gemm_batched_kernelI19rocblas_complex_numIdELi16ELi16ELi32ELi32ELi8ELi32ELi8ELi8ELi32ELc67ELc78EKS2_S3_S2_EEvlllT_PT11_llS6_llS4_PT12_llPT13_lli,"axG",@progbits,_ZN12_GLOBAL__N_127rocblas_gemm_batched_kernelI19rocblas_complex_numIdELi16ELi16ELi32ELi32ELi8ELi32ELi8ELi8ELi32ELc67ELc78EKS2_S3_S2_EEvlllT_PT11_llS6_llS4_PT12_llPT13_lli,comdat
	.globl	_ZN12_GLOBAL__N_127rocblas_gemm_batched_kernelI19rocblas_complex_numIdELi16ELi16ELi32ELi32ELi8ELi32ELi8ELi8ELi32ELc67ELc78EKS2_S3_S2_EEvlllT_PT11_llS6_llS4_PT12_llPT13_lli ; -- Begin function _ZN12_GLOBAL__N_127rocblas_gemm_batched_kernelI19rocblas_complex_numIdELi16ELi16ELi32ELi32ELi8ELi32ELi8ELi8ELi32ELc67ELc78EKS2_S3_S2_EEvlllT_PT11_llS6_llS4_PT12_llPT13_lli
	.p2align	8
	.type	_ZN12_GLOBAL__N_127rocblas_gemm_batched_kernelI19rocblas_complex_numIdELi16ELi16ELi32ELi32ELi8ELi32ELi8ELi8ELi32ELc67ELc78EKS2_S3_S2_EEvlllT_PT11_llS6_llS4_PT12_llPT13_lli,@function
_ZN12_GLOBAL__N_127rocblas_gemm_batched_kernelI19rocblas_complex_numIdELi16ELi16ELi32ELi32ELi8ELi32ELi8ELi8ELi32ELc67ELc78EKS2_S3_S2_EEvlllT_PT11_llS6_llS4_PT12_llPT13_lli: ; @_ZN12_GLOBAL__N_127rocblas_gemm_batched_kernelI19rocblas_complex_numIdELi16ELi16ELi32ELi32ELi8ELi32ELi8ELi8ELi32ELc67ELc78EKS2_S3_S2_EEvlllT_PT11_llS6_llS4_PT12_llPT13_lli
; %bb.0:
	s_load_dwordx16 s[36:51], s[0:1], 0x10
	s_load_dwordx16 s[8:23], s[0:1], 0x50
	s_mov_b32 s6, s3
	v_mov_b32_e32 v3, 0
	s_ashr_i32 s3, s2, 31
	s_ashr_i32 s7, s6, 31
	s_waitcnt lgkmcnt(0)
	v_cmp_lt_i64_e64 s[24:25], s[36:37], 1
	v_bfe_u32 v2, v0, 10, 10
	v_and_b32_e32 v0, 0x3ff, v0
	v_mov_b32_e32 v1, v3
	s_lshl_b64 s[2:3], s[2:3], 5
	s_lshl_b64 s[6:7], s[6:7], 5
	s_and_b64 vcc, exec, s[24:25]
	s_cbranch_vccnz .LBB132_3
; %bb.1:
	v_lshl_add_u32 v10, v2, 4, v0
	v_lshrrev_b32_e32 v4, 3, v10
	v_mov_b32_e32 v5, v3
	v_and_b32_e32 v8, 31, v10
	v_lshl_add_u64 v[6:7], v[4:5], 0, s[6:7]
	v_and_b32_e32 v5, 7, v0
	v_lshrrev_b32_e32 v11, 5, v10
	v_lshlrev_b32_e32 v10, 4, v8
	v_lshl_or_b32 v26, v11, 9, v10
	v_lshlrev_b32_e32 v10, 4, v5
	v_lshl_or_b32 v4, v4, 7, v10
	v_mov_b32_e32 v9, v3
	v_add_u32_e32 v27, 0x1000, v4
	v_mov_b32_e32 v4, 0x1000
	v_lshl_add_u32 v29, v2, 7, v4
	v_lshl_add_u64 v[4:5], s[2:3], 0, v[8:9]
	v_mul_lo_u32 v8, s45, v4
	v_mul_lo_u32 v9, s44, v5
	v_mad_u64_u32 v[4:5], s[24:25], s44, v4, 0
	s_mul_i32 s5, s47, s4
	s_mul_hi_u32 s24, s46, s4
	s_add_i32 s25, s24, s5
	s_mul_i32 s24, s46, s4
	v_add3_u32 v5, v5, v9, v8
	s_lshl_b64 s[24:25], s[24:25], 4
	v_lshl_add_u64 v[4:5], v[4:5], 4, s[24:25]
	v_lshlrev_b32_e32 v8, 4, v11
	v_mov_b32_e32 v9, v3
	s_mul_i32 s5, s9, s4
	s_mul_hi_u32 s9, s8, s4
	v_lshl_add_u64 v[4:5], v[4:5], 0, v[8:9]
	v_mul_lo_u32 v8, s51, v6
	v_mul_lo_u32 v9, s50, v7
	v_mad_u64_u32 v[6:7], s[24:25], s50, v6, 0
	s_add_i32 s9, s9, s5
	s_mul_i32 s8, s8, s4
	v_add3_u32 v7, v7, v9, v8
	s_lshl_b64 s[8:9], s[8:9], 4
	v_lshl_add_u64 v[6:7], v[6:7], 4, s[8:9]
	v_mov_b32_e32 v11, v3
	v_lshl_add_u64 v[4:5], s[42:43], 0, v[4:5]
	v_lshl_add_u64 v[6:7], v[6:7], 0, v[10:11]
	v_lshlrev_b32_e32 v28, 4, v0
	v_lshl_add_u64 v[4:5], v[4:5], 0, 8
	v_lshl_add_u64 v[6:7], s[48:49], 0, v[6:7]
	s_mov_b64 s[8:9], 0
	v_mov_b64_e32 v[12:13], 0
	s_mov_b64 s[24:25], 0x80
	v_mov_b64_e32 v[8:9], s[36:37]
	v_mov_b64_e32 v[10:11], 0
	;; [unrolled: 1-line block ×8, first 2 shown]
.LBB132_2:                              ; =>This Inner Loop Header: Depth=1
	global_load_dwordx4 v[30:33], v[4:5], off offset:-8
	s_add_u32 s8, s8, 8
	s_addc_u32 s9, s9, 0
	v_cmp_lt_i64_e32 vcc, s[8:9], v[8:9]
	v_lshl_add_u64 v[4:5], v[4:5], 0, s[24:25]
	s_and_b64 vcc, exec, vcc
	s_waitcnt vmcnt(0)
	v_xor_b32_e32 v33, 0x80000000, v33
	ds_write_b128 v26, v[30:33]
	global_load_dwordx4 v[30:33], v[6:7], off
	v_lshl_add_u64 v[6:7], v[6:7], 0, s[24:25]
	s_waitcnt vmcnt(0)
	ds_write2_b64 v27, v[30:31], v[32:33] offset1:1
	s_waitcnt lgkmcnt(0)
	s_barrier
	ds_read_b128 v[30:33], v29
	ds_read_b128 v[34:37], v29 offset:16
	ds_read_b128 v[38:41], v29 offset:32
	;; [unrolled: 1-line block ×3, first 2 shown]
	ds_read_b128 v[46:49], v28
	s_waitcnt lgkmcnt(0)
	v_mul_f64 v[50:51], v[32:33], v[48:49]
	v_mul_f64 v[52:53], v[30:31], v[48:49]
	v_fma_f64 v[50:51], v[30:31], v[46:47], -v[50:51]
	v_fmac_f64_e32 v[52:53], v[32:33], v[46:47]
	v_add_f64 v[50:51], v[22:23], v[50:51]
	v_add_f64 v[52:53], v[52:53], v[24:25]
	ds_read_b128 v[22:25], v28 offset:256
	s_waitcnt lgkmcnt(0)
	v_mul_f64 v[54:55], v[32:33], v[24:25]
	v_fma_f64 v[54:55], v[30:31], v[22:23], -v[54:55]
	v_mul_f64 v[30:31], v[30:31], v[24:25]
	v_fmac_f64_e32 v[30:31], v[32:33], v[22:23]
	v_add_f64 v[32:33], v[14:15], v[54:55]
	v_add_f64 v[30:31], v[30:31], v[16:17]
	ds_read_b128 v[14:17], v29 offset:2048
	s_waitcnt lgkmcnt(0)
	v_mul_f64 v[54:55], v[16:17], v[48:49]
	v_fma_f64 v[54:55], v[14:15], v[46:47], -v[54:55]
	v_mul_f64 v[48:49], v[14:15], v[48:49]
	v_fmac_f64_e32 v[48:49], v[16:17], v[46:47]
	v_add_f64 v[46:47], v[18:19], v[54:55]
	v_mul_f64 v[18:19], v[16:17], v[24:25]
	v_fma_f64 v[18:19], v[14:15], v[22:23], -v[18:19]
	v_mul_f64 v[14:15], v[14:15], v[24:25]
	v_fmac_f64_e32 v[14:15], v[16:17], v[22:23]
	v_add_f64 v[22:23], v[10:11], v[18:19]
	v_add_f64 v[24:25], v[14:15], v[12:13]
	ds_read_b128 v[10:13], v28 offset:512
	v_add_f64 v[48:49], v[48:49], v[20:21]
	s_waitcnt lgkmcnt(0)
	v_mul_f64 v[14:15], v[36:37], v[12:13]
	v_mul_f64 v[16:17], v[34:35], v[12:13]
	v_fma_f64 v[14:15], v[34:35], v[10:11], -v[14:15]
	v_fmac_f64_e32 v[16:17], v[36:37], v[10:11]
	v_add_f64 v[50:51], v[50:51], v[14:15]
	v_add_f64 v[52:53], v[16:17], v[52:53]
	ds_read_b128 v[14:17], v28 offset:768
	s_waitcnt lgkmcnt(0)
	v_mul_f64 v[18:19], v[36:37], v[16:17]
	v_mul_f64 v[20:21], v[34:35], v[16:17]
	v_fma_f64 v[18:19], v[34:35], v[14:15], -v[18:19]
	v_fmac_f64_e32 v[20:21], v[36:37], v[14:15]
	v_add_f64 v[32:33], v[32:33], v[18:19]
	v_add_f64 v[30:31], v[20:21], v[30:31]
	ds_read_b128 v[18:21], v29 offset:2064
	s_waitcnt lgkmcnt(0)
	v_mul_f64 v[34:35], v[20:21], v[12:13]
	v_mul_f64 v[12:13], v[18:19], v[12:13]
	v_fmac_f64_e32 v[12:13], v[20:21], v[10:11]
	v_fma_f64 v[34:35], v[18:19], v[10:11], -v[34:35]
	v_add_f64 v[36:37], v[12:13], v[48:49]
	v_mul_f64 v[10:11], v[20:21], v[16:17]
	v_mul_f64 v[12:13], v[18:19], v[16:17]
	v_fma_f64 v[10:11], v[18:19], v[14:15], -v[10:11]
	v_fmac_f64_e32 v[12:13], v[20:21], v[14:15]
	v_add_f64 v[22:23], v[22:23], v[10:11]
	v_add_f64 v[24:25], v[12:13], v[24:25]
	ds_read_b128 v[10:13], v28 offset:1024
	v_add_f64 v[34:35], v[46:47], v[34:35]
	s_waitcnt lgkmcnt(0)
	v_mul_f64 v[14:15], v[40:41], v[12:13]
	v_mul_f64 v[16:17], v[38:39], v[12:13]
	v_fma_f64 v[14:15], v[38:39], v[10:11], -v[14:15]
	v_fmac_f64_e32 v[16:17], v[40:41], v[10:11]
	v_add_f64 v[46:47], v[50:51], v[14:15]
	v_add_f64 v[48:49], v[16:17], v[52:53]
	ds_read_b128 v[14:17], v28 offset:1280
	s_waitcnt lgkmcnt(0)
	v_mul_f64 v[18:19], v[40:41], v[16:17]
	v_mul_f64 v[20:21], v[38:39], v[16:17]
	v_fma_f64 v[18:19], v[38:39], v[14:15], -v[18:19]
	v_fmac_f64_e32 v[20:21], v[40:41], v[14:15]
	v_add_f64 v[32:33], v[32:33], v[18:19]
	v_add_f64 v[30:31], v[20:21], v[30:31]
	ds_read_b128 v[18:21], v29 offset:2080
	s_waitcnt lgkmcnt(0)
	v_mul_f64 v[38:39], v[20:21], v[12:13]
	v_mul_f64 v[12:13], v[18:19], v[12:13]
	v_fmac_f64_e32 v[12:13], v[20:21], v[10:11]
	v_fma_f64 v[38:39], v[18:19], v[10:11], -v[38:39]
	v_add_f64 v[36:37], v[12:13], v[36:37]
	v_mul_f64 v[10:11], v[20:21], v[16:17]
	v_mul_f64 v[12:13], v[18:19], v[16:17]
	v_fma_f64 v[10:11], v[18:19], v[14:15], -v[10:11]
	;; [unrolled: 30-line block ×3, first 2 shown]
	v_fmac_f64_e32 v[12:13], v[20:21], v[14:15]
	v_add_f64 v[22:23], v[22:23], v[10:11]
	v_add_f64 v[24:25], v[12:13], v[24:25]
	ds_read_b128 v[10:13], v29 offset:64
	ds_read_b128 v[14:17], v28 offset:2048
	v_add_f64 v[34:35], v[34:35], v[42:43]
	s_waitcnt lgkmcnt(0)
	v_mul_f64 v[18:19], v[12:13], v[16:17]
	v_mul_f64 v[20:21], v[10:11], v[16:17]
	v_fma_f64 v[18:19], v[10:11], v[14:15], -v[18:19]
	v_fmac_f64_e32 v[20:21], v[12:13], v[14:15]
	v_add_f64 v[38:39], v[38:39], v[18:19]
	v_add_f64 v[40:41], v[20:21], v[40:41]
	ds_read_b128 v[18:21], v28 offset:2304
	s_waitcnt lgkmcnt(0)
	v_mul_f64 v[42:43], v[12:13], v[20:21]
	v_fma_f64 v[42:43], v[10:11], v[18:19], -v[42:43]
	v_mul_f64 v[10:11], v[10:11], v[20:21]
	v_fmac_f64_e32 v[10:11], v[12:13], v[18:19]
	v_add_f64 v[30:31], v[10:11], v[30:31]
	ds_read_b128 v[10:13], v29 offset:2112
	v_add_f64 v[32:33], v[32:33], v[42:43]
	s_waitcnt lgkmcnt(0)
	v_mul_f64 v[42:43], v[12:13], v[16:17]
	v_mul_f64 v[16:17], v[10:11], v[16:17]
	v_fma_f64 v[42:43], v[10:11], v[14:15], -v[42:43]
	v_fmac_f64_e32 v[16:17], v[12:13], v[14:15]
	v_mul_f64 v[14:15], v[12:13], v[20:21]
	v_fma_f64 v[14:15], v[10:11], v[18:19], -v[14:15]
	v_mul_f64 v[10:11], v[10:11], v[20:21]
	v_fmac_f64_e32 v[10:11], v[12:13], v[18:19]
	v_add_f64 v[36:37], v[16:17], v[36:37]
	v_add_f64 v[22:23], v[22:23], v[14:15]
	v_add_f64 v[24:25], v[10:11], v[24:25]
	ds_read_b128 v[10:13], v29 offset:80
	ds_read_b128 v[14:17], v28 offset:2560
	v_add_f64 v[34:35], v[34:35], v[42:43]
	s_waitcnt lgkmcnt(0)
	v_mul_f64 v[18:19], v[12:13], v[16:17]
	v_mul_f64 v[20:21], v[10:11], v[16:17]
	v_fma_f64 v[18:19], v[10:11], v[14:15], -v[18:19]
	v_fmac_f64_e32 v[20:21], v[12:13], v[14:15]
	v_add_f64 v[38:39], v[38:39], v[18:19]
	v_add_f64 v[40:41], v[20:21], v[40:41]
	ds_read_b128 v[18:21], v28 offset:2816
	s_waitcnt lgkmcnt(0)
	v_mul_f64 v[42:43], v[12:13], v[20:21]
	v_fma_f64 v[42:43], v[10:11], v[18:19], -v[42:43]
	v_mul_f64 v[10:11], v[10:11], v[20:21]
	v_fmac_f64_e32 v[10:11], v[12:13], v[18:19]
	v_add_f64 v[30:31], v[10:11], v[30:31]
	ds_read_b128 v[10:13], v29 offset:2128
	v_add_f64 v[32:33], v[32:33], v[42:43]
	s_waitcnt lgkmcnt(0)
	v_mul_f64 v[42:43], v[12:13], v[16:17]
	v_mul_f64 v[16:17], v[10:11], v[16:17]
	v_fma_f64 v[42:43], v[10:11], v[14:15], -v[42:43]
	v_fmac_f64_e32 v[16:17], v[12:13], v[14:15]
	v_mul_f64 v[14:15], v[12:13], v[20:21]
	v_fma_f64 v[14:15], v[10:11], v[18:19], -v[14:15]
	v_mul_f64 v[10:11], v[10:11], v[20:21]
	v_fmac_f64_e32 v[10:11], v[12:13], v[18:19]
	v_add_f64 v[36:37], v[16:17], v[36:37]
	;; [unrolled: 31-line block ×3, first 2 shown]
	ds_read_b128 v[10:13], v29 offset:112
	ds_read_b128 v[18:21], v28 offset:3584
	v_add_f64 v[34:35], v[34:35], v[30:31]
	ds_read_b128 v[30:33], v28 offset:3840
	v_add_f64 v[46:47], v[22:23], v[14:15]
	v_add_f64 v[36:37], v[16:17], v[36:37]
	s_waitcnt lgkmcnt(1)
	v_mul_f64 v[14:15], v[12:13], v[20:21]
	v_fma_f64 v[14:15], v[10:11], v[18:19], -v[14:15]
	v_add_f64 v[22:23], v[38:39], v[14:15]
	s_waitcnt lgkmcnt(0)
	v_mul_f64 v[14:15], v[12:13], v[32:33]
	v_mul_f64 v[16:17], v[10:11], v[20:21]
	v_fma_f64 v[14:15], v[10:11], v[30:31], -v[14:15]
	v_mul_f64 v[10:11], v[10:11], v[32:33]
	v_fmac_f64_e32 v[16:17], v[12:13], v[18:19]
	v_fmac_f64_e32 v[10:11], v[12:13], v[30:31]
	v_add_f64 v[24:25], v[16:17], v[40:41]
	v_add_f64 v[16:17], v[10:11], v[44:45]
	ds_read_b128 v[10:13], v29 offset:2160
	v_add_f64 v[14:15], v[42:43], v[14:15]
	s_waitcnt lgkmcnt(0)
	s_barrier
	v_mul_f64 v[38:39], v[12:13], v[20:21]
	v_fma_f64 v[38:39], v[10:11], v[18:19], -v[38:39]
	v_mul_f64 v[20:21], v[10:11], v[20:21]
	v_fmac_f64_e32 v[20:21], v[12:13], v[18:19]
	v_add_f64 v[18:19], v[34:35], v[38:39]
	v_mul_f64 v[34:35], v[12:13], v[32:33]
	v_mul_f64 v[32:33], v[10:11], v[32:33]
	v_fma_f64 v[34:35], v[10:11], v[30:31], -v[34:35]
	v_fmac_f64_e32 v[32:33], v[12:13], v[30:31]
	v_add_f64 v[20:21], v[20:21], v[36:37]
	v_add_f64 v[10:11], v[46:47], v[34:35]
	;; [unrolled: 1-line block ×3, first 2 shown]
	s_cbranch_vccnz .LBB132_2
	s_branch .LBB132_4
.LBB132_3:
	v_mov_b64_e32 v[22:23], 0
	v_mov_b64_e32 v[24:25], 0
	;; [unrolled: 1-line block ×8, first 2 shown]
.LBB132_4:
	s_load_dwordx2 s[0:1], s[0:1], 0x90
	v_cmp_neq_f64_e64 s[8:9], s[10:11], 0
	v_lshl_add_u64 v[2:3], s[6:7], 0, v[2:3]
	s_mov_b64 s[6:7], 0
	v_lshl_add_u64 v[0:1], s[2:3], 0, v[0:1]
	s_waitcnt lgkmcnt(0)
	s_mul_i32 s1, s1, s4
	s_mul_hi_u32 s5, s0, s4
	s_mul_i32 s0, s0, s4
	s_add_i32 s1, s5, s1
	s_lshl_b64 s[0:1], s[0:1], 4
	s_add_u32 s0, s20, s0
	s_addc_u32 s1, s21, s1
	v_cmp_neq_f64_e64 s[20:21], s[12:13], 0
	s_or_b64 s[8:9], s[8:9], s[20:21]
	s_and_b64 vcc, exec, s[8:9]
	s_cbranch_vccnz .LBB132_6
; %bb.5:
	v_mul_lo_u32 v6, v3, s22
	v_mul_lo_u32 v7, v2, s23
	v_mad_u64_u32 v[4:5], s[2:3], v2, s22, 0
	v_add3_u32 v5, v5, v7, v6
	v_lshl_add_u64 v[8:9], v[4:5], 4, s[0:1]
	v_mul_f64 v[4:5], s[40:41], v[24:25]
	v_mul_f64 v[6:7], s[38:39], v[24:25]
	v_lshlrev_b64 v[26:27], 4, v[0:1]
	v_fma_f64 v[4:5], s[38:39], v[22:23], -v[4:5]
	v_fmac_f64_e32 v[6:7], s[40:41], v[22:23]
	v_lshl_add_u64 v[28:29], v[8:9], 0, v[26:27]
	global_store_dwordx4 v[28:29], v[4:7], off
	s_lshl_b64 s[2:3], s[22:23], 8
	v_lshl_add_u64 v[8:9], v[8:9], 0, s[2:3]
	v_mul_f64 v[4:5], s[40:41], v[16:17]
	v_mul_f64 v[6:7], s[38:39], v[16:17]
	v_fma_f64 v[4:5], s[38:39], v[14:15], -v[4:5]
	v_fmac_f64_e32 v[6:7], s[40:41], v[14:15]
	global_store_dwordx4 v[28:29], v[4:7], off offset:256
	v_lshl_add_u64 v[8:9], v[8:9], 0, v[26:27]
	s_mov_b64 s[2:3], 0x100
	v_mul_f64 v[4:5], s[40:41], v[20:21]
	v_mul_f64 v[6:7], s[38:39], v[20:21]
	v_fma_f64 v[4:5], s[38:39], v[18:19], -v[4:5]
	v_fmac_f64_e32 v[6:7], s[40:41], v[18:19]
	global_store_dwordx4 v[8:9], v[4:7], off
	s_nop 1
	v_mul_f64 v[4:5], s[40:41], v[12:13]
	v_fma_f64 v[26:27], s[38:39], v[10:11], -v[4:5]
	v_mul_f64 v[4:5], s[38:39], v[12:13]
	v_fmac_f64_e32 v[4:5], s[40:41], v[10:11]
	v_lshl_add_u64 v[6:7], v[8:9], 0, s[2:3]
	global_store_dwordx2 v[8:9], v[26:27], off offset:256
	s_andn2_b64 vcc, exec, s[6:7]
	s_cbranch_vccz .LBB132_7
	s_branch .LBB132_8
.LBB132_6:
                                        ; implicit-def: $vgpr4_vgpr5
                                        ; implicit-def: $vgpr6_vgpr7
.LBB132_7:
	s_mul_i32 s2, s19, s4
	s_mul_hi_u32 s3, s18, s4
	s_add_i32 s3, s3, s2
	s_mul_i32 s2, s18, s4
	s_lshl_b64 s[2:3], s[2:3], 4
	s_add_u32 s2, s14, s2
	v_mul_lo_u32 v6, v3, s16
	v_mul_lo_u32 v7, v2, s17
	v_mad_u64_u32 v[4:5], s[4:5], v2, s16, 0
	s_addc_u32 s3, s15, s3
	v_add3_u32 v5, v5, v7, v6
	v_lshl_add_u64 v[8:9], v[4:5], 4, s[2:3]
	v_lshlrev_b64 v[26:27], 4, v[0:1]
	v_lshl_add_u64 v[28:29], v[8:9], 0, v[26:27]
	global_load_dwordx4 v[4:7], v[28:29], off
	v_mul_lo_u32 v30, v3, s22
	v_mul_lo_u32 v31, v2, s23
	v_mad_u64_u32 v[0:1], s[2:3], v2, s22, 0
	v_mul_f64 v[2:3], s[40:41], v[24:25]
	v_mul_f64 v[24:25], s[38:39], v[24:25]
	v_add3_u32 v1, v1, v31, v30
	v_fma_f64 v[2:3], s[38:39], v[22:23], -v[2:3]
	v_fmac_f64_e32 v[24:25], s[40:41], v[22:23]
	v_lshl_add_u64 v[22:23], v[0:1], 4, s[0:1]
	v_lshl_add_u64 v[30:31], v[22:23], 0, v[26:27]
	s_lshl_b64 s[0:1], s[16:17], 8
	v_lshl_add_u64 v[8:9], v[8:9], 0, s[0:1]
	v_lshl_add_u64 v[8:9], v[8:9], 0, v[26:27]
	s_lshl_b64 s[0:1], s[22:23], 8
	s_waitcnt vmcnt(0)
	v_mul_f64 v[0:1], s[12:13], v[6:7]
	v_mul_f64 v[6:7], s[10:11], v[6:7]
	v_fma_f64 v[0:1], s[10:11], v[4:5], -v[0:1]
	v_fmac_f64_e32 v[6:7], s[12:13], v[4:5]
	v_add_f64 v[0:1], v[2:3], v[0:1]
	v_add_f64 v[2:3], v[24:25], v[6:7]
	global_store_dwordx4 v[30:31], v[0:3], off
	global_load_dwordx4 v[0:3], v[28:29], off offset:256
	v_mul_f64 v[4:5], s[40:41], v[16:17]
	v_mul_f64 v[6:7], s[38:39], v[16:17]
	v_fma_f64 v[4:5], s[38:39], v[14:15], -v[4:5]
	v_fmac_f64_e32 v[6:7], s[40:41], v[14:15]
	s_waitcnt vmcnt(0)
	v_mul_f64 v[14:15], s[12:13], v[2:3]
	v_mul_f64 v[2:3], s[10:11], v[2:3]
	v_fma_f64 v[14:15], s[10:11], v[0:1], -v[14:15]
	v_fmac_f64_e32 v[2:3], s[12:13], v[0:1]
	v_add_f64 v[0:1], v[4:5], v[14:15]
	v_add_f64 v[2:3], v[6:7], v[2:3]
	global_store_dwordx4 v[30:31], v[0:3], off offset:256
	global_load_dwordx4 v[0:3], v[8:9], off
	v_mul_f64 v[4:5], s[40:41], v[20:21]
	v_mul_f64 v[6:7], s[38:39], v[20:21]
	v_fma_f64 v[4:5], s[38:39], v[18:19], -v[4:5]
	v_fmac_f64_e32 v[6:7], s[40:41], v[18:19]
	v_lshl_add_u64 v[14:15], v[22:23], 0, s[0:1]
	v_lshl_add_u64 v[14:15], v[14:15], 0, v[26:27]
	s_mov_b64 s[0:1], 0x100
	s_waitcnt vmcnt(0)
	v_mul_f64 v[16:17], s[12:13], v[2:3]
	v_mul_f64 v[2:3], s[10:11], v[2:3]
	v_fma_f64 v[16:17], s[10:11], v[0:1], -v[16:17]
	v_fmac_f64_e32 v[2:3], s[12:13], v[0:1]
	v_add_f64 v[0:1], v[4:5], v[16:17]
	v_add_f64 v[2:3], v[6:7], v[2:3]
	global_store_dwordx4 v[14:15], v[0:3], off
	global_load_dwordx4 v[0:3], v[8:9], off offset:256
	v_mul_f64 v[4:5], s[40:41], v[12:13]
	v_mul_f64 v[6:7], s[38:39], v[12:13]
	v_fma_f64 v[4:5], s[38:39], v[10:11], -v[4:5]
	v_fmac_f64_e32 v[6:7], s[40:41], v[10:11]
	s_waitcnt vmcnt(0)
	v_mul_f64 v[8:9], s[12:13], v[2:3]
	v_mul_f64 v[2:3], s[10:11], v[2:3]
	v_fma_f64 v[8:9], s[10:11], v[0:1], -v[8:9]
	v_fmac_f64_e32 v[2:3], s[12:13], v[0:1]
	v_add_f64 v[0:1], v[4:5], v[8:9]
	v_add_f64 v[4:5], v[6:7], v[2:3]
	v_lshl_add_u64 v[6:7], v[14:15], 0, s[0:1]
	global_store_dwordx2 v[14:15], v[0:1], off offset:256
.LBB132_8:
	global_store_dwordx2 v[6:7], v[4:5], off offset:8
	s_endpgm
	.section	.rodata,"a",@progbits
	.p2align	6, 0x0
	.amdhsa_kernel _ZN12_GLOBAL__N_127rocblas_gemm_batched_kernelI19rocblas_complex_numIdELi16ELi16ELi32ELi32ELi8ELi32ELi8ELi8ELi32ELc67ELc78EKS2_S3_S2_EEvlllT_PT11_llS6_llS4_PT12_llPT13_lli
		.amdhsa_group_segment_fixed_size 8192
		.amdhsa_private_segment_fixed_size 0
		.amdhsa_kernarg_size 156
		.amdhsa_user_sgpr_count 2
		.amdhsa_user_sgpr_dispatch_ptr 0
		.amdhsa_user_sgpr_queue_ptr 0
		.amdhsa_user_sgpr_kernarg_segment_ptr 1
		.amdhsa_user_sgpr_dispatch_id 0
		.amdhsa_user_sgpr_kernarg_preload_length 0
		.amdhsa_user_sgpr_kernarg_preload_offset 0
		.amdhsa_user_sgpr_private_segment_size 0
		.amdhsa_uses_dynamic_stack 0
		.amdhsa_enable_private_segment 0
		.amdhsa_system_sgpr_workgroup_id_x 1
		.amdhsa_system_sgpr_workgroup_id_y 1
		.amdhsa_system_sgpr_workgroup_id_z 1
		.amdhsa_system_sgpr_workgroup_info 0
		.amdhsa_system_vgpr_workitem_id 1
		.amdhsa_next_free_vgpr 56
		.amdhsa_next_free_sgpr 52
		.amdhsa_accum_offset 56
		.amdhsa_reserve_vcc 1
		.amdhsa_float_round_mode_32 0
		.amdhsa_float_round_mode_16_64 0
		.amdhsa_float_denorm_mode_32 3
		.amdhsa_float_denorm_mode_16_64 3
		.amdhsa_dx10_clamp 1
		.amdhsa_ieee_mode 1
		.amdhsa_fp16_overflow 0
		.amdhsa_tg_split 0
		.amdhsa_exception_fp_ieee_invalid_op 0
		.amdhsa_exception_fp_denorm_src 0
		.amdhsa_exception_fp_ieee_div_zero 0
		.amdhsa_exception_fp_ieee_overflow 0
		.amdhsa_exception_fp_ieee_underflow 0
		.amdhsa_exception_fp_ieee_inexact 0
		.amdhsa_exception_int_div_zero 0
	.end_amdhsa_kernel
	.section	.text._ZN12_GLOBAL__N_127rocblas_gemm_batched_kernelI19rocblas_complex_numIdELi16ELi16ELi32ELi32ELi8ELi32ELi8ELi8ELi32ELc67ELc78EKS2_S3_S2_EEvlllT_PT11_llS6_llS4_PT12_llPT13_lli,"axG",@progbits,_ZN12_GLOBAL__N_127rocblas_gemm_batched_kernelI19rocblas_complex_numIdELi16ELi16ELi32ELi32ELi8ELi32ELi8ELi8ELi32ELc67ELc78EKS2_S3_S2_EEvlllT_PT11_llS6_llS4_PT12_llPT13_lli,comdat
.Lfunc_end132:
	.size	_ZN12_GLOBAL__N_127rocblas_gemm_batched_kernelI19rocblas_complex_numIdELi16ELi16ELi32ELi32ELi8ELi32ELi8ELi8ELi32ELc67ELc78EKS2_S3_S2_EEvlllT_PT11_llS6_llS4_PT12_llPT13_lli, .Lfunc_end132-_ZN12_GLOBAL__N_127rocblas_gemm_batched_kernelI19rocblas_complex_numIdELi16ELi16ELi32ELi32ELi8ELi32ELi8ELi8ELi32ELc67ELc78EKS2_S3_S2_EEvlllT_PT11_llS6_llS4_PT12_llPT13_lli
                                        ; -- End function
	.set _ZN12_GLOBAL__N_127rocblas_gemm_batched_kernelI19rocblas_complex_numIdELi16ELi16ELi32ELi32ELi8ELi32ELi8ELi8ELi32ELc67ELc78EKS2_S3_S2_EEvlllT_PT11_llS6_llS4_PT12_llPT13_lli.num_vgpr, 56
	.set _ZN12_GLOBAL__N_127rocblas_gemm_batched_kernelI19rocblas_complex_numIdELi16ELi16ELi32ELi32ELi8ELi32ELi8ELi8ELi32ELc67ELc78EKS2_S3_S2_EEvlllT_PT11_llS6_llS4_PT12_llPT13_lli.num_agpr, 0
	.set _ZN12_GLOBAL__N_127rocblas_gemm_batched_kernelI19rocblas_complex_numIdELi16ELi16ELi32ELi32ELi8ELi32ELi8ELi8ELi32ELc67ELc78EKS2_S3_S2_EEvlllT_PT11_llS6_llS4_PT12_llPT13_lli.numbered_sgpr, 52
	.set _ZN12_GLOBAL__N_127rocblas_gemm_batched_kernelI19rocblas_complex_numIdELi16ELi16ELi32ELi32ELi8ELi32ELi8ELi8ELi32ELc67ELc78EKS2_S3_S2_EEvlllT_PT11_llS6_llS4_PT12_llPT13_lli.num_named_barrier, 0
	.set _ZN12_GLOBAL__N_127rocblas_gemm_batched_kernelI19rocblas_complex_numIdELi16ELi16ELi32ELi32ELi8ELi32ELi8ELi8ELi32ELc67ELc78EKS2_S3_S2_EEvlllT_PT11_llS6_llS4_PT12_llPT13_lli.private_seg_size, 0
	.set _ZN12_GLOBAL__N_127rocblas_gemm_batched_kernelI19rocblas_complex_numIdELi16ELi16ELi32ELi32ELi8ELi32ELi8ELi8ELi32ELc67ELc78EKS2_S3_S2_EEvlllT_PT11_llS6_llS4_PT12_llPT13_lli.uses_vcc, 1
	.set _ZN12_GLOBAL__N_127rocblas_gemm_batched_kernelI19rocblas_complex_numIdELi16ELi16ELi32ELi32ELi8ELi32ELi8ELi8ELi32ELc67ELc78EKS2_S3_S2_EEvlllT_PT11_llS6_llS4_PT12_llPT13_lli.uses_flat_scratch, 0
	.set _ZN12_GLOBAL__N_127rocblas_gemm_batched_kernelI19rocblas_complex_numIdELi16ELi16ELi32ELi32ELi8ELi32ELi8ELi8ELi32ELc67ELc78EKS2_S3_S2_EEvlllT_PT11_llS6_llS4_PT12_llPT13_lli.has_dyn_sized_stack, 0
	.set _ZN12_GLOBAL__N_127rocblas_gemm_batched_kernelI19rocblas_complex_numIdELi16ELi16ELi32ELi32ELi8ELi32ELi8ELi8ELi32ELc67ELc78EKS2_S3_S2_EEvlllT_PT11_llS6_llS4_PT12_llPT13_lli.has_recursion, 0
	.set _ZN12_GLOBAL__N_127rocblas_gemm_batched_kernelI19rocblas_complex_numIdELi16ELi16ELi32ELi32ELi8ELi32ELi8ELi8ELi32ELc67ELc78EKS2_S3_S2_EEvlllT_PT11_llS6_llS4_PT12_llPT13_lli.has_indirect_call, 0
	.section	.AMDGPU.csdata,"",@progbits
; Kernel info:
; codeLenInByte = 3200
; TotalNumSgprs: 58
; NumVgprs: 56
; NumAgprs: 0
; TotalNumVgprs: 56
; ScratchSize: 0
; MemoryBound: 0
; FloatMode: 240
; IeeeMode: 1
; LDSByteSize: 8192 bytes/workgroup (compile time only)
; SGPRBlocks: 7
; VGPRBlocks: 6
; NumSGPRsForWavesPerEU: 58
; NumVGPRsForWavesPerEU: 56
; AccumOffset: 56
; Occupancy: 8
; WaveLimiterHint : 1
; COMPUTE_PGM_RSRC2:SCRATCH_EN: 0
; COMPUTE_PGM_RSRC2:USER_SGPR: 2
; COMPUTE_PGM_RSRC2:TRAP_HANDLER: 0
; COMPUTE_PGM_RSRC2:TGID_X_EN: 1
; COMPUTE_PGM_RSRC2:TGID_Y_EN: 1
; COMPUTE_PGM_RSRC2:TGID_Z_EN: 1
; COMPUTE_PGM_RSRC2:TIDIG_COMP_CNT: 1
; COMPUTE_PGM_RSRC3_GFX90A:ACCUM_OFFSET: 13
; COMPUTE_PGM_RSRC3_GFX90A:TG_SPLIT: 0
	.section	.text._ZN12_GLOBAL__N_127rocblas_gemm_batched_kernelI19rocblas_complex_numIdELi16ELi16ELi32ELi32ELi8ELi32ELi8ELi8ELi32ELc67ELc84EKS2_S3_S2_EEvlllT_PT11_llS6_llS4_PT12_llPT13_lli,"axG",@progbits,_ZN12_GLOBAL__N_127rocblas_gemm_batched_kernelI19rocblas_complex_numIdELi16ELi16ELi32ELi32ELi8ELi32ELi8ELi8ELi32ELc67ELc84EKS2_S3_S2_EEvlllT_PT11_llS6_llS4_PT12_llPT13_lli,comdat
	.globl	_ZN12_GLOBAL__N_127rocblas_gemm_batched_kernelI19rocblas_complex_numIdELi16ELi16ELi32ELi32ELi8ELi32ELi8ELi8ELi32ELc67ELc84EKS2_S3_S2_EEvlllT_PT11_llS6_llS4_PT12_llPT13_lli ; -- Begin function _ZN12_GLOBAL__N_127rocblas_gemm_batched_kernelI19rocblas_complex_numIdELi16ELi16ELi32ELi32ELi8ELi32ELi8ELi8ELi32ELc67ELc84EKS2_S3_S2_EEvlllT_PT11_llS6_llS4_PT12_llPT13_lli
	.p2align	8
	.type	_ZN12_GLOBAL__N_127rocblas_gemm_batched_kernelI19rocblas_complex_numIdELi16ELi16ELi32ELi32ELi8ELi32ELi8ELi8ELi32ELc67ELc84EKS2_S3_S2_EEvlllT_PT11_llS6_llS4_PT12_llPT13_lli,@function
_ZN12_GLOBAL__N_127rocblas_gemm_batched_kernelI19rocblas_complex_numIdELi16ELi16ELi32ELi32ELi8ELi32ELi8ELi8ELi32ELc67ELc84EKS2_S3_S2_EEvlllT_PT11_llS6_llS4_PT12_llPT13_lli: ; @_ZN12_GLOBAL__N_127rocblas_gemm_batched_kernelI19rocblas_complex_numIdELi16ELi16ELi32ELi32ELi8ELi32ELi8ELi8ELi32ELc67ELc84EKS2_S3_S2_EEvlllT_PT11_llS6_llS4_PT12_llPT13_lli
; %bb.0:
	s_load_dwordx16 s[36:51], s[0:1], 0x10
	s_load_dwordx16 s[8:23], s[0:1], 0x50
	s_mov_b32 s6, s3
	v_mov_b32_e32 v3, 0
	s_ashr_i32 s3, s2, 31
	s_ashr_i32 s7, s6, 31
	s_waitcnt lgkmcnt(0)
	v_cmp_lt_i64_e64 s[24:25], s[36:37], 1
	v_bfe_u32 v2, v0, 10, 10
	v_and_b32_e32 v0, 0x3ff, v0
	v_mov_b32_e32 v1, v3
	s_lshl_b64 s[2:3], s[2:3], 5
	s_lshl_b64 s[6:7], s[6:7], 5
	s_and_b64 vcc, exec, s[24:25]
	s_cbranch_vccnz .LBB133_3
; %bb.1:
	v_lshl_add_u32 v10, v2, 4, v0
	v_lshrrev_b32_e32 v4, 3, v10
	v_mov_b32_e32 v5, v3
	v_lshl_add_u64 v[6:7], v[4:5], 0, s[6:7]
	v_and_b32_e32 v5, 7, v0
	v_mad_u64_u32 v[6:7], s[24:25], s50, v5, v[6:7]
	v_mov_b32_e32 v8, v7
	v_mad_u64_u32 v[8:9], s[24:25], s51, v5, v[8:9]
	v_lshlrev_b32_e32 v5, 4, v5
	v_lshl_or_b32 v4, v4, 7, v5
	v_mov_b32_e32 v7, v8
	v_and_b32_e32 v8, 31, v10
	v_mov_b32_e32 v9, v3
	v_add_u32_e32 v27, 0x1000, v4
	v_mov_b32_e32 v4, 0x1000
	v_lshl_add_u32 v29, v2, 7, v4
	v_lshl_add_u64 v[4:5], s[2:3], 0, v[8:9]
	v_lshlrev_b32_e32 v11, 4, v8
	v_mul_lo_u32 v8, s45, v4
	v_mul_lo_u32 v9, s44, v5
	v_mad_u64_u32 v[4:5], s[24:25], s44, v4, 0
	s_mul_i32 s5, s47, s4
	s_mul_hi_u32 s24, s46, s4
	s_add_i32 s25, s24, s5
	s_mul_i32 s24, s46, s4
	s_mul_i32 s5, s9, s4
	s_mul_hi_u32 s9, s8, s4
	v_lshrrev_b32_e32 v10, 5, v10
	v_add3_u32 v5, v5, v9, v8
	s_lshl_b64 s[24:25], s[24:25], 4
	s_add_i32 s9, s9, s5
	s_mul_i32 s8, s8, s4
	v_lshl_add_u64 v[4:5], v[4:5], 4, s[24:25]
	v_lshlrev_b32_e32 v8, 4, v10
	v_mov_b32_e32 v9, v3
	s_lshl_b64 s[8:9], s[8:9], 4
	v_lshl_add_u64 v[4:5], v[4:5], 0, v[8:9]
	s_add_u32 s8, s48, s8
	v_lshl_add_u64 v[4:5], s[42:43], 0, v[4:5]
	s_addc_u32 s9, s49, s9
	v_lshl_or_b32 v26, v10, 9, v11
	v_lshlrev_b32_e32 v28, 4, v0
	v_lshl_add_u64 v[4:5], v[4:5], 0, 8
	v_lshl_add_u64 v[6:7], v[6:7], 4, s[8:9]
	s_lshl_b64 s[8:9], s[50:51], 7
	s_mov_b64 s[24:25], 0
	v_mov_b64_e32 v[12:13], 0
	s_mov_b64 s[26:27], 0x80
	v_mov_b64_e32 v[8:9], s[36:37]
	v_mov_b64_e32 v[10:11], 0
	;; [unrolled: 1-line block ×8, first 2 shown]
.LBB133_2:                              ; =>This Inner Loop Header: Depth=1
	global_load_dwordx4 v[30:33], v[4:5], off offset:-8
	s_add_u32 s24, s24, 8
	s_addc_u32 s25, s25, 0
	v_cmp_lt_i64_e32 vcc, s[24:25], v[8:9]
	v_lshl_add_u64 v[4:5], v[4:5], 0, s[26:27]
	s_and_b64 vcc, exec, vcc
	s_waitcnt vmcnt(0)
	v_xor_b32_e32 v33, 0x80000000, v33
	ds_write_b128 v26, v[30:33]
	global_load_dwordx4 v[30:33], v[6:7], off
	v_lshl_add_u64 v[6:7], v[6:7], 0, s[8:9]
	s_waitcnt vmcnt(0)
	ds_write2_b64 v27, v[30:31], v[32:33] offset1:1
	s_waitcnt lgkmcnt(0)
	s_barrier
	ds_read_b128 v[30:33], v29
	ds_read_b128 v[34:37], v29 offset:16
	ds_read_b128 v[38:41], v29 offset:32
	;; [unrolled: 1-line block ×3, first 2 shown]
	ds_read_b128 v[46:49], v28
	s_waitcnt lgkmcnt(0)
	v_mul_f64 v[50:51], v[32:33], v[48:49]
	v_mul_f64 v[52:53], v[30:31], v[48:49]
	v_fma_f64 v[50:51], v[30:31], v[46:47], -v[50:51]
	v_fmac_f64_e32 v[52:53], v[32:33], v[46:47]
	v_add_f64 v[50:51], v[22:23], v[50:51]
	v_add_f64 v[52:53], v[52:53], v[24:25]
	ds_read_b128 v[22:25], v28 offset:256
	s_waitcnt lgkmcnt(0)
	v_mul_f64 v[54:55], v[32:33], v[24:25]
	v_fma_f64 v[54:55], v[30:31], v[22:23], -v[54:55]
	v_mul_f64 v[30:31], v[30:31], v[24:25]
	v_fmac_f64_e32 v[30:31], v[32:33], v[22:23]
	v_add_f64 v[32:33], v[14:15], v[54:55]
	v_add_f64 v[30:31], v[30:31], v[16:17]
	ds_read_b128 v[14:17], v29 offset:2048
	s_waitcnt lgkmcnt(0)
	v_mul_f64 v[54:55], v[16:17], v[48:49]
	v_fma_f64 v[54:55], v[14:15], v[46:47], -v[54:55]
	v_mul_f64 v[48:49], v[14:15], v[48:49]
	v_fmac_f64_e32 v[48:49], v[16:17], v[46:47]
	v_add_f64 v[46:47], v[18:19], v[54:55]
	v_mul_f64 v[18:19], v[16:17], v[24:25]
	v_fma_f64 v[18:19], v[14:15], v[22:23], -v[18:19]
	v_mul_f64 v[14:15], v[14:15], v[24:25]
	v_fmac_f64_e32 v[14:15], v[16:17], v[22:23]
	v_add_f64 v[22:23], v[10:11], v[18:19]
	v_add_f64 v[24:25], v[14:15], v[12:13]
	ds_read_b128 v[10:13], v28 offset:512
	v_add_f64 v[48:49], v[48:49], v[20:21]
	s_waitcnt lgkmcnt(0)
	v_mul_f64 v[14:15], v[36:37], v[12:13]
	v_mul_f64 v[16:17], v[34:35], v[12:13]
	v_fma_f64 v[14:15], v[34:35], v[10:11], -v[14:15]
	v_fmac_f64_e32 v[16:17], v[36:37], v[10:11]
	v_add_f64 v[50:51], v[50:51], v[14:15]
	v_add_f64 v[52:53], v[16:17], v[52:53]
	ds_read_b128 v[14:17], v28 offset:768
	s_waitcnt lgkmcnt(0)
	v_mul_f64 v[18:19], v[36:37], v[16:17]
	v_mul_f64 v[20:21], v[34:35], v[16:17]
	v_fma_f64 v[18:19], v[34:35], v[14:15], -v[18:19]
	v_fmac_f64_e32 v[20:21], v[36:37], v[14:15]
	v_add_f64 v[32:33], v[32:33], v[18:19]
	v_add_f64 v[30:31], v[20:21], v[30:31]
	ds_read_b128 v[18:21], v29 offset:2064
	s_waitcnt lgkmcnt(0)
	v_mul_f64 v[34:35], v[20:21], v[12:13]
	v_mul_f64 v[12:13], v[18:19], v[12:13]
	v_fmac_f64_e32 v[12:13], v[20:21], v[10:11]
	v_fma_f64 v[34:35], v[18:19], v[10:11], -v[34:35]
	v_add_f64 v[36:37], v[12:13], v[48:49]
	v_mul_f64 v[10:11], v[20:21], v[16:17]
	v_mul_f64 v[12:13], v[18:19], v[16:17]
	v_fma_f64 v[10:11], v[18:19], v[14:15], -v[10:11]
	v_fmac_f64_e32 v[12:13], v[20:21], v[14:15]
	v_add_f64 v[22:23], v[22:23], v[10:11]
	v_add_f64 v[24:25], v[12:13], v[24:25]
	ds_read_b128 v[10:13], v28 offset:1024
	v_add_f64 v[34:35], v[46:47], v[34:35]
	s_waitcnt lgkmcnt(0)
	v_mul_f64 v[14:15], v[40:41], v[12:13]
	v_mul_f64 v[16:17], v[38:39], v[12:13]
	v_fma_f64 v[14:15], v[38:39], v[10:11], -v[14:15]
	v_fmac_f64_e32 v[16:17], v[40:41], v[10:11]
	v_add_f64 v[46:47], v[50:51], v[14:15]
	v_add_f64 v[48:49], v[16:17], v[52:53]
	ds_read_b128 v[14:17], v28 offset:1280
	s_waitcnt lgkmcnt(0)
	v_mul_f64 v[18:19], v[40:41], v[16:17]
	v_mul_f64 v[20:21], v[38:39], v[16:17]
	v_fma_f64 v[18:19], v[38:39], v[14:15], -v[18:19]
	v_fmac_f64_e32 v[20:21], v[40:41], v[14:15]
	v_add_f64 v[32:33], v[32:33], v[18:19]
	v_add_f64 v[30:31], v[20:21], v[30:31]
	ds_read_b128 v[18:21], v29 offset:2080
	s_waitcnt lgkmcnt(0)
	v_mul_f64 v[38:39], v[20:21], v[12:13]
	v_mul_f64 v[12:13], v[18:19], v[12:13]
	v_fmac_f64_e32 v[12:13], v[20:21], v[10:11]
	v_fma_f64 v[38:39], v[18:19], v[10:11], -v[38:39]
	v_add_f64 v[36:37], v[12:13], v[36:37]
	v_mul_f64 v[10:11], v[20:21], v[16:17]
	v_mul_f64 v[12:13], v[18:19], v[16:17]
	v_fma_f64 v[10:11], v[18:19], v[14:15], -v[10:11]
	;; [unrolled: 30-line block ×3, first 2 shown]
	v_fmac_f64_e32 v[12:13], v[20:21], v[14:15]
	v_add_f64 v[22:23], v[22:23], v[10:11]
	v_add_f64 v[24:25], v[12:13], v[24:25]
	ds_read_b128 v[10:13], v29 offset:64
	ds_read_b128 v[14:17], v28 offset:2048
	v_add_f64 v[34:35], v[34:35], v[42:43]
	s_waitcnt lgkmcnt(0)
	v_mul_f64 v[18:19], v[12:13], v[16:17]
	v_mul_f64 v[20:21], v[10:11], v[16:17]
	v_fma_f64 v[18:19], v[10:11], v[14:15], -v[18:19]
	v_fmac_f64_e32 v[20:21], v[12:13], v[14:15]
	v_add_f64 v[38:39], v[38:39], v[18:19]
	v_add_f64 v[40:41], v[20:21], v[40:41]
	ds_read_b128 v[18:21], v28 offset:2304
	s_waitcnt lgkmcnt(0)
	v_mul_f64 v[42:43], v[12:13], v[20:21]
	v_fma_f64 v[42:43], v[10:11], v[18:19], -v[42:43]
	v_mul_f64 v[10:11], v[10:11], v[20:21]
	v_fmac_f64_e32 v[10:11], v[12:13], v[18:19]
	v_add_f64 v[30:31], v[10:11], v[30:31]
	ds_read_b128 v[10:13], v29 offset:2112
	v_add_f64 v[32:33], v[32:33], v[42:43]
	s_waitcnt lgkmcnt(0)
	v_mul_f64 v[42:43], v[12:13], v[16:17]
	v_mul_f64 v[16:17], v[10:11], v[16:17]
	v_fma_f64 v[42:43], v[10:11], v[14:15], -v[42:43]
	v_fmac_f64_e32 v[16:17], v[12:13], v[14:15]
	v_mul_f64 v[14:15], v[12:13], v[20:21]
	v_fma_f64 v[14:15], v[10:11], v[18:19], -v[14:15]
	v_mul_f64 v[10:11], v[10:11], v[20:21]
	v_fmac_f64_e32 v[10:11], v[12:13], v[18:19]
	v_add_f64 v[36:37], v[16:17], v[36:37]
	v_add_f64 v[22:23], v[22:23], v[14:15]
	v_add_f64 v[24:25], v[10:11], v[24:25]
	ds_read_b128 v[10:13], v29 offset:80
	ds_read_b128 v[14:17], v28 offset:2560
	v_add_f64 v[34:35], v[34:35], v[42:43]
	s_waitcnt lgkmcnt(0)
	v_mul_f64 v[18:19], v[12:13], v[16:17]
	v_mul_f64 v[20:21], v[10:11], v[16:17]
	v_fma_f64 v[18:19], v[10:11], v[14:15], -v[18:19]
	v_fmac_f64_e32 v[20:21], v[12:13], v[14:15]
	v_add_f64 v[38:39], v[38:39], v[18:19]
	v_add_f64 v[40:41], v[20:21], v[40:41]
	ds_read_b128 v[18:21], v28 offset:2816
	s_waitcnt lgkmcnt(0)
	v_mul_f64 v[42:43], v[12:13], v[20:21]
	v_fma_f64 v[42:43], v[10:11], v[18:19], -v[42:43]
	v_mul_f64 v[10:11], v[10:11], v[20:21]
	v_fmac_f64_e32 v[10:11], v[12:13], v[18:19]
	v_add_f64 v[30:31], v[10:11], v[30:31]
	ds_read_b128 v[10:13], v29 offset:2128
	v_add_f64 v[32:33], v[32:33], v[42:43]
	s_waitcnt lgkmcnt(0)
	v_mul_f64 v[42:43], v[12:13], v[16:17]
	v_mul_f64 v[16:17], v[10:11], v[16:17]
	v_fma_f64 v[42:43], v[10:11], v[14:15], -v[42:43]
	v_fmac_f64_e32 v[16:17], v[12:13], v[14:15]
	v_mul_f64 v[14:15], v[12:13], v[20:21]
	v_fma_f64 v[14:15], v[10:11], v[18:19], -v[14:15]
	v_mul_f64 v[10:11], v[10:11], v[20:21]
	v_fmac_f64_e32 v[10:11], v[12:13], v[18:19]
	v_add_f64 v[36:37], v[16:17], v[36:37]
	;; [unrolled: 31-line block ×3, first 2 shown]
	ds_read_b128 v[10:13], v29 offset:112
	ds_read_b128 v[18:21], v28 offset:3584
	v_add_f64 v[34:35], v[34:35], v[30:31]
	ds_read_b128 v[30:33], v28 offset:3840
	v_add_f64 v[46:47], v[22:23], v[14:15]
	v_add_f64 v[36:37], v[16:17], v[36:37]
	s_waitcnt lgkmcnt(1)
	v_mul_f64 v[14:15], v[12:13], v[20:21]
	v_fma_f64 v[14:15], v[10:11], v[18:19], -v[14:15]
	v_add_f64 v[22:23], v[38:39], v[14:15]
	s_waitcnt lgkmcnt(0)
	v_mul_f64 v[14:15], v[12:13], v[32:33]
	v_mul_f64 v[16:17], v[10:11], v[20:21]
	v_fma_f64 v[14:15], v[10:11], v[30:31], -v[14:15]
	v_mul_f64 v[10:11], v[10:11], v[32:33]
	v_fmac_f64_e32 v[16:17], v[12:13], v[18:19]
	v_fmac_f64_e32 v[10:11], v[12:13], v[30:31]
	v_add_f64 v[24:25], v[16:17], v[40:41]
	v_add_f64 v[16:17], v[10:11], v[44:45]
	ds_read_b128 v[10:13], v29 offset:2160
	v_add_f64 v[14:15], v[42:43], v[14:15]
	s_waitcnt lgkmcnt(0)
	s_barrier
	v_mul_f64 v[38:39], v[12:13], v[20:21]
	v_fma_f64 v[38:39], v[10:11], v[18:19], -v[38:39]
	v_mul_f64 v[20:21], v[10:11], v[20:21]
	v_fmac_f64_e32 v[20:21], v[12:13], v[18:19]
	v_add_f64 v[18:19], v[34:35], v[38:39]
	v_mul_f64 v[34:35], v[12:13], v[32:33]
	v_mul_f64 v[32:33], v[10:11], v[32:33]
	v_fma_f64 v[34:35], v[10:11], v[30:31], -v[34:35]
	v_fmac_f64_e32 v[32:33], v[12:13], v[30:31]
	v_add_f64 v[20:21], v[20:21], v[36:37]
	v_add_f64 v[10:11], v[46:47], v[34:35]
	;; [unrolled: 1-line block ×3, first 2 shown]
	s_cbranch_vccnz .LBB133_2
	s_branch .LBB133_4
.LBB133_3:
	v_mov_b64_e32 v[22:23], 0
	v_mov_b64_e32 v[24:25], 0
	;; [unrolled: 1-line block ×8, first 2 shown]
.LBB133_4:
	s_load_dwordx2 s[0:1], s[0:1], 0x90
	v_cmp_neq_f64_e64 s[8:9], s[10:11], 0
	v_lshl_add_u64 v[2:3], s[6:7], 0, v[2:3]
	s_mov_b64 s[6:7], 0
	v_lshl_add_u64 v[0:1], s[2:3], 0, v[0:1]
	s_waitcnt lgkmcnt(0)
	s_mul_i32 s1, s1, s4
	s_mul_hi_u32 s5, s0, s4
	s_mul_i32 s0, s0, s4
	s_add_i32 s1, s5, s1
	s_lshl_b64 s[0:1], s[0:1], 4
	s_add_u32 s0, s20, s0
	s_addc_u32 s1, s21, s1
	v_cmp_neq_f64_e64 s[20:21], s[12:13], 0
	s_or_b64 s[8:9], s[8:9], s[20:21]
	s_and_b64 vcc, exec, s[8:9]
	s_cbranch_vccnz .LBB133_6
; %bb.5:
	v_mul_lo_u32 v6, v3, s22
	v_mul_lo_u32 v7, v2, s23
	v_mad_u64_u32 v[4:5], s[2:3], v2, s22, 0
	v_add3_u32 v5, v5, v7, v6
	v_lshl_add_u64 v[8:9], v[4:5], 4, s[0:1]
	v_mul_f64 v[4:5], s[40:41], v[24:25]
	v_mul_f64 v[6:7], s[38:39], v[24:25]
	v_lshlrev_b64 v[26:27], 4, v[0:1]
	v_fma_f64 v[4:5], s[38:39], v[22:23], -v[4:5]
	v_fmac_f64_e32 v[6:7], s[40:41], v[22:23]
	v_lshl_add_u64 v[28:29], v[8:9], 0, v[26:27]
	global_store_dwordx4 v[28:29], v[4:7], off
	s_lshl_b64 s[2:3], s[22:23], 8
	v_lshl_add_u64 v[8:9], v[8:9], 0, s[2:3]
	v_mul_f64 v[4:5], s[40:41], v[16:17]
	v_mul_f64 v[6:7], s[38:39], v[16:17]
	v_fma_f64 v[4:5], s[38:39], v[14:15], -v[4:5]
	v_fmac_f64_e32 v[6:7], s[40:41], v[14:15]
	global_store_dwordx4 v[28:29], v[4:7], off offset:256
	v_lshl_add_u64 v[8:9], v[8:9], 0, v[26:27]
	s_mov_b64 s[2:3], 0x100
	v_mul_f64 v[4:5], s[40:41], v[20:21]
	v_mul_f64 v[6:7], s[38:39], v[20:21]
	v_fma_f64 v[4:5], s[38:39], v[18:19], -v[4:5]
	v_fmac_f64_e32 v[6:7], s[40:41], v[18:19]
	global_store_dwordx4 v[8:9], v[4:7], off
	s_nop 1
	v_mul_f64 v[4:5], s[40:41], v[12:13]
	v_fma_f64 v[26:27], s[38:39], v[10:11], -v[4:5]
	v_mul_f64 v[4:5], s[38:39], v[12:13]
	v_fmac_f64_e32 v[4:5], s[40:41], v[10:11]
	v_lshl_add_u64 v[6:7], v[8:9], 0, s[2:3]
	global_store_dwordx2 v[8:9], v[26:27], off offset:256
	s_andn2_b64 vcc, exec, s[6:7]
	s_cbranch_vccz .LBB133_7
	s_branch .LBB133_8
.LBB133_6:
                                        ; implicit-def: $vgpr4_vgpr5
                                        ; implicit-def: $vgpr6_vgpr7
.LBB133_7:
	s_mul_i32 s2, s19, s4
	s_mul_hi_u32 s3, s18, s4
	s_add_i32 s3, s3, s2
	s_mul_i32 s2, s18, s4
	s_lshl_b64 s[2:3], s[2:3], 4
	s_add_u32 s2, s14, s2
	v_mul_lo_u32 v6, v3, s16
	v_mul_lo_u32 v7, v2, s17
	v_mad_u64_u32 v[4:5], s[4:5], v2, s16, 0
	s_addc_u32 s3, s15, s3
	v_add3_u32 v5, v5, v7, v6
	v_lshl_add_u64 v[8:9], v[4:5], 4, s[2:3]
	v_lshlrev_b64 v[26:27], 4, v[0:1]
	v_lshl_add_u64 v[28:29], v[8:9], 0, v[26:27]
	global_load_dwordx4 v[4:7], v[28:29], off
	v_mul_lo_u32 v30, v3, s22
	v_mul_lo_u32 v31, v2, s23
	v_mad_u64_u32 v[0:1], s[2:3], v2, s22, 0
	v_mul_f64 v[2:3], s[40:41], v[24:25]
	v_mul_f64 v[24:25], s[38:39], v[24:25]
	v_add3_u32 v1, v1, v31, v30
	v_fma_f64 v[2:3], s[38:39], v[22:23], -v[2:3]
	v_fmac_f64_e32 v[24:25], s[40:41], v[22:23]
	v_lshl_add_u64 v[22:23], v[0:1], 4, s[0:1]
	v_lshl_add_u64 v[30:31], v[22:23], 0, v[26:27]
	s_lshl_b64 s[0:1], s[16:17], 8
	v_lshl_add_u64 v[8:9], v[8:9], 0, s[0:1]
	v_lshl_add_u64 v[8:9], v[8:9], 0, v[26:27]
	s_lshl_b64 s[0:1], s[22:23], 8
	s_waitcnt vmcnt(0)
	v_mul_f64 v[0:1], s[12:13], v[6:7]
	v_mul_f64 v[6:7], s[10:11], v[6:7]
	v_fma_f64 v[0:1], s[10:11], v[4:5], -v[0:1]
	v_fmac_f64_e32 v[6:7], s[12:13], v[4:5]
	v_add_f64 v[0:1], v[2:3], v[0:1]
	v_add_f64 v[2:3], v[24:25], v[6:7]
	global_store_dwordx4 v[30:31], v[0:3], off
	global_load_dwordx4 v[0:3], v[28:29], off offset:256
	v_mul_f64 v[4:5], s[40:41], v[16:17]
	v_mul_f64 v[6:7], s[38:39], v[16:17]
	v_fma_f64 v[4:5], s[38:39], v[14:15], -v[4:5]
	v_fmac_f64_e32 v[6:7], s[40:41], v[14:15]
	s_waitcnt vmcnt(0)
	v_mul_f64 v[14:15], s[12:13], v[2:3]
	v_mul_f64 v[2:3], s[10:11], v[2:3]
	v_fma_f64 v[14:15], s[10:11], v[0:1], -v[14:15]
	v_fmac_f64_e32 v[2:3], s[12:13], v[0:1]
	v_add_f64 v[0:1], v[4:5], v[14:15]
	v_add_f64 v[2:3], v[6:7], v[2:3]
	global_store_dwordx4 v[30:31], v[0:3], off offset:256
	global_load_dwordx4 v[0:3], v[8:9], off
	v_mul_f64 v[4:5], s[40:41], v[20:21]
	v_mul_f64 v[6:7], s[38:39], v[20:21]
	v_fma_f64 v[4:5], s[38:39], v[18:19], -v[4:5]
	v_fmac_f64_e32 v[6:7], s[40:41], v[18:19]
	v_lshl_add_u64 v[14:15], v[22:23], 0, s[0:1]
	v_lshl_add_u64 v[14:15], v[14:15], 0, v[26:27]
	s_mov_b64 s[0:1], 0x100
	s_waitcnt vmcnt(0)
	v_mul_f64 v[16:17], s[12:13], v[2:3]
	v_mul_f64 v[2:3], s[10:11], v[2:3]
	v_fma_f64 v[16:17], s[10:11], v[0:1], -v[16:17]
	v_fmac_f64_e32 v[2:3], s[12:13], v[0:1]
	v_add_f64 v[0:1], v[4:5], v[16:17]
	v_add_f64 v[2:3], v[6:7], v[2:3]
	global_store_dwordx4 v[14:15], v[0:3], off
	global_load_dwordx4 v[0:3], v[8:9], off offset:256
	v_mul_f64 v[4:5], s[40:41], v[12:13]
	v_mul_f64 v[6:7], s[38:39], v[12:13]
	v_fma_f64 v[4:5], s[38:39], v[10:11], -v[4:5]
	v_fmac_f64_e32 v[6:7], s[40:41], v[10:11]
	s_waitcnt vmcnt(0)
	v_mul_f64 v[8:9], s[12:13], v[2:3]
	v_mul_f64 v[2:3], s[10:11], v[2:3]
	v_fma_f64 v[8:9], s[10:11], v[0:1], -v[8:9]
	v_fmac_f64_e32 v[2:3], s[12:13], v[0:1]
	v_add_f64 v[0:1], v[4:5], v[8:9]
	v_add_f64 v[4:5], v[6:7], v[2:3]
	v_lshl_add_u64 v[6:7], v[14:15], 0, s[0:1]
	global_store_dwordx2 v[14:15], v[0:1], off offset:256
.LBB133_8:
	global_store_dwordx2 v[6:7], v[4:5], off offset:8
	s_endpgm
	.section	.rodata,"a",@progbits
	.p2align	6, 0x0
	.amdhsa_kernel _ZN12_GLOBAL__N_127rocblas_gemm_batched_kernelI19rocblas_complex_numIdELi16ELi16ELi32ELi32ELi8ELi32ELi8ELi8ELi32ELc67ELc84EKS2_S3_S2_EEvlllT_PT11_llS6_llS4_PT12_llPT13_lli
		.amdhsa_group_segment_fixed_size 8192
		.amdhsa_private_segment_fixed_size 0
		.amdhsa_kernarg_size 156
		.amdhsa_user_sgpr_count 2
		.amdhsa_user_sgpr_dispatch_ptr 0
		.amdhsa_user_sgpr_queue_ptr 0
		.amdhsa_user_sgpr_kernarg_segment_ptr 1
		.amdhsa_user_sgpr_dispatch_id 0
		.amdhsa_user_sgpr_kernarg_preload_length 0
		.amdhsa_user_sgpr_kernarg_preload_offset 0
		.amdhsa_user_sgpr_private_segment_size 0
		.amdhsa_uses_dynamic_stack 0
		.amdhsa_enable_private_segment 0
		.amdhsa_system_sgpr_workgroup_id_x 1
		.amdhsa_system_sgpr_workgroup_id_y 1
		.amdhsa_system_sgpr_workgroup_id_z 1
		.amdhsa_system_sgpr_workgroup_info 0
		.amdhsa_system_vgpr_workitem_id 1
		.amdhsa_next_free_vgpr 56
		.amdhsa_next_free_sgpr 52
		.amdhsa_accum_offset 56
		.amdhsa_reserve_vcc 1
		.amdhsa_float_round_mode_32 0
		.amdhsa_float_round_mode_16_64 0
		.amdhsa_float_denorm_mode_32 3
		.amdhsa_float_denorm_mode_16_64 3
		.amdhsa_dx10_clamp 1
		.amdhsa_ieee_mode 1
		.amdhsa_fp16_overflow 0
		.amdhsa_tg_split 0
		.amdhsa_exception_fp_ieee_invalid_op 0
		.amdhsa_exception_fp_denorm_src 0
		.amdhsa_exception_fp_ieee_div_zero 0
		.amdhsa_exception_fp_ieee_overflow 0
		.amdhsa_exception_fp_ieee_underflow 0
		.amdhsa_exception_fp_ieee_inexact 0
		.amdhsa_exception_int_div_zero 0
	.end_amdhsa_kernel
	.section	.text._ZN12_GLOBAL__N_127rocblas_gemm_batched_kernelI19rocblas_complex_numIdELi16ELi16ELi32ELi32ELi8ELi32ELi8ELi8ELi32ELc67ELc84EKS2_S3_S2_EEvlllT_PT11_llS6_llS4_PT12_llPT13_lli,"axG",@progbits,_ZN12_GLOBAL__N_127rocblas_gemm_batched_kernelI19rocblas_complex_numIdELi16ELi16ELi32ELi32ELi8ELi32ELi8ELi8ELi32ELc67ELc84EKS2_S3_S2_EEvlllT_PT11_llS6_llS4_PT12_llPT13_lli,comdat
.Lfunc_end133:
	.size	_ZN12_GLOBAL__N_127rocblas_gemm_batched_kernelI19rocblas_complex_numIdELi16ELi16ELi32ELi32ELi8ELi32ELi8ELi8ELi32ELc67ELc84EKS2_S3_S2_EEvlllT_PT11_llS6_llS4_PT12_llPT13_lli, .Lfunc_end133-_ZN12_GLOBAL__N_127rocblas_gemm_batched_kernelI19rocblas_complex_numIdELi16ELi16ELi32ELi32ELi8ELi32ELi8ELi8ELi32ELc67ELc84EKS2_S3_S2_EEvlllT_PT11_llS6_llS4_PT12_llPT13_lli
                                        ; -- End function
	.set _ZN12_GLOBAL__N_127rocblas_gemm_batched_kernelI19rocblas_complex_numIdELi16ELi16ELi32ELi32ELi8ELi32ELi8ELi8ELi32ELc67ELc84EKS2_S3_S2_EEvlllT_PT11_llS6_llS4_PT12_llPT13_lli.num_vgpr, 56
	.set _ZN12_GLOBAL__N_127rocblas_gemm_batched_kernelI19rocblas_complex_numIdELi16ELi16ELi32ELi32ELi8ELi32ELi8ELi8ELi32ELc67ELc84EKS2_S3_S2_EEvlllT_PT11_llS6_llS4_PT12_llPT13_lli.num_agpr, 0
	.set _ZN12_GLOBAL__N_127rocblas_gemm_batched_kernelI19rocblas_complex_numIdELi16ELi16ELi32ELi32ELi8ELi32ELi8ELi8ELi32ELc67ELc84EKS2_S3_S2_EEvlllT_PT11_llS6_llS4_PT12_llPT13_lli.numbered_sgpr, 52
	.set _ZN12_GLOBAL__N_127rocblas_gemm_batched_kernelI19rocblas_complex_numIdELi16ELi16ELi32ELi32ELi8ELi32ELi8ELi8ELi32ELc67ELc84EKS2_S3_S2_EEvlllT_PT11_llS6_llS4_PT12_llPT13_lli.num_named_barrier, 0
	.set _ZN12_GLOBAL__N_127rocblas_gemm_batched_kernelI19rocblas_complex_numIdELi16ELi16ELi32ELi32ELi8ELi32ELi8ELi8ELi32ELc67ELc84EKS2_S3_S2_EEvlllT_PT11_llS6_llS4_PT12_llPT13_lli.private_seg_size, 0
	.set _ZN12_GLOBAL__N_127rocblas_gemm_batched_kernelI19rocblas_complex_numIdELi16ELi16ELi32ELi32ELi8ELi32ELi8ELi8ELi32ELc67ELc84EKS2_S3_S2_EEvlllT_PT11_llS6_llS4_PT12_llPT13_lli.uses_vcc, 1
	.set _ZN12_GLOBAL__N_127rocblas_gemm_batched_kernelI19rocblas_complex_numIdELi16ELi16ELi32ELi32ELi8ELi32ELi8ELi8ELi32ELc67ELc84EKS2_S3_S2_EEvlllT_PT11_llS6_llS4_PT12_llPT13_lli.uses_flat_scratch, 0
	.set _ZN12_GLOBAL__N_127rocblas_gemm_batched_kernelI19rocblas_complex_numIdELi16ELi16ELi32ELi32ELi8ELi32ELi8ELi8ELi32ELc67ELc84EKS2_S3_S2_EEvlllT_PT11_llS6_llS4_PT12_llPT13_lli.has_dyn_sized_stack, 0
	.set _ZN12_GLOBAL__N_127rocblas_gemm_batched_kernelI19rocblas_complex_numIdELi16ELi16ELi32ELi32ELi8ELi32ELi8ELi8ELi32ELc67ELc84EKS2_S3_S2_EEvlllT_PT11_llS6_llS4_PT12_llPT13_lli.has_recursion, 0
	.set _ZN12_GLOBAL__N_127rocblas_gemm_batched_kernelI19rocblas_complex_numIdELi16ELi16ELi32ELi32ELi8ELi32ELi8ELi8ELi32ELc67ELc84EKS2_S3_S2_EEvlllT_PT11_llS6_llS4_PT12_llPT13_lli.has_indirect_call, 0
	.section	.AMDGPU.csdata,"",@progbits
; Kernel info:
; codeLenInByte = 3184
; TotalNumSgprs: 58
; NumVgprs: 56
; NumAgprs: 0
; TotalNumVgprs: 56
; ScratchSize: 0
; MemoryBound: 0
; FloatMode: 240
; IeeeMode: 1
; LDSByteSize: 8192 bytes/workgroup (compile time only)
; SGPRBlocks: 7
; VGPRBlocks: 6
; NumSGPRsForWavesPerEU: 58
; NumVGPRsForWavesPerEU: 56
; AccumOffset: 56
; Occupancy: 8
; WaveLimiterHint : 1
; COMPUTE_PGM_RSRC2:SCRATCH_EN: 0
; COMPUTE_PGM_RSRC2:USER_SGPR: 2
; COMPUTE_PGM_RSRC2:TRAP_HANDLER: 0
; COMPUTE_PGM_RSRC2:TGID_X_EN: 1
; COMPUTE_PGM_RSRC2:TGID_Y_EN: 1
; COMPUTE_PGM_RSRC2:TGID_Z_EN: 1
; COMPUTE_PGM_RSRC2:TIDIG_COMP_CNT: 1
; COMPUTE_PGM_RSRC3_GFX90A:ACCUM_OFFSET: 13
; COMPUTE_PGM_RSRC3_GFX90A:TG_SPLIT: 0
	.section	.text._ZN12_GLOBAL__N_127rocblas_gemm_batched_kernelI19rocblas_complex_numIdELi16ELi16ELi32ELi32ELi8ELi32ELi8ELi8ELi32ELc78ELc67EKS2_S3_S2_EEvlllT_PT11_llS6_llS4_PT12_llPT13_lli,"axG",@progbits,_ZN12_GLOBAL__N_127rocblas_gemm_batched_kernelI19rocblas_complex_numIdELi16ELi16ELi32ELi32ELi8ELi32ELi8ELi8ELi32ELc78ELc67EKS2_S3_S2_EEvlllT_PT11_llS6_llS4_PT12_llPT13_lli,comdat
	.globl	_ZN12_GLOBAL__N_127rocblas_gemm_batched_kernelI19rocblas_complex_numIdELi16ELi16ELi32ELi32ELi8ELi32ELi8ELi8ELi32ELc78ELc67EKS2_S3_S2_EEvlllT_PT11_llS6_llS4_PT12_llPT13_lli ; -- Begin function _ZN12_GLOBAL__N_127rocblas_gemm_batched_kernelI19rocblas_complex_numIdELi16ELi16ELi32ELi32ELi8ELi32ELi8ELi8ELi32ELc78ELc67EKS2_S3_S2_EEvlllT_PT11_llS6_llS4_PT12_llPT13_lli
	.p2align	8
	.type	_ZN12_GLOBAL__N_127rocblas_gemm_batched_kernelI19rocblas_complex_numIdELi16ELi16ELi32ELi32ELi8ELi32ELi8ELi8ELi32ELc78ELc67EKS2_S3_S2_EEvlllT_PT11_llS6_llS4_PT12_llPT13_lli,@function
_ZN12_GLOBAL__N_127rocblas_gemm_batched_kernelI19rocblas_complex_numIdELi16ELi16ELi32ELi32ELi8ELi32ELi8ELi8ELi32ELc78ELc67EKS2_S3_S2_EEvlllT_PT11_llS6_llS4_PT12_llPT13_lli: ; @_ZN12_GLOBAL__N_127rocblas_gemm_batched_kernelI19rocblas_complex_numIdELi16ELi16ELi32ELi32ELi8ELi32ELi8ELi8ELi32ELc78ELc67EKS2_S3_S2_EEvlllT_PT11_llS6_llS4_PT12_llPT13_lli
; %bb.0:
	s_load_dwordx16 s[36:51], s[0:1], 0x10
	s_load_dwordx16 s[8:23], s[0:1], 0x50
	s_mov_b32 s6, s3
	v_mov_b32_e32 v3, 0
	s_ashr_i32 s3, s2, 31
	s_ashr_i32 s7, s6, 31
	s_waitcnt lgkmcnt(0)
	v_cmp_lt_i64_e64 s[24:25], s[36:37], 1
	v_bfe_u32 v2, v0, 10, 10
	v_and_b32_e32 v0, 0x3ff, v0
	v_mov_b32_e32 v1, v3
	s_lshl_b64 s[2:3], s[2:3], 5
	s_lshl_b64 s[6:7], s[6:7], 5
	s_and_b64 vcc, exec, s[24:25]
	s_cbranch_vccnz .LBB134_3
; %bb.1:
	v_lshl_add_u32 v10, v2, 4, v0
	v_lshrrev_b32_e32 v4, 3, v10
	v_mov_b32_e32 v5, v3
	v_lshl_add_u64 v[6:7], v[4:5], 0, s[6:7]
	v_and_b32_e32 v5, 7, v0
	v_mad_u64_u32 v[6:7], s[24:25], s50, v5, v[6:7]
	v_mov_b32_e32 v8, v7
	v_mad_u64_u32 v[8:9], s[24:25], s51, v5, v[8:9]
	v_lshlrev_b32_e32 v5, 4, v5
	v_lshl_or_b32 v4, v4, 7, v5
	v_add_u32_e32 v27, 0x1000, v4
	v_mov_b32_e32 v4, 0x1000
	v_mov_b32_e32 v7, v8
	v_and_b32_e32 v8, 31, v10
	v_lshrrev_b32_e32 v11, 5, v10
	v_lshl_add_u32 v29, v2, 7, v4
	v_mov_b64_e32 v[4:5], s[2:3]
	v_lshlrev_b32_e32 v10, 4, v8
	s_mul_i32 s5, s47, s4
	s_mul_hi_u32 s24, s46, s4
	v_mad_u64_u32 v[4:5], s[26:27], s44, v11, v[4:5]
	v_lshl_or_b32 v26, v11, 9, v10
	s_add_i32 s25, s24, s5
	s_mul_i32 s24, s46, s4
	v_mov_b32_e32 v10, v5
	s_lshl_b64 s[24:25], s[24:25], 4
	v_mad_u64_u32 v[10:11], s[26:27], s45, v11, v[10:11]
	v_mov_b32_e32 v9, v3
	v_mov_b32_e32 v5, v10
	s_add_u32 s24, s42, s24
	s_mul_i32 s5, s9, s4
	s_mul_hi_u32 s9, s8, s4
	v_lshl_add_u64 v[4:5], v[4:5], 0, v[8:9]
	s_addc_u32 s25, s43, s25
	s_add_i32 s9, s9, s5
	s_mul_i32 s8, s8, s4
	v_lshl_add_u64 v[4:5], v[4:5], 4, s[24:25]
	s_lshl_b64 s[24:25], s[44:45], 7
	s_lshl_b64 s[8:9], s[8:9], 4
	s_add_u32 s8, s48, s8
	s_addc_u32 s9, s49, s9
	v_lshl_add_u64 v[6:7], v[6:7], 4, s[8:9]
	v_lshlrev_b32_e32 v28, 4, v0
	v_lshl_add_u64 v[6:7], v[6:7], 0, 8
	s_lshl_b64 s[8:9], s[50:51], 7
	s_mov_b64 s[26:27], 0
	v_mov_b64_e32 v[12:13], 0
	v_mov_b64_e32 v[8:9], s[36:37]
	;; [unrolled: 1-line block ×9, first 2 shown]
.LBB134_2:                              ; =>This Inner Loop Header: Depth=1
	global_load_dwordx4 v[30:33], v[4:5], off
	s_add_u32 s26, s26, 8
	s_addc_u32 s27, s27, 0
	v_cmp_lt_i64_e32 vcc, s[26:27], v[8:9]
	v_lshl_add_u64 v[4:5], v[4:5], 0, s[24:25]
	s_and_b64 vcc, exec, vcc
	s_waitcnt vmcnt(0)
	ds_write2_b64 v26, v[30:31], v[32:33] offset1:1
	global_load_dwordx4 v[30:33], v[6:7], off offset:-8
	v_lshl_add_u64 v[6:7], v[6:7], 0, s[8:9]
	s_waitcnt vmcnt(0)
	v_xor_b32_e32 v33, 0x80000000, v33
	ds_write_b128 v27, v[30:33]
	s_waitcnt lgkmcnt(0)
	s_barrier
	ds_read_b128 v[30:33], v29
	ds_read_b128 v[34:37], v29 offset:16
	ds_read_b128 v[38:41], v29 offset:32
	;; [unrolled: 1-line block ×3, first 2 shown]
	ds_read_b128 v[46:49], v28
	s_waitcnt lgkmcnt(0)
	v_mul_f64 v[50:51], v[32:33], v[48:49]
	v_mul_f64 v[52:53], v[30:31], v[48:49]
	v_fma_f64 v[50:51], v[30:31], v[46:47], -v[50:51]
	v_fmac_f64_e32 v[52:53], v[32:33], v[46:47]
	v_add_f64 v[50:51], v[22:23], v[50:51]
	v_add_f64 v[52:53], v[52:53], v[24:25]
	ds_read_b128 v[22:25], v28 offset:256
	s_waitcnt lgkmcnt(0)
	v_mul_f64 v[54:55], v[32:33], v[24:25]
	v_fma_f64 v[54:55], v[30:31], v[22:23], -v[54:55]
	v_mul_f64 v[30:31], v[30:31], v[24:25]
	v_fmac_f64_e32 v[30:31], v[32:33], v[22:23]
	v_add_f64 v[32:33], v[14:15], v[54:55]
	v_add_f64 v[30:31], v[30:31], v[16:17]
	ds_read_b128 v[14:17], v29 offset:2048
	s_waitcnt lgkmcnt(0)
	v_mul_f64 v[54:55], v[16:17], v[48:49]
	v_fma_f64 v[54:55], v[14:15], v[46:47], -v[54:55]
	v_mul_f64 v[48:49], v[14:15], v[48:49]
	v_fmac_f64_e32 v[48:49], v[16:17], v[46:47]
	v_add_f64 v[46:47], v[18:19], v[54:55]
	v_mul_f64 v[18:19], v[16:17], v[24:25]
	v_fma_f64 v[18:19], v[14:15], v[22:23], -v[18:19]
	v_mul_f64 v[14:15], v[14:15], v[24:25]
	v_fmac_f64_e32 v[14:15], v[16:17], v[22:23]
	v_add_f64 v[22:23], v[10:11], v[18:19]
	v_add_f64 v[24:25], v[14:15], v[12:13]
	ds_read_b128 v[10:13], v28 offset:512
	v_add_f64 v[48:49], v[48:49], v[20:21]
	s_waitcnt lgkmcnt(0)
	v_mul_f64 v[14:15], v[36:37], v[12:13]
	v_mul_f64 v[16:17], v[34:35], v[12:13]
	v_fma_f64 v[14:15], v[34:35], v[10:11], -v[14:15]
	v_fmac_f64_e32 v[16:17], v[36:37], v[10:11]
	v_add_f64 v[50:51], v[50:51], v[14:15]
	v_add_f64 v[52:53], v[16:17], v[52:53]
	ds_read_b128 v[14:17], v28 offset:768
	s_waitcnt lgkmcnt(0)
	v_mul_f64 v[18:19], v[36:37], v[16:17]
	v_mul_f64 v[20:21], v[34:35], v[16:17]
	v_fma_f64 v[18:19], v[34:35], v[14:15], -v[18:19]
	v_fmac_f64_e32 v[20:21], v[36:37], v[14:15]
	v_add_f64 v[32:33], v[32:33], v[18:19]
	v_add_f64 v[30:31], v[20:21], v[30:31]
	ds_read_b128 v[18:21], v29 offset:2064
	s_waitcnt lgkmcnt(0)
	v_mul_f64 v[34:35], v[20:21], v[12:13]
	v_mul_f64 v[12:13], v[18:19], v[12:13]
	v_fmac_f64_e32 v[12:13], v[20:21], v[10:11]
	v_fma_f64 v[34:35], v[18:19], v[10:11], -v[34:35]
	v_add_f64 v[36:37], v[12:13], v[48:49]
	v_mul_f64 v[10:11], v[20:21], v[16:17]
	v_mul_f64 v[12:13], v[18:19], v[16:17]
	v_fma_f64 v[10:11], v[18:19], v[14:15], -v[10:11]
	v_fmac_f64_e32 v[12:13], v[20:21], v[14:15]
	v_add_f64 v[22:23], v[22:23], v[10:11]
	v_add_f64 v[24:25], v[12:13], v[24:25]
	ds_read_b128 v[10:13], v28 offset:1024
	v_add_f64 v[34:35], v[46:47], v[34:35]
	s_waitcnt lgkmcnt(0)
	v_mul_f64 v[14:15], v[40:41], v[12:13]
	v_mul_f64 v[16:17], v[38:39], v[12:13]
	v_fma_f64 v[14:15], v[38:39], v[10:11], -v[14:15]
	v_fmac_f64_e32 v[16:17], v[40:41], v[10:11]
	v_add_f64 v[46:47], v[50:51], v[14:15]
	v_add_f64 v[48:49], v[16:17], v[52:53]
	ds_read_b128 v[14:17], v28 offset:1280
	s_waitcnt lgkmcnt(0)
	v_mul_f64 v[18:19], v[40:41], v[16:17]
	v_mul_f64 v[20:21], v[38:39], v[16:17]
	v_fma_f64 v[18:19], v[38:39], v[14:15], -v[18:19]
	v_fmac_f64_e32 v[20:21], v[40:41], v[14:15]
	v_add_f64 v[32:33], v[32:33], v[18:19]
	v_add_f64 v[30:31], v[20:21], v[30:31]
	ds_read_b128 v[18:21], v29 offset:2080
	s_waitcnt lgkmcnt(0)
	v_mul_f64 v[38:39], v[20:21], v[12:13]
	v_mul_f64 v[12:13], v[18:19], v[12:13]
	v_fmac_f64_e32 v[12:13], v[20:21], v[10:11]
	v_fma_f64 v[38:39], v[18:19], v[10:11], -v[38:39]
	v_add_f64 v[36:37], v[12:13], v[36:37]
	v_mul_f64 v[10:11], v[20:21], v[16:17]
	v_mul_f64 v[12:13], v[18:19], v[16:17]
	v_fma_f64 v[10:11], v[18:19], v[14:15], -v[10:11]
	;; [unrolled: 30-line block ×3, first 2 shown]
	v_fmac_f64_e32 v[12:13], v[20:21], v[14:15]
	v_add_f64 v[22:23], v[22:23], v[10:11]
	v_add_f64 v[24:25], v[12:13], v[24:25]
	ds_read_b128 v[10:13], v29 offset:64
	ds_read_b128 v[14:17], v28 offset:2048
	v_add_f64 v[34:35], v[34:35], v[42:43]
	s_waitcnt lgkmcnt(0)
	v_mul_f64 v[18:19], v[12:13], v[16:17]
	v_mul_f64 v[20:21], v[10:11], v[16:17]
	v_fma_f64 v[18:19], v[10:11], v[14:15], -v[18:19]
	v_fmac_f64_e32 v[20:21], v[12:13], v[14:15]
	v_add_f64 v[38:39], v[38:39], v[18:19]
	v_add_f64 v[40:41], v[20:21], v[40:41]
	ds_read_b128 v[18:21], v28 offset:2304
	s_waitcnt lgkmcnt(0)
	v_mul_f64 v[42:43], v[12:13], v[20:21]
	v_fma_f64 v[42:43], v[10:11], v[18:19], -v[42:43]
	v_mul_f64 v[10:11], v[10:11], v[20:21]
	v_fmac_f64_e32 v[10:11], v[12:13], v[18:19]
	v_add_f64 v[30:31], v[10:11], v[30:31]
	ds_read_b128 v[10:13], v29 offset:2112
	v_add_f64 v[32:33], v[32:33], v[42:43]
	s_waitcnt lgkmcnt(0)
	v_mul_f64 v[42:43], v[12:13], v[16:17]
	v_mul_f64 v[16:17], v[10:11], v[16:17]
	v_fma_f64 v[42:43], v[10:11], v[14:15], -v[42:43]
	v_fmac_f64_e32 v[16:17], v[12:13], v[14:15]
	v_mul_f64 v[14:15], v[12:13], v[20:21]
	v_fma_f64 v[14:15], v[10:11], v[18:19], -v[14:15]
	v_mul_f64 v[10:11], v[10:11], v[20:21]
	v_fmac_f64_e32 v[10:11], v[12:13], v[18:19]
	v_add_f64 v[36:37], v[16:17], v[36:37]
	v_add_f64 v[22:23], v[22:23], v[14:15]
	v_add_f64 v[24:25], v[10:11], v[24:25]
	ds_read_b128 v[10:13], v29 offset:80
	ds_read_b128 v[14:17], v28 offset:2560
	v_add_f64 v[34:35], v[34:35], v[42:43]
	s_waitcnt lgkmcnt(0)
	v_mul_f64 v[18:19], v[12:13], v[16:17]
	v_mul_f64 v[20:21], v[10:11], v[16:17]
	v_fma_f64 v[18:19], v[10:11], v[14:15], -v[18:19]
	v_fmac_f64_e32 v[20:21], v[12:13], v[14:15]
	v_add_f64 v[38:39], v[38:39], v[18:19]
	v_add_f64 v[40:41], v[20:21], v[40:41]
	ds_read_b128 v[18:21], v28 offset:2816
	s_waitcnt lgkmcnt(0)
	v_mul_f64 v[42:43], v[12:13], v[20:21]
	v_fma_f64 v[42:43], v[10:11], v[18:19], -v[42:43]
	v_mul_f64 v[10:11], v[10:11], v[20:21]
	v_fmac_f64_e32 v[10:11], v[12:13], v[18:19]
	v_add_f64 v[30:31], v[10:11], v[30:31]
	ds_read_b128 v[10:13], v29 offset:2128
	v_add_f64 v[32:33], v[32:33], v[42:43]
	s_waitcnt lgkmcnt(0)
	v_mul_f64 v[42:43], v[12:13], v[16:17]
	v_mul_f64 v[16:17], v[10:11], v[16:17]
	v_fma_f64 v[42:43], v[10:11], v[14:15], -v[42:43]
	v_fmac_f64_e32 v[16:17], v[12:13], v[14:15]
	v_mul_f64 v[14:15], v[12:13], v[20:21]
	v_fma_f64 v[14:15], v[10:11], v[18:19], -v[14:15]
	v_mul_f64 v[10:11], v[10:11], v[20:21]
	v_fmac_f64_e32 v[10:11], v[12:13], v[18:19]
	v_add_f64 v[36:37], v[16:17], v[36:37]
	;; [unrolled: 31-line block ×3, first 2 shown]
	ds_read_b128 v[10:13], v29 offset:112
	ds_read_b128 v[18:21], v28 offset:3584
	v_add_f64 v[34:35], v[34:35], v[30:31]
	ds_read_b128 v[30:33], v28 offset:3840
	v_add_f64 v[46:47], v[22:23], v[14:15]
	v_add_f64 v[36:37], v[16:17], v[36:37]
	s_waitcnt lgkmcnt(1)
	v_mul_f64 v[14:15], v[12:13], v[20:21]
	v_fma_f64 v[14:15], v[10:11], v[18:19], -v[14:15]
	v_add_f64 v[22:23], v[38:39], v[14:15]
	s_waitcnt lgkmcnt(0)
	v_mul_f64 v[14:15], v[12:13], v[32:33]
	v_mul_f64 v[16:17], v[10:11], v[20:21]
	v_fma_f64 v[14:15], v[10:11], v[30:31], -v[14:15]
	v_mul_f64 v[10:11], v[10:11], v[32:33]
	v_fmac_f64_e32 v[16:17], v[12:13], v[18:19]
	v_fmac_f64_e32 v[10:11], v[12:13], v[30:31]
	v_add_f64 v[24:25], v[16:17], v[40:41]
	v_add_f64 v[16:17], v[10:11], v[44:45]
	ds_read_b128 v[10:13], v29 offset:2160
	v_add_f64 v[14:15], v[42:43], v[14:15]
	s_waitcnt lgkmcnt(0)
	s_barrier
	v_mul_f64 v[38:39], v[12:13], v[20:21]
	v_fma_f64 v[38:39], v[10:11], v[18:19], -v[38:39]
	v_mul_f64 v[20:21], v[10:11], v[20:21]
	v_fmac_f64_e32 v[20:21], v[12:13], v[18:19]
	v_add_f64 v[18:19], v[34:35], v[38:39]
	v_mul_f64 v[34:35], v[12:13], v[32:33]
	v_mul_f64 v[32:33], v[10:11], v[32:33]
	v_fma_f64 v[34:35], v[10:11], v[30:31], -v[34:35]
	v_fmac_f64_e32 v[32:33], v[12:13], v[30:31]
	v_add_f64 v[20:21], v[20:21], v[36:37]
	v_add_f64 v[10:11], v[46:47], v[34:35]
	;; [unrolled: 1-line block ×3, first 2 shown]
	s_cbranch_vccnz .LBB134_2
	s_branch .LBB134_4
.LBB134_3:
	v_mov_b64_e32 v[22:23], 0
	v_mov_b64_e32 v[24:25], 0
	;; [unrolled: 1-line block ×8, first 2 shown]
.LBB134_4:
	s_load_dwordx2 s[0:1], s[0:1], 0x90
	v_cmp_neq_f64_e64 s[8:9], s[10:11], 0
	v_lshl_add_u64 v[2:3], s[6:7], 0, v[2:3]
	s_mov_b64 s[6:7], 0
	v_lshl_add_u64 v[0:1], s[2:3], 0, v[0:1]
	s_waitcnt lgkmcnt(0)
	s_mul_i32 s1, s1, s4
	s_mul_hi_u32 s5, s0, s4
	s_mul_i32 s0, s0, s4
	s_add_i32 s1, s5, s1
	s_lshl_b64 s[0:1], s[0:1], 4
	s_add_u32 s0, s20, s0
	s_addc_u32 s1, s21, s1
	v_cmp_neq_f64_e64 s[20:21], s[12:13], 0
	s_or_b64 s[8:9], s[8:9], s[20:21]
	s_and_b64 vcc, exec, s[8:9]
	s_cbranch_vccnz .LBB134_6
; %bb.5:
	v_mul_lo_u32 v6, v3, s22
	v_mul_lo_u32 v7, v2, s23
	v_mad_u64_u32 v[4:5], s[2:3], v2, s22, 0
	v_add3_u32 v5, v5, v7, v6
	v_lshl_add_u64 v[8:9], v[4:5], 4, s[0:1]
	v_mul_f64 v[4:5], s[40:41], v[24:25]
	v_mul_f64 v[6:7], s[38:39], v[24:25]
	v_lshlrev_b64 v[26:27], 4, v[0:1]
	v_fma_f64 v[4:5], s[38:39], v[22:23], -v[4:5]
	v_fmac_f64_e32 v[6:7], s[40:41], v[22:23]
	v_lshl_add_u64 v[28:29], v[8:9], 0, v[26:27]
	global_store_dwordx4 v[28:29], v[4:7], off
	s_lshl_b64 s[2:3], s[22:23], 8
	v_lshl_add_u64 v[8:9], v[8:9], 0, s[2:3]
	v_mul_f64 v[4:5], s[40:41], v[16:17]
	v_mul_f64 v[6:7], s[38:39], v[16:17]
	v_fma_f64 v[4:5], s[38:39], v[14:15], -v[4:5]
	v_fmac_f64_e32 v[6:7], s[40:41], v[14:15]
	global_store_dwordx4 v[28:29], v[4:7], off offset:256
	v_lshl_add_u64 v[8:9], v[8:9], 0, v[26:27]
	s_mov_b64 s[2:3], 0x100
	v_mul_f64 v[4:5], s[40:41], v[20:21]
	v_mul_f64 v[6:7], s[38:39], v[20:21]
	v_fma_f64 v[4:5], s[38:39], v[18:19], -v[4:5]
	v_fmac_f64_e32 v[6:7], s[40:41], v[18:19]
	global_store_dwordx4 v[8:9], v[4:7], off
	s_nop 1
	v_mul_f64 v[4:5], s[40:41], v[12:13]
	v_fma_f64 v[26:27], s[38:39], v[10:11], -v[4:5]
	v_mul_f64 v[4:5], s[38:39], v[12:13]
	v_fmac_f64_e32 v[4:5], s[40:41], v[10:11]
	v_lshl_add_u64 v[6:7], v[8:9], 0, s[2:3]
	global_store_dwordx2 v[8:9], v[26:27], off offset:256
	s_andn2_b64 vcc, exec, s[6:7]
	s_cbranch_vccz .LBB134_7
	s_branch .LBB134_8
.LBB134_6:
                                        ; implicit-def: $vgpr4_vgpr5
                                        ; implicit-def: $vgpr6_vgpr7
.LBB134_7:
	s_mul_i32 s2, s19, s4
	s_mul_hi_u32 s3, s18, s4
	s_add_i32 s3, s3, s2
	s_mul_i32 s2, s18, s4
	s_lshl_b64 s[2:3], s[2:3], 4
	s_add_u32 s2, s14, s2
	v_mul_lo_u32 v6, v3, s16
	v_mul_lo_u32 v7, v2, s17
	v_mad_u64_u32 v[4:5], s[4:5], v2, s16, 0
	s_addc_u32 s3, s15, s3
	v_add3_u32 v5, v5, v7, v6
	v_lshl_add_u64 v[8:9], v[4:5], 4, s[2:3]
	v_lshlrev_b64 v[26:27], 4, v[0:1]
	v_lshl_add_u64 v[28:29], v[8:9], 0, v[26:27]
	global_load_dwordx4 v[4:7], v[28:29], off
	v_mul_lo_u32 v30, v3, s22
	v_mul_lo_u32 v31, v2, s23
	v_mad_u64_u32 v[0:1], s[2:3], v2, s22, 0
	v_mul_f64 v[2:3], s[40:41], v[24:25]
	v_mul_f64 v[24:25], s[38:39], v[24:25]
	v_add3_u32 v1, v1, v31, v30
	v_fma_f64 v[2:3], s[38:39], v[22:23], -v[2:3]
	v_fmac_f64_e32 v[24:25], s[40:41], v[22:23]
	v_lshl_add_u64 v[22:23], v[0:1], 4, s[0:1]
	v_lshl_add_u64 v[30:31], v[22:23], 0, v[26:27]
	s_lshl_b64 s[0:1], s[16:17], 8
	v_lshl_add_u64 v[8:9], v[8:9], 0, s[0:1]
	v_lshl_add_u64 v[8:9], v[8:9], 0, v[26:27]
	s_lshl_b64 s[0:1], s[22:23], 8
	s_waitcnt vmcnt(0)
	v_mul_f64 v[0:1], s[12:13], v[6:7]
	v_mul_f64 v[6:7], s[10:11], v[6:7]
	v_fma_f64 v[0:1], s[10:11], v[4:5], -v[0:1]
	v_fmac_f64_e32 v[6:7], s[12:13], v[4:5]
	v_add_f64 v[0:1], v[2:3], v[0:1]
	v_add_f64 v[2:3], v[24:25], v[6:7]
	global_store_dwordx4 v[30:31], v[0:3], off
	global_load_dwordx4 v[0:3], v[28:29], off offset:256
	v_mul_f64 v[4:5], s[40:41], v[16:17]
	v_mul_f64 v[6:7], s[38:39], v[16:17]
	v_fma_f64 v[4:5], s[38:39], v[14:15], -v[4:5]
	v_fmac_f64_e32 v[6:7], s[40:41], v[14:15]
	s_waitcnt vmcnt(0)
	v_mul_f64 v[14:15], s[12:13], v[2:3]
	v_mul_f64 v[2:3], s[10:11], v[2:3]
	v_fma_f64 v[14:15], s[10:11], v[0:1], -v[14:15]
	v_fmac_f64_e32 v[2:3], s[12:13], v[0:1]
	v_add_f64 v[0:1], v[4:5], v[14:15]
	v_add_f64 v[2:3], v[6:7], v[2:3]
	global_store_dwordx4 v[30:31], v[0:3], off offset:256
	global_load_dwordx4 v[0:3], v[8:9], off
	v_mul_f64 v[4:5], s[40:41], v[20:21]
	v_mul_f64 v[6:7], s[38:39], v[20:21]
	v_fma_f64 v[4:5], s[38:39], v[18:19], -v[4:5]
	v_fmac_f64_e32 v[6:7], s[40:41], v[18:19]
	v_lshl_add_u64 v[14:15], v[22:23], 0, s[0:1]
	v_lshl_add_u64 v[14:15], v[14:15], 0, v[26:27]
	s_mov_b64 s[0:1], 0x100
	s_waitcnt vmcnt(0)
	v_mul_f64 v[16:17], s[12:13], v[2:3]
	v_mul_f64 v[2:3], s[10:11], v[2:3]
	v_fma_f64 v[16:17], s[10:11], v[0:1], -v[16:17]
	v_fmac_f64_e32 v[2:3], s[12:13], v[0:1]
	v_add_f64 v[0:1], v[4:5], v[16:17]
	v_add_f64 v[2:3], v[6:7], v[2:3]
	global_store_dwordx4 v[14:15], v[0:3], off
	global_load_dwordx4 v[0:3], v[8:9], off offset:256
	v_mul_f64 v[4:5], s[40:41], v[12:13]
	v_mul_f64 v[6:7], s[38:39], v[12:13]
	v_fma_f64 v[4:5], s[38:39], v[10:11], -v[4:5]
	v_fmac_f64_e32 v[6:7], s[40:41], v[10:11]
	s_waitcnt vmcnt(0)
	v_mul_f64 v[8:9], s[12:13], v[2:3]
	v_mul_f64 v[2:3], s[10:11], v[2:3]
	v_fma_f64 v[8:9], s[10:11], v[0:1], -v[8:9]
	v_fmac_f64_e32 v[2:3], s[12:13], v[0:1]
	v_add_f64 v[0:1], v[4:5], v[8:9]
	v_add_f64 v[4:5], v[6:7], v[2:3]
	v_lshl_add_u64 v[6:7], v[14:15], 0, s[0:1]
	global_store_dwordx2 v[14:15], v[0:1], off offset:256
.LBB134_8:
	global_store_dwordx2 v[6:7], v[4:5], off offset:8
	s_endpgm
	.section	.rodata,"a",@progbits
	.p2align	6, 0x0
	.amdhsa_kernel _ZN12_GLOBAL__N_127rocblas_gemm_batched_kernelI19rocblas_complex_numIdELi16ELi16ELi32ELi32ELi8ELi32ELi8ELi8ELi32ELc78ELc67EKS2_S3_S2_EEvlllT_PT11_llS6_llS4_PT12_llPT13_lli
		.amdhsa_group_segment_fixed_size 8192
		.amdhsa_private_segment_fixed_size 0
		.amdhsa_kernarg_size 156
		.amdhsa_user_sgpr_count 2
		.amdhsa_user_sgpr_dispatch_ptr 0
		.amdhsa_user_sgpr_queue_ptr 0
		.amdhsa_user_sgpr_kernarg_segment_ptr 1
		.amdhsa_user_sgpr_dispatch_id 0
		.amdhsa_user_sgpr_kernarg_preload_length 0
		.amdhsa_user_sgpr_kernarg_preload_offset 0
		.amdhsa_user_sgpr_private_segment_size 0
		.amdhsa_uses_dynamic_stack 0
		.amdhsa_enable_private_segment 0
		.amdhsa_system_sgpr_workgroup_id_x 1
		.amdhsa_system_sgpr_workgroup_id_y 1
		.amdhsa_system_sgpr_workgroup_id_z 1
		.amdhsa_system_sgpr_workgroup_info 0
		.amdhsa_system_vgpr_workitem_id 1
		.amdhsa_next_free_vgpr 56
		.amdhsa_next_free_sgpr 52
		.amdhsa_accum_offset 56
		.amdhsa_reserve_vcc 1
		.amdhsa_float_round_mode_32 0
		.amdhsa_float_round_mode_16_64 0
		.amdhsa_float_denorm_mode_32 3
		.amdhsa_float_denorm_mode_16_64 3
		.amdhsa_dx10_clamp 1
		.amdhsa_ieee_mode 1
		.amdhsa_fp16_overflow 0
		.amdhsa_tg_split 0
		.amdhsa_exception_fp_ieee_invalid_op 0
		.amdhsa_exception_fp_denorm_src 0
		.amdhsa_exception_fp_ieee_div_zero 0
		.amdhsa_exception_fp_ieee_overflow 0
		.amdhsa_exception_fp_ieee_underflow 0
		.amdhsa_exception_fp_ieee_inexact 0
		.amdhsa_exception_int_div_zero 0
	.end_amdhsa_kernel
	.section	.text._ZN12_GLOBAL__N_127rocblas_gemm_batched_kernelI19rocblas_complex_numIdELi16ELi16ELi32ELi32ELi8ELi32ELi8ELi8ELi32ELc78ELc67EKS2_S3_S2_EEvlllT_PT11_llS6_llS4_PT12_llPT13_lli,"axG",@progbits,_ZN12_GLOBAL__N_127rocblas_gemm_batched_kernelI19rocblas_complex_numIdELi16ELi16ELi32ELi32ELi8ELi32ELi8ELi8ELi32ELc78ELc67EKS2_S3_S2_EEvlllT_PT11_llS6_llS4_PT12_llPT13_lli,comdat
.Lfunc_end134:
	.size	_ZN12_GLOBAL__N_127rocblas_gemm_batched_kernelI19rocblas_complex_numIdELi16ELi16ELi32ELi32ELi8ELi32ELi8ELi8ELi32ELc78ELc67EKS2_S3_S2_EEvlllT_PT11_llS6_llS4_PT12_llPT13_lli, .Lfunc_end134-_ZN12_GLOBAL__N_127rocblas_gemm_batched_kernelI19rocblas_complex_numIdELi16ELi16ELi32ELi32ELi8ELi32ELi8ELi8ELi32ELc78ELc67EKS2_S3_S2_EEvlllT_PT11_llS6_llS4_PT12_llPT13_lli
                                        ; -- End function
	.set _ZN12_GLOBAL__N_127rocblas_gemm_batched_kernelI19rocblas_complex_numIdELi16ELi16ELi32ELi32ELi8ELi32ELi8ELi8ELi32ELc78ELc67EKS2_S3_S2_EEvlllT_PT11_llS6_llS4_PT12_llPT13_lli.num_vgpr, 56
	.set _ZN12_GLOBAL__N_127rocblas_gemm_batched_kernelI19rocblas_complex_numIdELi16ELi16ELi32ELi32ELi8ELi32ELi8ELi8ELi32ELc78ELc67EKS2_S3_S2_EEvlllT_PT11_llS6_llS4_PT12_llPT13_lli.num_agpr, 0
	.set _ZN12_GLOBAL__N_127rocblas_gemm_batched_kernelI19rocblas_complex_numIdELi16ELi16ELi32ELi32ELi8ELi32ELi8ELi8ELi32ELc78ELc67EKS2_S3_S2_EEvlllT_PT11_llS6_llS4_PT12_llPT13_lli.numbered_sgpr, 52
	.set _ZN12_GLOBAL__N_127rocblas_gemm_batched_kernelI19rocblas_complex_numIdELi16ELi16ELi32ELi32ELi8ELi32ELi8ELi8ELi32ELc78ELc67EKS2_S3_S2_EEvlllT_PT11_llS6_llS4_PT12_llPT13_lli.num_named_barrier, 0
	.set _ZN12_GLOBAL__N_127rocblas_gemm_batched_kernelI19rocblas_complex_numIdELi16ELi16ELi32ELi32ELi8ELi32ELi8ELi8ELi32ELc78ELc67EKS2_S3_S2_EEvlllT_PT11_llS6_llS4_PT12_llPT13_lli.private_seg_size, 0
	.set _ZN12_GLOBAL__N_127rocblas_gemm_batched_kernelI19rocblas_complex_numIdELi16ELi16ELi32ELi32ELi8ELi32ELi8ELi8ELi32ELc78ELc67EKS2_S3_S2_EEvlllT_PT11_llS6_llS4_PT12_llPT13_lli.uses_vcc, 1
	.set _ZN12_GLOBAL__N_127rocblas_gemm_batched_kernelI19rocblas_complex_numIdELi16ELi16ELi32ELi32ELi8ELi32ELi8ELi8ELi32ELc78ELc67EKS2_S3_S2_EEvlllT_PT11_llS6_llS4_PT12_llPT13_lli.uses_flat_scratch, 0
	.set _ZN12_GLOBAL__N_127rocblas_gemm_batched_kernelI19rocblas_complex_numIdELi16ELi16ELi32ELi32ELi8ELi32ELi8ELi8ELi32ELc78ELc67EKS2_S3_S2_EEvlllT_PT11_llS6_llS4_PT12_llPT13_lli.has_dyn_sized_stack, 0
	.set _ZN12_GLOBAL__N_127rocblas_gemm_batched_kernelI19rocblas_complex_numIdELi16ELi16ELi32ELi32ELi8ELi32ELi8ELi8ELi32ELc78ELc67EKS2_S3_S2_EEvlllT_PT11_llS6_llS4_PT12_llPT13_lli.has_recursion, 0
	.set _ZN12_GLOBAL__N_127rocblas_gemm_batched_kernelI19rocblas_complex_numIdELi16ELi16ELi32ELi32ELi8ELi32ELi8ELi8ELi32ELc78ELc67EKS2_S3_S2_EEvlllT_PT11_llS6_llS4_PT12_llPT13_lli.has_indirect_call, 0
	.section	.AMDGPU.csdata,"",@progbits
; Kernel info:
; codeLenInByte = 3160
; TotalNumSgprs: 58
; NumVgprs: 56
; NumAgprs: 0
; TotalNumVgprs: 56
; ScratchSize: 0
; MemoryBound: 0
; FloatMode: 240
; IeeeMode: 1
; LDSByteSize: 8192 bytes/workgroup (compile time only)
; SGPRBlocks: 7
; VGPRBlocks: 6
; NumSGPRsForWavesPerEU: 58
; NumVGPRsForWavesPerEU: 56
; AccumOffset: 56
; Occupancy: 8
; WaveLimiterHint : 1
; COMPUTE_PGM_RSRC2:SCRATCH_EN: 0
; COMPUTE_PGM_RSRC2:USER_SGPR: 2
; COMPUTE_PGM_RSRC2:TRAP_HANDLER: 0
; COMPUTE_PGM_RSRC2:TGID_X_EN: 1
; COMPUTE_PGM_RSRC2:TGID_Y_EN: 1
; COMPUTE_PGM_RSRC2:TGID_Z_EN: 1
; COMPUTE_PGM_RSRC2:TIDIG_COMP_CNT: 1
; COMPUTE_PGM_RSRC3_GFX90A:ACCUM_OFFSET: 13
; COMPUTE_PGM_RSRC3_GFX90A:TG_SPLIT: 0
	.section	.text._ZN12_GLOBAL__N_127rocblas_gemm_batched_kernelI19rocblas_complex_numIdELi16ELi16ELi32ELi32ELi8ELi32ELi8ELi8ELi32ELc84ELc67EKS2_S3_S2_EEvlllT_PT11_llS6_llS4_PT12_llPT13_lli,"axG",@progbits,_ZN12_GLOBAL__N_127rocblas_gemm_batched_kernelI19rocblas_complex_numIdELi16ELi16ELi32ELi32ELi8ELi32ELi8ELi8ELi32ELc84ELc67EKS2_S3_S2_EEvlllT_PT11_llS6_llS4_PT12_llPT13_lli,comdat
	.globl	_ZN12_GLOBAL__N_127rocblas_gemm_batched_kernelI19rocblas_complex_numIdELi16ELi16ELi32ELi32ELi8ELi32ELi8ELi8ELi32ELc84ELc67EKS2_S3_S2_EEvlllT_PT11_llS6_llS4_PT12_llPT13_lli ; -- Begin function _ZN12_GLOBAL__N_127rocblas_gemm_batched_kernelI19rocblas_complex_numIdELi16ELi16ELi32ELi32ELi8ELi32ELi8ELi8ELi32ELc84ELc67EKS2_S3_S2_EEvlllT_PT11_llS6_llS4_PT12_llPT13_lli
	.p2align	8
	.type	_ZN12_GLOBAL__N_127rocblas_gemm_batched_kernelI19rocblas_complex_numIdELi16ELi16ELi32ELi32ELi8ELi32ELi8ELi8ELi32ELc84ELc67EKS2_S3_S2_EEvlllT_PT11_llS6_llS4_PT12_llPT13_lli,@function
_ZN12_GLOBAL__N_127rocblas_gemm_batched_kernelI19rocblas_complex_numIdELi16ELi16ELi32ELi32ELi8ELi32ELi8ELi8ELi32ELc84ELc67EKS2_S3_S2_EEvlllT_PT11_llS6_llS4_PT12_llPT13_lli: ; @_ZN12_GLOBAL__N_127rocblas_gemm_batched_kernelI19rocblas_complex_numIdELi16ELi16ELi32ELi32ELi8ELi32ELi8ELi8ELi32ELc84ELc67EKS2_S3_S2_EEvlllT_PT11_llS6_llS4_PT12_llPT13_lli
; %bb.0:
	s_load_dwordx16 s[36:51], s[0:1], 0x10
	s_load_dwordx16 s[8:23], s[0:1], 0x50
	s_mov_b32 s6, s3
	v_mov_b32_e32 v3, 0
	s_ashr_i32 s3, s2, 31
	s_ashr_i32 s7, s6, 31
	s_waitcnt lgkmcnt(0)
	v_cmp_lt_i64_e64 s[24:25], s[36:37], 1
	v_bfe_u32 v2, v0, 10, 10
	v_and_b32_e32 v0, 0x3ff, v0
	v_mov_b32_e32 v1, v3
	s_lshl_b64 s[2:3], s[2:3], 5
	s_lshl_b64 s[6:7], s[6:7], 5
	s_and_b64 vcc, exec, s[24:25]
	s_cbranch_vccnz .LBB135_3
; %bb.1:
	v_lshl_add_u32 v10, v2, 4, v0
	v_lshrrev_b32_e32 v4, 3, v10
	v_mov_b32_e32 v5, v3
	v_lshl_add_u64 v[6:7], v[4:5], 0, s[6:7]
	v_and_b32_e32 v5, 7, v0
	v_mad_u64_u32 v[6:7], s[24:25], s50, v5, v[6:7]
	v_mov_b32_e32 v8, v7
	v_mad_u64_u32 v[8:9], s[24:25], s51, v5, v[8:9]
	v_lshlrev_b32_e32 v5, 4, v5
	v_lshl_or_b32 v4, v4, 7, v5
	v_mov_b32_e32 v7, v8
	v_and_b32_e32 v8, 31, v10
	v_mov_b32_e32 v9, v3
	v_add_u32_e32 v27, 0x1000, v4
	v_mov_b32_e32 v4, 0x1000
	v_lshl_add_u32 v29, v2, 7, v4
	v_lshl_add_u64 v[4:5], s[2:3], 0, v[8:9]
	v_lshlrev_b32_e32 v11, 4, v8
	v_mul_lo_u32 v8, s45, v4
	v_mul_lo_u32 v9, s44, v5
	v_mad_u64_u32 v[4:5], s[24:25], s44, v4, 0
	s_mul_i32 s5, s47, s4
	s_mul_hi_u32 s24, s46, s4
	s_add_i32 s25, s24, s5
	s_mul_i32 s5, s9, s4
	s_mul_hi_u32 s9, s8, s4
	s_mul_i32 s24, s46, s4
	s_add_i32 s9, s9, s5
	s_mul_i32 s8, s8, s4
	s_lshl_b64 s[24:25], s[24:25], 4
	s_lshl_b64 s[8:9], s[8:9], 4
	v_lshrrev_b32_e32 v10, 5, v10
	v_add3_u32 v5, v5, v9, v8
	s_add_u32 s8, s48, s8
	v_lshl_add_u64 v[4:5], v[4:5], 4, s[24:25]
	v_lshlrev_b32_e32 v8, 4, v10
	v_mov_b32_e32 v9, v3
	s_addc_u32 s9, s49, s9
	v_lshl_add_u64 v[4:5], v[4:5], 0, v[8:9]
	v_lshl_add_u64 v[6:7], v[6:7], 4, s[8:9]
	v_lshl_or_b32 v26, v10, 9, v11
	v_lshlrev_b32_e32 v28, 4, v0
	v_lshl_add_u64 v[4:5], s[42:43], 0, v[4:5]
	v_lshl_add_u64 v[6:7], v[6:7], 0, 8
	s_lshl_b64 s[8:9], s[50:51], 7
	s_mov_b64 s[24:25], 0
	v_mov_b64_e32 v[12:13], 0
	s_mov_b64 s[26:27], 0x80
	v_mov_b64_e32 v[8:9], s[36:37]
	v_mov_b64_e32 v[10:11], 0
	;; [unrolled: 1-line block ×8, first 2 shown]
.LBB135_2:                              ; =>This Inner Loop Header: Depth=1
	global_load_dwordx4 v[30:33], v[4:5], off
	s_add_u32 s24, s24, 8
	s_addc_u32 s25, s25, 0
	v_cmp_lt_i64_e32 vcc, s[24:25], v[8:9]
	v_lshl_add_u64 v[4:5], v[4:5], 0, s[26:27]
	s_and_b64 vcc, exec, vcc
	s_waitcnt vmcnt(0)
	ds_write2_b64 v26, v[30:31], v[32:33] offset1:1
	global_load_dwordx4 v[30:33], v[6:7], off offset:-8
	v_lshl_add_u64 v[6:7], v[6:7], 0, s[8:9]
	s_waitcnt vmcnt(0)
	v_xor_b32_e32 v33, 0x80000000, v33
	ds_write_b128 v27, v[30:33]
	s_waitcnt lgkmcnt(0)
	s_barrier
	ds_read_b128 v[30:33], v29
	ds_read_b128 v[34:37], v29 offset:16
	ds_read_b128 v[38:41], v29 offset:32
	;; [unrolled: 1-line block ×3, first 2 shown]
	ds_read_b128 v[46:49], v28
	s_waitcnt lgkmcnt(0)
	v_mul_f64 v[50:51], v[32:33], v[48:49]
	v_mul_f64 v[52:53], v[30:31], v[48:49]
	v_fma_f64 v[50:51], v[30:31], v[46:47], -v[50:51]
	v_fmac_f64_e32 v[52:53], v[32:33], v[46:47]
	v_add_f64 v[50:51], v[22:23], v[50:51]
	v_add_f64 v[52:53], v[52:53], v[24:25]
	ds_read_b128 v[22:25], v28 offset:256
	s_waitcnt lgkmcnt(0)
	v_mul_f64 v[54:55], v[32:33], v[24:25]
	v_fma_f64 v[54:55], v[30:31], v[22:23], -v[54:55]
	v_mul_f64 v[30:31], v[30:31], v[24:25]
	v_fmac_f64_e32 v[30:31], v[32:33], v[22:23]
	v_add_f64 v[32:33], v[14:15], v[54:55]
	v_add_f64 v[30:31], v[30:31], v[16:17]
	ds_read_b128 v[14:17], v29 offset:2048
	s_waitcnt lgkmcnt(0)
	v_mul_f64 v[54:55], v[16:17], v[48:49]
	v_fma_f64 v[54:55], v[14:15], v[46:47], -v[54:55]
	v_mul_f64 v[48:49], v[14:15], v[48:49]
	v_fmac_f64_e32 v[48:49], v[16:17], v[46:47]
	v_add_f64 v[46:47], v[18:19], v[54:55]
	v_mul_f64 v[18:19], v[16:17], v[24:25]
	v_fma_f64 v[18:19], v[14:15], v[22:23], -v[18:19]
	v_mul_f64 v[14:15], v[14:15], v[24:25]
	v_fmac_f64_e32 v[14:15], v[16:17], v[22:23]
	v_add_f64 v[22:23], v[10:11], v[18:19]
	v_add_f64 v[24:25], v[14:15], v[12:13]
	ds_read_b128 v[10:13], v28 offset:512
	v_add_f64 v[48:49], v[48:49], v[20:21]
	s_waitcnt lgkmcnt(0)
	v_mul_f64 v[14:15], v[36:37], v[12:13]
	v_mul_f64 v[16:17], v[34:35], v[12:13]
	v_fma_f64 v[14:15], v[34:35], v[10:11], -v[14:15]
	v_fmac_f64_e32 v[16:17], v[36:37], v[10:11]
	v_add_f64 v[50:51], v[50:51], v[14:15]
	v_add_f64 v[52:53], v[16:17], v[52:53]
	ds_read_b128 v[14:17], v28 offset:768
	s_waitcnt lgkmcnt(0)
	v_mul_f64 v[18:19], v[36:37], v[16:17]
	v_mul_f64 v[20:21], v[34:35], v[16:17]
	v_fma_f64 v[18:19], v[34:35], v[14:15], -v[18:19]
	v_fmac_f64_e32 v[20:21], v[36:37], v[14:15]
	v_add_f64 v[32:33], v[32:33], v[18:19]
	v_add_f64 v[30:31], v[20:21], v[30:31]
	ds_read_b128 v[18:21], v29 offset:2064
	s_waitcnt lgkmcnt(0)
	v_mul_f64 v[34:35], v[20:21], v[12:13]
	v_mul_f64 v[12:13], v[18:19], v[12:13]
	v_fmac_f64_e32 v[12:13], v[20:21], v[10:11]
	v_fma_f64 v[34:35], v[18:19], v[10:11], -v[34:35]
	v_add_f64 v[36:37], v[12:13], v[48:49]
	v_mul_f64 v[10:11], v[20:21], v[16:17]
	v_mul_f64 v[12:13], v[18:19], v[16:17]
	v_fma_f64 v[10:11], v[18:19], v[14:15], -v[10:11]
	v_fmac_f64_e32 v[12:13], v[20:21], v[14:15]
	v_add_f64 v[22:23], v[22:23], v[10:11]
	v_add_f64 v[24:25], v[12:13], v[24:25]
	ds_read_b128 v[10:13], v28 offset:1024
	v_add_f64 v[34:35], v[46:47], v[34:35]
	s_waitcnt lgkmcnt(0)
	v_mul_f64 v[14:15], v[40:41], v[12:13]
	v_mul_f64 v[16:17], v[38:39], v[12:13]
	v_fma_f64 v[14:15], v[38:39], v[10:11], -v[14:15]
	v_fmac_f64_e32 v[16:17], v[40:41], v[10:11]
	v_add_f64 v[46:47], v[50:51], v[14:15]
	v_add_f64 v[48:49], v[16:17], v[52:53]
	ds_read_b128 v[14:17], v28 offset:1280
	s_waitcnt lgkmcnt(0)
	v_mul_f64 v[18:19], v[40:41], v[16:17]
	v_mul_f64 v[20:21], v[38:39], v[16:17]
	v_fma_f64 v[18:19], v[38:39], v[14:15], -v[18:19]
	v_fmac_f64_e32 v[20:21], v[40:41], v[14:15]
	v_add_f64 v[32:33], v[32:33], v[18:19]
	v_add_f64 v[30:31], v[20:21], v[30:31]
	ds_read_b128 v[18:21], v29 offset:2080
	s_waitcnt lgkmcnt(0)
	v_mul_f64 v[38:39], v[20:21], v[12:13]
	v_mul_f64 v[12:13], v[18:19], v[12:13]
	v_fmac_f64_e32 v[12:13], v[20:21], v[10:11]
	v_fma_f64 v[38:39], v[18:19], v[10:11], -v[38:39]
	v_add_f64 v[36:37], v[12:13], v[36:37]
	v_mul_f64 v[10:11], v[20:21], v[16:17]
	v_mul_f64 v[12:13], v[18:19], v[16:17]
	v_fma_f64 v[10:11], v[18:19], v[14:15], -v[10:11]
	;; [unrolled: 30-line block ×3, first 2 shown]
	v_fmac_f64_e32 v[12:13], v[20:21], v[14:15]
	v_add_f64 v[22:23], v[22:23], v[10:11]
	v_add_f64 v[24:25], v[12:13], v[24:25]
	ds_read_b128 v[10:13], v29 offset:64
	ds_read_b128 v[14:17], v28 offset:2048
	v_add_f64 v[34:35], v[34:35], v[42:43]
	s_waitcnt lgkmcnt(0)
	v_mul_f64 v[18:19], v[12:13], v[16:17]
	v_mul_f64 v[20:21], v[10:11], v[16:17]
	v_fma_f64 v[18:19], v[10:11], v[14:15], -v[18:19]
	v_fmac_f64_e32 v[20:21], v[12:13], v[14:15]
	v_add_f64 v[38:39], v[38:39], v[18:19]
	v_add_f64 v[40:41], v[20:21], v[40:41]
	ds_read_b128 v[18:21], v28 offset:2304
	s_waitcnt lgkmcnt(0)
	v_mul_f64 v[42:43], v[12:13], v[20:21]
	v_fma_f64 v[42:43], v[10:11], v[18:19], -v[42:43]
	v_mul_f64 v[10:11], v[10:11], v[20:21]
	v_fmac_f64_e32 v[10:11], v[12:13], v[18:19]
	v_add_f64 v[30:31], v[10:11], v[30:31]
	ds_read_b128 v[10:13], v29 offset:2112
	v_add_f64 v[32:33], v[32:33], v[42:43]
	s_waitcnt lgkmcnt(0)
	v_mul_f64 v[42:43], v[12:13], v[16:17]
	v_mul_f64 v[16:17], v[10:11], v[16:17]
	v_fma_f64 v[42:43], v[10:11], v[14:15], -v[42:43]
	v_fmac_f64_e32 v[16:17], v[12:13], v[14:15]
	v_mul_f64 v[14:15], v[12:13], v[20:21]
	v_fma_f64 v[14:15], v[10:11], v[18:19], -v[14:15]
	v_mul_f64 v[10:11], v[10:11], v[20:21]
	v_fmac_f64_e32 v[10:11], v[12:13], v[18:19]
	v_add_f64 v[36:37], v[16:17], v[36:37]
	v_add_f64 v[22:23], v[22:23], v[14:15]
	v_add_f64 v[24:25], v[10:11], v[24:25]
	ds_read_b128 v[10:13], v29 offset:80
	ds_read_b128 v[14:17], v28 offset:2560
	v_add_f64 v[34:35], v[34:35], v[42:43]
	s_waitcnt lgkmcnt(0)
	v_mul_f64 v[18:19], v[12:13], v[16:17]
	v_mul_f64 v[20:21], v[10:11], v[16:17]
	v_fma_f64 v[18:19], v[10:11], v[14:15], -v[18:19]
	v_fmac_f64_e32 v[20:21], v[12:13], v[14:15]
	v_add_f64 v[38:39], v[38:39], v[18:19]
	v_add_f64 v[40:41], v[20:21], v[40:41]
	ds_read_b128 v[18:21], v28 offset:2816
	s_waitcnt lgkmcnt(0)
	v_mul_f64 v[42:43], v[12:13], v[20:21]
	v_fma_f64 v[42:43], v[10:11], v[18:19], -v[42:43]
	v_mul_f64 v[10:11], v[10:11], v[20:21]
	v_fmac_f64_e32 v[10:11], v[12:13], v[18:19]
	v_add_f64 v[30:31], v[10:11], v[30:31]
	ds_read_b128 v[10:13], v29 offset:2128
	v_add_f64 v[32:33], v[32:33], v[42:43]
	s_waitcnt lgkmcnt(0)
	v_mul_f64 v[42:43], v[12:13], v[16:17]
	v_mul_f64 v[16:17], v[10:11], v[16:17]
	v_fma_f64 v[42:43], v[10:11], v[14:15], -v[42:43]
	v_fmac_f64_e32 v[16:17], v[12:13], v[14:15]
	v_mul_f64 v[14:15], v[12:13], v[20:21]
	v_fma_f64 v[14:15], v[10:11], v[18:19], -v[14:15]
	v_mul_f64 v[10:11], v[10:11], v[20:21]
	v_fmac_f64_e32 v[10:11], v[12:13], v[18:19]
	v_add_f64 v[36:37], v[16:17], v[36:37]
	;; [unrolled: 31-line block ×3, first 2 shown]
	ds_read_b128 v[10:13], v29 offset:112
	ds_read_b128 v[18:21], v28 offset:3584
	v_add_f64 v[34:35], v[34:35], v[30:31]
	ds_read_b128 v[30:33], v28 offset:3840
	v_add_f64 v[46:47], v[22:23], v[14:15]
	v_add_f64 v[36:37], v[16:17], v[36:37]
	s_waitcnt lgkmcnt(1)
	v_mul_f64 v[14:15], v[12:13], v[20:21]
	v_fma_f64 v[14:15], v[10:11], v[18:19], -v[14:15]
	v_add_f64 v[22:23], v[38:39], v[14:15]
	s_waitcnt lgkmcnt(0)
	v_mul_f64 v[14:15], v[12:13], v[32:33]
	v_mul_f64 v[16:17], v[10:11], v[20:21]
	v_fma_f64 v[14:15], v[10:11], v[30:31], -v[14:15]
	v_mul_f64 v[10:11], v[10:11], v[32:33]
	v_fmac_f64_e32 v[16:17], v[12:13], v[18:19]
	v_fmac_f64_e32 v[10:11], v[12:13], v[30:31]
	v_add_f64 v[24:25], v[16:17], v[40:41]
	v_add_f64 v[16:17], v[10:11], v[44:45]
	ds_read_b128 v[10:13], v29 offset:2160
	v_add_f64 v[14:15], v[42:43], v[14:15]
	s_waitcnt lgkmcnt(0)
	s_barrier
	v_mul_f64 v[38:39], v[12:13], v[20:21]
	v_fma_f64 v[38:39], v[10:11], v[18:19], -v[38:39]
	v_mul_f64 v[20:21], v[10:11], v[20:21]
	v_fmac_f64_e32 v[20:21], v[12:13], v[18:19]
	v_add_f64 v[18:19], v[34:35], v[38:39]
	v_mul_f64 v[34:35], v[12:13], v[32:33]
	v_mul_f64 v[32:33], v[10:11], v[32:33]
	v_fma_f64 v[34:35], v[10:11], v[30:31], -v[34:35]
	v_fmac_f64_e32 v[32:33], v[12:13], v[30:31]
	v_add_f64 v[20:21], v[20:21], v[36:37]
	v_add_f64 v[10:11], v[46:47], v[34:35]
	;; [unrolled: 1-line block ×3, first 2 shown]
	s_cbranch_vccnz .LBB135_2
	s_branch .LBB135_4
.LBB135_3:
	v_mov_b64_e32 v[22:23], 0
	v_mov_b64_e32 v[24:25], 0
	;; [unrolled: 1-line block ×8, first 2 shown]
.LBB135_4:
	s_load_dwordx2 s[0:1], s[0:1], 0x90
	v_cmp_neq_f64_e64 s[8:9], s[10:11], 0
	v_lshl_add_u64 v[2:3], s[6:7], 0, v[2:3]
	s_mov_b64 s[6:7], 0
	v_lshl_add_u64 v[0:1], s[2:3], 0, v[0:1]
	s_waitcnt lgkmcnt(0)
	s_mul_i32 s1, s1, s4
	s_mul_hi_u32 s5, s0, s4
	s_mul_i32 s0, s0, s4
	s_add_i32 s1, s5, s1
	s_lshl_b64 s[0:1], s[0:1], 4
	s_add_u32 s0, s20, s0
	s_addc_u32 s1, s21, s1
	v_cmp_neq_f64_e64 s[20:21], s[12:13], 0
	s_or_b64 s[8:9], s[8:9], s[20:21]
	s_and_b64 vcc, exec, s[8:9]
	s_cbranch_vccnz .LBB135_6
; %bb.5:
	v_mul_lo_u32 v6, v3, s22
	v_mul_lo_u32 v7, v2, s23
	v_mad_u64_u32 v[4:5], s[2:3], v2, s22, 0
	v_add3_u32 v5, v5, v7, v6
	v_lshl_add_u64 v[8:9], v[4:5], 4, s[0:1]
	v_mul_f64 v[4:5], s[40:41], v[24:25]
	v_mul_f64 v[6:7], s[38:39], v[24:25]
	v_lshlrev_b64 v[26:27], 4, v[0:1]
	v_fma_f64 v[4:5], s[38:39], v[22:23], -v[4:5]
	v_fmac_f64_e32 v[6:7], s[40:41], v[22:23]
	v_lshl_add_u64 v[28:29], v[8:9], 0, v[26:27]
	global_store_dwordx4 v[28:29], v[4:7], off
	s_lshl_b64 s[2:3], s[22:23], 8
	v_lshl_add_u64 v[8:9], v[8:9], 0, s[2:3]
	v_mul_f64 v[4:5], s[40:41], v[16:17]
	v_mul_f64 v[6:7], s[38:39], v[16:17]
	v_fma_f64 v[4:5], s[38:39], v[14:15], -v[4:5]
	v_fmac_f64_e32 v[6:7], s[40:41], v[14:15]
	global_store_dwordx4 v[28:29], v[4:7], off offset:256
	v_lshl_add_u64 v[8:9], v[8:9], 0, v[26:27]
	s_mov_b64 s[2:3], 0x100
	v_mul_f64 v[4:5], s[40:41], v[20:21]
	v_mul_f64 v[6:7], s[38:39], v[20:21]
	v_fma_f64 v[4:5], s[38:39], v[18:19], -v[4:5]
	v_fmac_f64_e32 v[6:7], s[40:41], v[18:19]
	global_store_dwordx4 v[8:9], v[4:7], off
	s_nop 1
	v_mul_f64 v[4:5], s[40:41], v[12:13]
	v_fma_f64 v[26:27], s[38:39], v[10:11], -v[4:5]
	v_mul_f64 v[4:5], s[38:39], v[12:13]
	v_fmac_f64_e32 v[4:5], s[40:41], v[10:11]
	v_lshl_add_u64 v[6:7], v[8:9], 0, s[2:3]
	global_store_dwordx2 v[8:9], v[26:27], off offset:256
	s_andn2_b64 vcc, exec, s[6:7]
	s_cbranch_vccz .LBB135_7
	s_branch .LBB135_8
.LBB135_6:
                                        ; implicit-def: $vgpr4_vgpr5
                                        ; implicit-def: $vgpr6_vgpr7
.LBB135_7:
	s_mul_i32 s2, s19, s4
	s_mul_hi_u32 s3, s18, s4
	s_add_i32 s3, s3, s2
	s_mul_i32 s2, s18, s4
	s_lshl_b64 s[2:3], s[2:3], 4
	s_add_u32 s2, s14, s2
	v_mul_lo_u32 v6, v3, s16
	v_mul_lo_u32 v7, v2, s17
	v_mad_u64_u32 v[4:5], s[4:5], v2, s16, 0
	s_addc_u32 s3, s15, s3
	v_add3_u32 v5, v5, v7, v6
	v_lshl_add_u64 v[8:9], v[4:5], 4, s[2:3]
	v_lshlrev_b64 v[26:27], 4, v[0:1]
	v_lshl_add_u64 v[28:29], v[8:9], 0, v[26:27]
	global_load_dwordx4 v[4:7], v[28:29], off
	v_mul_lo_u32 v30, v3, s22
	v_mul_lo_u32 v31, v2, s23
	v_mad_u64_u32 v[0:1], s[2:3], v2, s22, 0
	v_mul_f64 v[2:3], s[40:41], v[24:25]
	v_mul_f64 v[24:25], s[38:39], v[24:25]
	v_add3_u32 v1, v1, v31, v30
	v_fma_f64 v[2:3], s[38:39], v[22:23], -v[2:3]
	v_fmac_f64_e32 v[24:25], s[40:41], v[22:23]
	v_lshl_add_u64 v[22:23], v[0:1], 4, s[0:1]
	v_lshl_add_u64 v[30:31], v[22:23], 0, v[26:27]
	s_lshl_b64 s[0:1], s[16:17], 8
	v_lshl_add_u64 v[8:9], v[8:9], 0, s[0:1]
	v_lshl_add_u64 v[8:9], v[8:9], 0, v[26:27]
	s_lshl_b64 s[0:1], s[22:23], 8
	s_waitcnt vmcnt(0)
	v_mul_f64 v[0:1], s[12:13], v[6:7]
	v_mul_f64 v[6:7], s[10:11], v[6:7]
	v_fma_f64 v[0:1], s[10:11], v[4:5], -v[0:1]
	v_fmac_f64_e32 v[6:7], s[12:13], v[4:5]
	v_add_f64 v[0:1], v[2:3], v[0:1]
	v_add_f64 v[2:3], v[24:25], v[6:7]
	global_store_dwordx4 v[30:31], v[0:3], off
	global_load_dwordx4 v[0:3], v[28:29], off offset:256
	v_mul_f64 v[4:5], s[40:41], v[16:17]
	v_mul_f64 v[6:7], s[38:39], v[16:17]
	v_fma_f64 v[4:5], s[38:39], v[14:15], -v[4:5]
	v_fmac_f64_e32 v[6:7], s[40:41], v[14:15]
	s_waitcnt vmcnt(0)
	v_mul_f64 v[14:15], s[12:13], v[2:3]
	v_mul_f64 v[2:3], s[10:11], v[2:3]
	v_fma_f64 v[14:15], s[10:11], v[0:1], -v[14:15]
	v_fmac_f64_e32 v[2:3], s[12:13], v[0:1]
	v_add_f64 v[0:1], v[4:5], v[14:15]
	v_add_f64 v[2:3], v[6:7], v[2:3]
	global_store_dwordx4 v[30:31], v[0:3], off offset:256
	global_load_dwordx4 v[0:3], v[8:9], off
	v_mul_f64 v[4:5], s[40:41], v[20:21]
	v_mul_f64 v[6:7], s[38:39], v[20:21]
	v_fma_f64 v[4:5], s[38:39], v[18:19], -v[4:5]
	v_fmac_f64_e32 v[6:7], s[40:41], v[18:19]
	v_lshl_add_u64 v[14:15], v[22:23], 0, s[0:1]
	v_lshl_add_u64 v[14:15], v[14:15], 0, v[26:27]
	s_mov_b64 s[0:1], 0x100
	s_waitcnt vmcnt(0)
	v_mul_f64 v[16:17], s[12:13], v[2:3]
	v_mul_f64 v[2:3], s[10:11], v[2:3]
	v_fma_f64 v[16:17], s[10:11], v[0:1], -v[16:17]
	v_fmac_f64_e32 v[2:3], s[12:13], v[0:1]
	v_add_f64 v[0:1], v[4:5], v[16:17]
	v_add_f64 v[2:3], v[6:7], v[2:3]
	global_store_dwordx4 v[14:15], v[0:3], off
	global_load_dwordx4 v[0:3], v[8:9], off offset:256
	v_mul_f64 v[4:5], s[40:41], v[12:13]
	v_mul_f64 v[6:7], s[38:39], v[12:13]
	v_fma_f64 v[4:5], s[38:39], v[10:11], -v[4:5]
	v_fmac_f64_e32 v[6:7], s[40:41], v[10:11]
	s_waitcnt vmcnt(0)
	v_mul_f64 v[8:9], s[12:13], v[2:3]
	v_mul_f64 v[2:3], s[10:11], v[2:3]
	v_fma_f64 v[8:9], s[10:11], v[0:1], -v[8:9]
	v_fmac_f64_e32 v[2:3], s[12:13], v[0:1]
	v_add_f64 v[0:1], v[4:5], v[8:9]
	v_add_f64 v[4:5], v[6:7], v[2:3]
	v_lshl_add_u64 v[6:7], v[14:15], 0, s[0:1]
	global_store_dwordx2 v[14:15], v[0:1], off offset:256
.LBB135_8:
	global_store_dwordx2 v[6:7], v[4:5], off offset:8
	s_endpgm
	.section	.rodata,"a",@progbits
	.p2align	6, 0x0
	.amdhsa_kernel _ZN12_GLOBAL__N_127rocblas_gemm_batched_kernelI19rocblas_complex_numIdELi16ELi16ELi32ELi32ELi8ELi32ELi8ELi8ELi32ELc84ELc67EKS2_S3_S2_EEvlllT_PT11_llS6_llS4_PT12_llPT13_lli
		.amdhsa_group_segment_fixed_size 8192
		.amdhsa_private_segment_fixed_size 0
		.amdhsa_kernarg_size 156
		.amdhsa_user_sgpr_count 2
		.amdhsa_user_sgpr_dispatch_ptr 0
		.amdhsa_user_sgpr_queue_ptr 0
		.amdhsa_user_sgpr_kernarg_segment_ptr 1
		.amdhsa_user_sgpr_dispatch_id 0
		.amdhsa_user_sgpr_kernarg_preload_length 0
		.amdhsa_user_sgpr_kernarg_preload_offset 0
		.amdhsa_user_sgpr_private_segment_size 0
		.amdhsa_uses_dynamic_stack 0
		.amdhsa_enable_private_segment 0
		.amdhsa_system_sgpr_workgroup_id_x 1
		.amdhsa_system_sgpr_workgroup_id_y 1
		.amdhsa_system_sgpr_workgroup_id_z 1
		.amdhsa_system_sgpr_workgroup_info 0
		.amdhsa_system_vgpr_workitem_id 1
		.amdhsa_next_free_vgpr 56
		.amdhsa_next_free_sgpr 52
		.amdhsa_accum_offset 56
		.amdhsa_reserve_vcc 1
		.amdhsa_float_round_mode_32 0
		.amdhsa_float_round_mode_16_64 0
		.amdhsa_float_denorm_mode_32 3
		.amdhsa_float_denorm_mode_16_64 3
		.amdhsa_dx10_clamp 1
		.amdhsa_ieee_mode 1
		.amdhsa_fp16_overflow 0
		.amdhsa_tg_split 0
		.amdhsa_exception_fp_ieee_invalid_op 0
		.amdhsa_exception_fp_denorm_src 0
		.amdhsa_exception_fp_ieee_div_zero 0
		.amdhsa_exception_fp_ieee_overflow 0
		.amdhsa_exception_fp_ieee_underflow 0
		.amdhsa_exception_fp_ieee_inexact 0
		.amdhsa_exception_int_div_zero 0
	.end_amdhsa_kernel
	.section	.text._ZN12_GLOBAL__N_127rocblas_gemm_batched_kernelI19rocblas_complex_numIdELi16ELi16ELi32ELi32ELi8ELi32ELi8ELi8ELi32ELc84ELc67EKS2_S3_S2_EEvlllT_PT11_llS6_llS4_PT12_llPT13_lli,"axG",@progbits,_ZN12_GLOBAL__N_127rocblas_gemm_batched_kernelI19rocblas_complex_numIdELi16ELi16ELi32ELi32ELi8ELi32ELi8ELi8ELi32ELc84ELc67EKS2_S3_S2_EEvlllT_PT11_llS6_llS4_PT12_llPT13_lli,comdat
.Lfunc_end135:
	.size	_ZN12_GLOBAL__N_127rocblas_gemm_batched_kernelI19rocblas_complex_numIdELi16ELi16ELi32ELi32ELi8ELi32ELi8ELi8ELi32ELc84ELc67EKS2_S3_S2_EEvlllT_PT11_llS6_llS4_PT12_llPT13_lli, .Lfunc_end135-_ZN12_GLOBAL__N_127rocblas_gemm_batched_kernelI19rocblas_complex_numIdELi16ELi16ELi32ELi32ELi8ELi32ELi8ELi8ELi32ELc84ELc67EKS2_S3_S2_EEvlllT_PT11_llS6_llS4_PT12_llPT13_lli
                                        ; -- End function
	.set _ZN12_GLOBAL__N_127rocblas_gemm_batched_kernelI19rocblas_complex_numIdELi16ELi16ELi32ELi32ELi8ELi32ELi8ELi8ELi32ELc84ELc67EKS2_S3_S2_EEvlllT_PT11_llS6_llS4_PT12_llPT13_lli.num_vgpr, 56
	.set _ZN12_GLOBAL__N_127rocblas_gemm_batched_kernelI19rocblas_complex_numIdELi16ELi16ELi32ELi32ELi8ELi32ELi8ELi8ELi32ELc84ELc67EKS2_S3_S2_EEvlllT_PT11_llS6_llS4_PT12_llPT13_lli.num_agpr, 0
	.set _ZN12_GLOBAL__N_127rocblas_gemm_batched_kernelI19rocblas_complex_numIdELi16ELi16ELi32ELi32ELi8ELi32ELi8ELi8ELi32ELc84ELc67EKS2_S3_S2_EEvlllT_PT11_llS6_llS4_PT12_llPT13_lli.numbered_sgpr, 52
	.set _ZN12_GLOBAL__N_127rocblas_gemm_batched_kernelI19rocblas_complex_numIdELi16ELi16ELi32ELi32ELi8ELi32ELi8ELi8ELi32ELc84ELc67EKS2_S3_S2_EEvlllT_PT11_llS6_llS4_PT12_llPT13_lli.num_named_barrier, 0
	.set _ZN12_GLOBAL__N_127rocblas_gemm_batched_kernelI19rocblas_complex_numIdELi16ELi16ELi32ELi32ELi8ELi32ELi8ELi8ELi32ELc84ELc67EKS2_S3_S2_EEvlllT_PT11_llS6_llS4_PT12_llPT13_lli.private_seg_size, 0
	.set _ZN12_GLOBAL__N_127rocblas_gemm_batched_kernelI19rocblas_complex_numIdELi16ELi16ELi32ELi32ELi8ELi32ELi8ELi8ELi32ELc84ELc67EKS2_S3_S2_EEvlllT_PT11_llS6_llS4_PT12_llPT13_lli.uses_vcc, 1
	.set _ZN12_GLOBAL__N_127rocblas_gemm_batched_kernelI19rocblas_complex_numIdELi16ELi16ELi32ELi32ELi8ELi32ELi8ELi8ELi32ELc84ELc67EKS2_S3_S2_EEvlllT_PT11_llS6_llS4_PT12_llPT13_lli.uses_flat_scratch, 0
	.set _ZN12_GLOBAL__N_127rocblas_gemm_batched_kernelI19rocblas_complex_numIdELi16ELi16ELi32ELi32ELi8ELi32ELi8ELi8ELi32ELc84ELc67EKS2_S3_S2_EEvlllT_PT11_llS6_llS4_PT12_llPT13_lli.has_dyn_sized_stack, 0
	.set _ZN12_GLOBAL__N_127rocblas_gemm_batched_kernelI19rocblas_complex_numIdELi16ELi16ELi32ELi32ELi8ELi32ELi8ELi8ELi32ELc84ELc67EKS2_S3_S2_EEvlllT_PT11_llS6_llS4_PT12_llPT13_lli.has_recursion, 0
	.set _ZN12_GLOBAL__N_127rocblas_gemm_batched_kernelI19rocblas_complex_numIdELi16ELi16ELi32ELi32ELi8ELi32ELi8ELi8ELi32ELc84ELc67EKS2_S3_S2_EEvlllT_PT11_llS6_llS4_PT12_llPT13_lli.has_indirect_call, 0
	.section	.AMDGPU.csdata,"",@progbits
; Kernel info:
; codeLenInByte = 3184
; TotalNumSgprs: 58
; NumVgprs: 56
; NumAgprs: 0
; TotalNumVgprs: 56
; ScratchSize: 0
; MemoryBound: 0
; FloatMode: 240
; IeeeMode: 1
; LDSByteSize: 8192 bytes/workgroup (compile time only)
; SGPRBlocks: 7
; VGPRBlocks: 6
; NumSGPRsForWavesPerEU: 58
; NumVGPRsForWavesPerEU: 56
; AccumOffset: 56
; Occupancy: 8
; WaveLimiterHint : 1
; COMPUTE_PGM_RSRC2:SCRATCH_EN: 0
; COMPUTE_PGM_RSRC2:USER_SGPR: 2
; COMPUTE_PGM_RSRC2:TRAP_HANDLER: 0
; COMPUTE_PGM_RSRC2:TGID_X_EN: 1
; COMPUTE_PGM_RSRC2:TGID_Y_EN: 1
; COMPUTE_PGM_RSRC2:TGID_Z_EN: 1
; COMPUTE_PGM_RSRC2:TIDIG_COMP_CNT: 1
; COMPUTE_PGM_RSRC3_GFX90A:ACCUM_OFFSET: 13
; COMPUTE_PGM_RSRC3_GFX90A:TG_SPLIT: 0
	.section	.text._ZN12_GLOBAL__N_135rocblas_gemm_batched_general_kernelI19rocblas_complex_numIdELi16ELi16ELi32ELi32ELi8ELi32ELi8ELi8ELi32ELc78ELc78EKS2_S3_S2_EEvlllT_PT11_llS6_llS4_PT12_llPT13_lli,"axG",@progbits,_ZN12_GLOBAL__N_135rocblas_gemm_batched_general_kernelI19rocblas_complex_numIdELi16ELi16ELi32ELi32ELi8ELi32ELi8ELi8ELi32ELc78ELc78EKS2_S3_S2_EEvlllT_PT11_llS6_llS4_PT12_llPT13_lli,comdat
	.globl	_ZN12_GLOBAL__N_135rocblas_gemm_batched_general_kernelI19rocblas_complex_numIdELi16ELi16ELi32ELi32ELi8ELi32ELi8ELi8ELi32ELc78ELc78EKS2_S3_S2_EEvlllT_PT11_llS6_llS4_PT12_llPT13_lli ; -- Begin function _ZN12_GLOBAL__N_135rocblas_gemm_batched_general_kernelI19rocblas_complex_numIdELi16ELi16ELi32ELi32ELi8ELi32ELi8ELi8ELi32ELc78ELc78EKS2_S3_S2_EEvlllT_PT11_llS6_llS4_PT12_llPT13_lli
	.p2align	8
	.type	_ZN12_GLOBAL__N_135rocblas_gemm_batched_general_kernelI19rocblas_complex_numIdELi16ELi16ELi32ELi32ELi8ELi32ELi8ELi8ELi32ELc78ELc78EKS2_S3_S2_EEvlllT_PT11_llS6_llS4_PT12_llPT13_lli,@function
_ZN12_GLOBAL__N_135rocblas_gemm_batched_general_kernelI19rocblas_complex_numIdELi16ELi16ELi32ELi32ELi8ELi32ELi8ELi8ELi32ELc78ELc78EKS2_S3_S2_EEvlllT_PT11_llS6_llS4_PT12_llPT13_lli: ; @_ZN12_GLOBAL__N_135rocblas_gemm_batched_general_kernelI19rocblas_complex_numIdELi16ELi16ELi32ELi32ELi8ELi32ELi8ELi8ELi32ELc78ELc78EKS2_S3_S2_EEvlllT_PT11_llS6_llS4_PT12_llPT13_lli
; %bb.0:
	s_load_dwordx16 s[36:51], s[0:1], 0x0
	s_load_dwordx16 s[8:23], s[0:1], 0x40
	s_mov_b32 s6, s3
	s_ashr_i32 s7, s6, 31
	v_mov_b32_e32 v1, 0
	s_ashr_i32 s3, s2, 31
	s_lshl_b64 s[26:27], s[6:7], 5
	s_waitcnt lgkmcnt(0)
	v_cmp_lt_i64_e64 s[6:7], s[40:41], 1
	v_and_b32_e32 v2, 0x3ff, v0
	v_bfe_u32 v0, v0, 10, 10
	v_mov_b32_e32 v3, v1
	s_lshl_b64 s[24:25], s[2:3], 5
	s_and_b64 vcc, exec, s[6:7]
	s_cbranch_vccnz .LBB136_11
; %bb.1:
	v_lshl_add_u32 v12, v0, 4, v2
	v_and_b32_e32 v6, 7, v2
	v_lshrrev_b32_e32 v8, 3, v12
	v_mov_b32_e32 v9, v1
	v_lshlrev_b32_e32 v14, 4, v6
	v_lshl_add_u64 v[10:11], v[8:9], 0, s[26:27]
	v_and_b32_e32 v9, 31, v12
	v_lshl_or_b32 v8, v8, 7, v14
	v_lshrrev_b32_e32 v4, 5, v12
	v_or_b32_e32 v12, s24, v9
	v_mov_b32_e32 v13, s25
	v_add_u32_e32 v31, 0x1000, v8
	v_mov_b32_e32 v8, 0x1000
	v_cmp_gt_i64_e32 vcc, s[36:37], v[12:13]
	v_lshlrev_b32_e32 v12, 4, v9
	v_cmp_gt_i64_e64 s[6:7], s[38:39], v[10:11]
	v_lshl_add_u32 v33, v0, 7, v8
	v_mul_lo_u32 v13, s11, v10
	v_mul_lo_u32 v11, s10, v11
	v_mad_u64_u32 v[8:9], s[10:11], s10, v10, 0
	s_mul_i32 s5, s13, s4
	s_mul_hi_u32 s10, s12, s4
	s_add_i32 s11, s10, s5
	s_mul_i32 s10, s12, s4
	v_add3_u32 v9, v9, v11, v13
	s_lshl_b64 s[10:11], s[10:11], 4
	v_lshl_add_u64 v[8:9], v[8:9], 4, s[10:11]
	v_mov_b32_e32 v15, v1
	v_lshl_add_u64 v[8:9], v[8:9], 0, v[14:15]
	v_lshl_add_u64 v[8:9], s[8:9], 0, v[8:9]
	v_mad_u64_u32 v[10:11], s[8:9], s48, v4, 0
	v_mov_b32_e32 v14, v11
	v_mad_u64_u32 v[14:15], s[8:9], s49, v4, v[14:15]
	s_mul_i32 s5, s51, s4
	s_mul_hi_u32 s8, s50, s4
	s_add_i32 s9, s8, s5
	s_mul_i32 s8, s50, s4
	s_lshl_b64 s[8:9], s[8:9], 4
	s_lshl_b64 s[2:3], s[2:3], 9
	s_add_u32 s2, s2, s8
	v_mov_b32_e32 v11, v14
	s_addc_u32 s3, s3, s9
	v_lshl_add_u64 v[10:11], v[10:11], 4, s[2:3]
	v_mov_b32_e32 v13, v1
	v_lshl_add_u64 v[10:11], v[10:11], 0, v[12:13]
	v_mov_b32_e32 v5, v1
	v_mov_b32_e32 v7, v1
	v_lshl_or_b32 v30, v4, 9, v12
	v_lshlrev_b32_e32 v32, 4, v2
	v_lshl_add_u64 v[10:11], s[46:47], 0, v[10:11]
	s_lshl_b64 s[2:3], s[48:49], 7
	s_mov_b64 s[8:9], 0
	v_mov_b64_e32 v[14:15], 0
	s_xor_b64 s[10:11], vcc, -1
	s_xor_b64 s[6:7], s[6:7], -1
	s_mov_b64 s[12:13], 0x80
	v_mov_b64_e32 v[12:13], s[40:41]
	v_mov_b32_e32 v34, v1
	v_mov_b32_e32 v35, v1
	;; [unrolled: 1-line block ×4, first 2 shown]
	v_mov_b64_e32 v[16:17], 0
	v_mov_b64_e32 v[20:21], 0
	;; [unrolled: 1-line block ×7, first 2 shown]
	s_branch .LBB136_3
.LBB136_2:                              ;   in Loop: Header=BB136_3 Depth=1
	s_or_b64 exec, exec, s[28:29]
	s_waitcnt lgkmcnt(0)
	s_barrier
	ds_read_b128 v[38:41], v32
	ds_read_b128 v[42:45], v33
	ds_read_b128 v[46:49], v33 offset:16
	ds_read_b128 v[50:53], v33 offset:32
	;; [unrolled: 1-line block ×4, first 2 shown]
	s_waitcnt lgkmcnt(4)
	v_mul_f64 v[62:63], v[44:45], v[40:41]
	v_fma_f64 v[62:63], v[42:43], v[38:39], -v[62:63]
	v_mul_f64 v[64:65], v[42:43], v[40:41]
	v_fmac_f64_e32 v[64:65], v[44:45], v[38:39]
	v_add_f64 v[62:63], v[26:27], v[62:63]
	s_waitcnt lgkmcnt(0)
	v_mul_f64 v[26:27], v[44:45], v[60:61]
	v_add_f64 v[64:65], v[64:65], v[28:29]
	v_fma_f64 v[66:67], v[42:43], v[58:59], -v[26:27]
	ds_read_b128 v[26:29], v33 offset:2048
	v_mul_f64 v[42:43], v[42:43], v[60:61]
	v_fmac_f64_e32 v[42:43], v[44:45], v[58:59]
	v_add_f64 v[44:45], v[22:23], v[66:67]
	v_add_f64 v[42:43], v[42:43], v[24:25]
	ds_read_b128 v[22:25], v33 offset:2064
	s_waitcnt lgkmcnt(1)
	v_mul_f64 v[66:67], v[28:29], v[40:41]
	v_fma_f64 v[66:67], v[26:27], v[38:39], -v[66:67]
	v_mul_f64 v[40:41], v[26:27], v[40:41]
	v_fmac_f64_e32 v[40:41], v[28:29], v[38:39]
	v_add_f64 v[38:39], v[18:19], v[66:67]
	v_mul_f64 v[18:19], v[28:29], v[60:61]
	v_add_f64 v[40:41], v[40:41], v[20:21]
	v_fma_f64 v[66:67], v[26:27], v[58:59], -v[18:19]
	v_mul_f64 v[26:27], v[26:27], v[60:61]
	ds_read_b128 v[18:21], v32 offset:512
	v_fmac_f64_e32 v[26:27], v[28:29], v[58:59]
	v_add_f64 v[28:29], v[16:17], v[66:67]
	v_add_f64 v[26:27], v[26:27], v[14:15]
	ds_read_b128 v[14:17], v32 offset:768
	s_waitcnt lgkmcnt(1)
	v_mul_f64 v[58:59], v[48:49], v[20:21]
	v_fma_f64 v[58:59], v[46:47], v[18:19], -v[58:59]
	v_add_f64 v[58:59], v[62:63], v[58:59]
	v_mul_f64 v[60:61], v[46:47], v[20:21]
	s_waitcnt lgkmcnt(0)
	v_mul_f64 v[62:63], v[48:49], v[16:17]
	v_fma_f64 v[62:63], v[46:47], v[14:15], -v[62:63]
	v_mul_f64 v[46:47], v[46:47], v[16:17]
	v_fmac_f64_e32 v[46:47], v[48:49], v[14:15]
	v_add_f64 v[42:43], v[46:47], v[42:43]
	v_mul_f64 v[46:47], v[24:25], v[20:21]
	v_mul_f64 v[20:21], v[22:23], v[20:21]
	v_fmac_f64_e32 v[60:61], v[48:49], v[18:19]
	v_fma_f64 v[46:47], v[22:23], v[18:19], -v[46:47]
	v_fmac_f64_e32 v[20:21], v[24:25], v[18:19]
	v_mul_f64 v[18:19], v[24:25], v[16:17]
	v_add_f64 v[48:49], v[20:21], v[40:41]
	v_fma_f64 v[20:21], v[22:23], v[14:15], -v[18:19]
	v_mul_f64 v[22:23], v[22:23], v[16:17]
	ds_read_b128 v[16:19], v32 offset:1024
	v_fmac_f64_e32 v[22:23], v[24:25], v[14:15]
	v_add_f64 v[44:45], v[44:45], v[62:63]
	v_add_f64 v[28:29], v[28:29], v[20:21]
	;; [unrolled: 1-line block ×3, first 2 shown]
	ds_read_b128 v[20:23], v32 offset:1280
	s_waitcnt lgkmcnt(1)
	v_mul_f64 v[24:25], v[50:51], v[18:19]
	v_add_f64 v[60:61], v[60:61], v[64:65]
	v_fmac_f64_e32 v[24:25], v[52:53], v[16:17]
	v_add_f64 v[60:61], v[24:25], v[60:61]
	ds_read_b128 v[24:27], v33 offset:2080
	v_mul_f64 v[14:15], v[52:53], v[18:19]
	v_fma_f64 v[14:15], v[50:51], v[16:17], -v[14:15]
	v_add_f64 v[46:47], v[38:39], v[46:47]
	v_add_f64 v[58:59], v[58:59], v[14:15]
	s_waitcnt lgkmcnt(1)
	v_mul_f64 v[14:15], v[52:53], v[22:23]
	v_mul_f64 v[38:39], v[50:51], v[22:23]
	v_fma_f64 v[14:15], v[50:51], v[20:21], -v[14:15]
	v_fmac_f64_e32 v[38:39], v[52:53], v[20:21]
	v_add_f64 v[44:45], v[44:45], v[14:15]
	v_add_f64 v[42:43], v[38:39], v[42:43]
	ds_read_b128 v[38:41], v33 offset:2096
	s_waitcnt lgkmcnt(1)
	v_mul_f64 v[14:15], v[26:27], v[18:19]
	v_fma_f64 v[14:15], v[24:25], v[16:17], -v[14:15]
	v_mul_f64 v[18:19], v[24:25], v[18:19]
	v_fmac_f64_e32 v[18:19], v[26:27], v[16:17]
	v_add_f64 v[46:47], v[46:47], v[14:15]
	v_mul_f64 v[14:15], v[26:27], v[22:23]
	v_add_f64 v[48:49], v[18:19], v[48:49]
	v_fma_f64 v[18:19], v[24:25], v[20:21], -v[14:15]
	ds_read_b128 v[14:17], v32 offset:1536
	v_mul_f64 v[22:23], v[24:25], v[22:23]
	v_fmac_f64_e32 v[22:23], v[26:27], v[20:21]
	v_add_f64 v[24:25], v[28:29], v[18:19]
	ds_read_b128 v[18:21], v32 offset:1792
	s_waitcnt lgkmcnt(1)
	v_mul_f64 v[26:27], v[56:57], v[16:17]
	v_fma_f64 v[26:27], v[54:55], v[14:15], -v[26:27]
	v_mul_f64 v[28:29], v[54:55], v[16:17]
	v_fmac_f64_e32 v[28:29], v[56:57], v[14:15]
	v_add_f64 v[50:51], v[58:59], v[26:27]
	s_waitcnt lgkmcnt(0)
	v_mul_f64 v[26:27], v[56:57], v[20:21]
	v_add_f64 v[52:53], v[28:29], v[60:61]
	v_fma_f64 v[26:27], v[54:55], v[18:19], -v[26:27]
	v_mul_f64 v[28:29], v[54:55], v[20:21]
	v_fmac_f64_e32 v[28:29], v[56:57], v[18:19]
	v_add_f64 v[44:45], v[44:45], v[26:27]
	v_mul_f64 v[26:27], v[40:41], v[16:17]
	v_mul_f64 v[16:17], v[38:39], v[16:17]
	v_add_f64 v[42:43], v[28:29], v[42:43]
	v_fma_f64 v[26:27], v[38:39], v[14:15], -v[26:27]
	v_fmac_f64_e32 v[16:17], v[40:41], v[14:15]
	v_mul_f64 v[14:15], v[40:41], v[20:21]
	v_mul_f64 v[28:29], v[38:39], v[20:21]
	v_add_f64 v[46:47], v[46:47], v[26:27]
	v_add_f64 v[48:49], v[16:17], v[48:49]
	v_fma_f64 v[26:27], v[38:39], v[18:19], -v[14:15]
	v_fmac_f64_e32 v[28:29], v[40:41], v[18:19]
	ds_read_b128 v[14:17], v33 offset:64
	ds_read_b128 v[18:21], v32 offset:2048
	v_add_f64 v[22:23], v[22:23], v[62:63]
	v_add_f64 v[54:55], v[24:25], v[26:27]
	;; [unrolled: 1-line block ×3, first 2 shown]
	ds_read_b128 v[22:25], v32 offset:2304
	ds_read_b128 v[26:29], v33 offset:80
	s_waitcnt lgkmcnt(2)
	v_mul_f64 v[38:39], v[16:17], v[20:21]
	v_fma_f64 v[38:39], v[14:15], v[18:19], -v[38:39]
	v_mul_f64 v[40:41], v[14:15], v[20:21]
	v_fmac_f64_e32 v[40:41], v[16:17], v[18:19]
	v_add_f64 v[50:51], v[50:51], v[38:39]
	s_waitcnt lgkmcnt(1)
	v_mul_f64 v[38:39], v[16:17], v[24:25]
	v_add_f64 v[52:53], v[40:41], v[52:53]
	v_fma_f64 v[58:59], v[14:15], v[22:23], -v[38:39]
	ds_read_b128 v[38:41], v33 offset:2112
	v_mul_f64 v[14:15], v[14:15], v[24:25]
	v_fmac_f64_e32 v[14:15], v[16:17], v[22:23]
	v_add_f64 v[44:45], v[44:45], v[58:59]
	v_add_f64 v[42:43], v[14:15], v[42:43]
	ds_read_b128 v[14:17], v33 offset:2128
	s_waitcnt lgkmcnt(1)
	v_mul_f64 v[58:59], v[40:41], v[20:21]
	v_mul_f64 v[20:21], v[38:39], v[20:21]
	v_fma_f64 v[58:59], v[38:39], v[18:19], -v[58:59]
	v_fmac_f64_e32 v[20:21], v[40:41], v[18:19]
	v_mul_f64 v[18:19], v[40:41], v[24:25]
	v_add_f64 v[46:47], v[46:47], v[58:59]
	v_add_f64 v[48:49], v[20:21], v[48:49]
	v_fma_f64 v[58:59], v[38:39], v[22:23], -v[18:19]
	v_mul_f64 v[24:25], v[38:39], v[24:25]
	ds_read_b128 v[18:21], v32 offset:2560
	v_fmac_f64_e32 v[24:25], v[40:41], v[22:23]
	v_add_f64 v[40:41], v[24:25], v[56:57]
	ds_read_b128 v[22:25], v32 offset:2816
	v_add_f64 v[38:39], v[54:55], v[58:59]
	s_waitcnt lgkmcnt(1)
	v_mul_f64 v[54:55], v[28:29], v[20:21]
	v_fma_f64 v[54:55], v[26:27], v[18:19], -v[54:55]
	v_add_f64 v[50:51], v[50:51], v[54:55]
	s_waitcnt lgkmcnt(0)
	v_mul_f64 v[54:55], v[28:29], v[24:25]
	v_mul_f64 v[56:57], v[26:27], v[20:21]
	v_fma_f64 v[54:55], v[26:27], v[22:23], -v[54:55]
	v_mul_f64 v[26:27], v[26:27], v[24:25]
	v_fmac_f64_e32 v[26:27], v[28:29], v[22:23]
	v_add_f64 v[42:43], v[26:27], v[42:43]
	v_mul_f64 v[26:27], v[16:17], v[20:21]
	v_mul_f64 v[20:21], v[14:15], v[20:21]
	v_fmac_f64_e32 v[56:57], v[28:29], v[18:19]
	v_fma_f64 v[26:27], v[14:15], v[18:19], -v[26:27]
	v_fmac_f64_e32 v[20:21], v[16:17], v[18:19]
	v_mul_f64 v[18:19], v[16:17], v[24:25]
	v_mul_f64 v[24:25], v[14:15], v[24:25]
	v_add_f64 v[46:47], v[46:47], v[26:27]
	v_add_f64 v[48:49], v[20:21], v[48:49]
	v_fma_f64 v[26:27], v[14:15], v[22:23], -v[18:19]
	v_fmac_f64_e32 v[24:25], v[16:17], v[22:23]
	ds_read_b128 v[14:17], v33 offset:96
	ds_read_b128 v[18:21], v32 offset:3072
	v_add_f64 v[52:53], v[56:57], v[52:53]
	v_add_f64 v[44:45], v[44:45], v[54:55]
	;; [unrolled: 1-line block ×4, first 2 shown]
	ds_read_b128 v[22:25], v32 offset:3328
	ds_read_b128 v[38:41], v33 offset:112
	s_waitcnt lgkmcnt(2)
	v_mul_f64 v[26:27], v[16:17], v[20:21]
	v_fma_f64 v[26:27], v[14:15], v[18:19], -v[26:27]
	v_mul_f64 v[28:29], v[14:15], v[20:21]
	v_fmac_f64_e32 v[28:29], v[16:17], v[18:19]
	v_add_f64 v[50:51], v[50:51], v[26:27]
	s_waitcnt lgkmcnt(1)
	v_mul_f64 v[26:27], v[16:17], v[24:25]
	v_add_f64 v[52:53], v[28:29], v[52:53]
	v_fma_f64 v[58:59], v[14:15], v[22:23], -v[26:27]
	ds_read_b128 v[26:29], v33 offset:2144
	v_mul_f64 v[14:15], v[14:15], v[24:25]
	v_fmac_f64_e32 v[14:15], v[16:17], v[22:23]
	v_add_f64 v[60:61], v[14:15], v[42:43]
	ds_read_b128 v[14:17], v33 offset:2160
	s_waitcnt lgkmcnt(1)
	v_mul_f64 v[42:43], v[28:29], v[20:21]
	v_mul_f64 v[20:21], v[26:27], v[20:21]
	v_fma_f64 v[42:43], v[26:27], v[18:19], -v[42:43]
	v_fmac_f64_e32 v[20:21], v[28:29], v[18:19]
	v_mul_f64 v[18:19], v[28:29], v[24:25]
	v_add_f64 v[46:47], v[46:47], v[42:43]
	v_add_f64 v[48:49], v[20:21], v[48:49]
	v_fma_f64 v[42:43], v[26:27], v[22:23], -v[18:19]
	ds_read_b128 v[18:21], v32 offset:3584
	v_add_f64 v[58:59], v[44:45], v[58:59]
	v_add_f64 v[54:55], v[54:55], v[42:43]
	ds_read_b128 v[42:45], v32 offset:3840
	v_mul_f64 v[24:25], v[26:27], v[24:25]
	v_fmac_f64_e32 v[24:25], v[28:29], v[22:23]
	s_waitcnt lgkmcnt(1)
	v_mul_f64 v[22:23], v[40:41], v[20:21]
	v_add_f64 v[56:57], v[24:25], v[56:57]
	v_fma_f64 v[22:23], v[38:39], v[18:19], -v[22:23]
	v_mul_f64 v[24:25], v[38:39], v[20:21]
	v_fmac_f64_e32 v[24:25], v[40:41], v[18:19]
	v_add_f64 v[26:27], v[50:51], v[22:23]
	s_waitcnt lgkmcnt(0)
	v_mul_f64 v[22:23], v[40:41], v[44:45]
	v_add_f64 v[28:29], v[24:25], v[52:53]
	v_fma_f64 v[22:23], v[38:39], v[42:43], -v[22:23]
	v_mul_f64 v[24:25], v[38:39], v[44:45]
	v_mul_f64 v[38:39], v[16:17], v[20:21]
	v_fma_f64 v[38:39], v[14:15], v[18:19], -v[38:39]
	v_mul_f64 v[20:21], v[14:15], v[20:21]
	v_fmac_f64_e32 v[20:21], v[16:17], v[18:19]
	v_add_f64 v[18:19], v[46:47], v[38:39]
	v_mul_f64 v[38:39], v[16:17], v[44:45]
	s_add_u32 s8, s8, 8
	v_fma_f64 v[38:39], v[14:15], v[42:43], -v[38:39]
	v_mul_f64 v[14:15], v[14:15], v[44:45]
	s_addc_u32 s9, s9, 0
	v_fmac_f64_e32 v[24:25], v[40:41], v[42:43]
	v_fmac_f64_e32 v[14:15], v[16:17], v[42:43]
	v_cmp_lt_i64_e32 vcc, s[8:9], v[12:13]
	v_add_f64 v[22:23], v[58:59], v[22:23]
	v_add_f64 v[24:25], v[24:25], v[60:61]
	;; [unrolled: 1-line block ×5, first 2 shown]
	v_lshl_add_u64 v[8:9], v[8:9], 0, s[12:13]
	v_lshl_add_u64 v[10:11], v[10:11], 0, s[2:3]
	s_barrier
	s_cbranch_vccz .LBB136_12
.LBB136_3:                              ; =>This Inner Loop Header: Depth=1
	v_lshl_add_u64 v[38:39], v[4:5], 0, s[8:9]
	v_cmp_le_i64_e32 vcc, s[40:41], v[38:39]
	s_or_b64 s[28:29], s[10:11], vcc
	s_and_saveexec_b64 s[30:31], s[28:29]
	s_xor_b64 s[28:29], exec, s[30:31]
; %bb.4:                                ;   in Loop: Header=BB136_3 Depth=1
	ds_write_b128 v30, v[34:37]
; %bb.5:                                ;   in Loop: Header=BB136_3 Depth=1
	s_andn2_saveexec_b64 s[28:29], s[28:29]
	s_cbranch_execz .LBB136_7
; %bb.6:                                ;   in Loop: Header=BB136_3 Depth=1
	global_load_dwordx4 v[38:41], v[10:11], off
	s_waitcnt vmcnt(0)
	ds_write2_b64 v30, v[38:39], v[40:41] offset1:1
.LBB136_7:                              ;   in Loop: Header=BB136_3 Depth=1
	s_or_b64 exec, exec, s[28:29]
	v_lshl_add_u64 v[38:39], v[6:7], 0, s[8:9]
	v_cmp_le_i64_e32 vcc, s[40:41], v[38:39]
	s_or_b64 s[28:29], vcc, s[6:7]
	s_and_saveexec_b64 s[30:31], s[28:29]
	s_xor_b64 s[28:29], exec, s[30:31]
; %bb.8:                                ;   in Loop: Header=BB136_3 Depth=1
	ds_write_b128 v31, v[34:37]
; %bb.9:                                ;   in Loop: Header=BB136_3 Depth=1
	s_andn2_saveexec_b64 s[28:29], s[28:29]
	s_cbranch_execz .LBB136_2
; %bb.10:                               ;   in Loop: Header=BB136_3 Depth=1
	global_load_dwordx4 v[38:41], v[8:9], off
	s_waitcnt vmcnt(0)
	ds_write2_b64 v31, v[38:39], v[40:41] offset1:1
	s_branch .LBB136_2
.LBB136_11:
	v_mov_b64_e32 v[26:27], 0
	v_mov_b64_e32 v[28:29], 0
	;; [unrolled: 1-line block ×8, first 2 shown]
.LBB136_12:
	s_load_dwordx2 s[2:3], s[0:1], 0x90
	s_load_dwordx4 s[8:11], s[0:1], 0x80
	v_lshl_add_u64 v[0:1], s[26:27], 0, v[0:1]
	s_waitcnt lgkmcnt(0)
	s_mul_i32 s1, s3, s4
	s_mul_hi_u32 s3, s2, s4
	s_mul_i32 s0, s2, s4
	s_add_i32 s1, s3, s1
	s_lshl_b64 s[0:1], s[0:1], 4
	s_add_u32 s8, s8, s0
	s_addc_u32 s9, s9, s1
	v_cmp_neq_f64_e64 s[0:1], s[14:15], 0
	v_cmp_neq_f64_e64 s[2:3], s[16:17], 0
	s_or_b64 s[6:7], s[0:1], s[2:3]
	v_cmp_gt_i64_e64 s[0:1], s[38:39], v[0:1]
	s_mov_b64 s[2:3], -1
	s_and_b64 vcc, exec, s[6:7]
	s_cbranch_vccnz .LBB136_24
; %bb.13:
	s_and_saveexec_b64 s[12:13], s[0:1]
	s_cbranch_execz .LBB136_23
; %bb.14:
	v_mul_lo_u32 v8, v1, s10
	v_mul_lo_u32 v9, v0, s11
	v_mad_u64_u32 v[6:7], s[2:3], v0, s10, 0
	v_add3_u32 v7, v7, v9, v8
	v_lshl_add_u64 v[4:5], s[24:25], 0, v[2:3]
	v_lshl_add_u64 v[6:7], v[6:7], 4, s[8:9]
	v_cmp_gt_i64_e32 vcc, s[36:37], v[4:5]
	v_lshl_add_u64 v[8:9], v[4:5], 4, v[6:7]
	s_and_saveexec_b64 s[2:3], vcc
	s_cbranch_execz .LBB136_16
; %bb.15:
	v_mul_f64 v[10:11], s[44:45], v[28:29]
	v_mul_f64 v[12:13], s[42:43], v[28:29]
	v_fma_f64 v[10:11], s[42:43], v[26:27], -v[10:11]
	v_fmac_f64_e32 v[12:13], s[44:45], v[26:27]
	global_store_dwordx4 v[8:9], v[10:13], off
.LBB136_16:
	s_or_b64 exec, exec, s[2:3]
	s_nop 0
	v_lshl_add_u64 v[10:11], v[4:5], 0, 16
	v_cmp_gt_i64_e64 s[2:3], s[36:37], v[10:11]
	s_and_saveexec_b64 s[6:7], s[2:3]
	s_cbranch_execz .LBB136_18
; %bb.17:
	v_mul_f64 v[10:11], s[44:45], v[24:25]
	v_mul_f64 v[12:13], s[42:43], v[24:25]
	v_fma_f64 v[10:11], s[42:43], v[22:23], -v[10:11]
	v_fmac_f64_e32 v[12:13], s[44:45], v[22:23]
	global_store_dwordx4 v[8:9], v[10:13], off offset:256
.LBB136_18:
	s_or_b64 exec, exec, s[6:7]
	v_lshl_add_u64 v[8:9], v[0:1], 0, 16
	v_cmp_gt_i64_e64 s[6:7], s[38:39], v[8:9]
	s_and_b64 exec, exec, s[6:7]
	s_cbranch_execz .LBB136_23
; %bb.19:
	s_lshl_b64 s[6:7], s[10:11], 8
	v_lshl_add_u64 v[6:7], v[6:7], 0, s[6:7]
	v_lshl_add_u64 v[4:5], v[4:5], 4, v[6:7]
	s_and_saveexec_b64 s[6:7], vcc
	s_cbranch_execz .LBB136_21
; %bb.20:
	v_mul_f64 v[6:7], s[44:45], v[20:21]
	v_mul_f64 v[8:9], s[42:43], v[20:21]
	v_fma_f64 v[6:7], s[42:43], v[18:19], -v[6:7]
	v_fmac_f64_e32 v[8:9], s[44:45], v[18:19]
	global_store_dwordx4 v[4:5], v[6:9], off
.LBB136_21:
	s_or_b64 exec, exec, s[6:7]
	s_and_b64 exec, exec, s[2:3]
	s_cbranch_execz .LBB136_23
; %bb.22:
	v_mul_f64 v[6:7], s[44:45], v[14:15]
	v_mul_f64 v[8:9], s[42:43], v[14:15]
	v_fma_f64 v[6:7], s[42:43], v[16:17], -v[6:7]
	v_fmac_f64_e32 v[8:9], s[44:45], v[16:17]
	global_store_dwordx4 v[4:5], v[6:9], off offset:256
.LBB136_23:
	s_or_b64 exec, exec, s[12:13]
	s_mov_b64 s[2:3], 0
.LBB136_24:
	s_andn2_b64 vcc, exec, s[2:3]
	s_cbranch_vccnz .LBB136_35
; %bb.25:
	s_and_saveexec_b64 s[2:3], s[0:1]
	s_cbranch_execz .LBB136_35
; %bb.26:
	s_mul_i32 s0, s23, s4
	s_mul_hi_u32 s1, s22, s4
	s_add_i32 s1, s1, s0
	s_mul_i32 s0, s22, s4
	s_lshl_b64 s[0:1], s[0:1], 4
	v_lshl_add_u64 v[8:9], s[24:25], 0, v[2:3]
	v_mul_lo_u32 v4, v1, s20
	v_mul_lo_u32 v5, v0, s21
	v_mad_u64_u32 v[2:3], s[2:3], v0, s20, 0
	s_add_u32 s0, s18, s0
	v_add3_u32 v3, v3, v5, v4
	v_mul_lo_u32 v6, v1, s10
	v_mul_lo_u32 v7, v0, s11
	v_mad_u64_u32 v[4:5], s[2:3], v0, s10, 0
	s_addc_u32 s1, s19, s1
	v_add3_u32 v5, v5, v7, v6
	v_cmp_gt_i64_e32 vcc, s[36:37], v[8:9]
	v_lshl_add_u64 v[6:7], v[2:3], 4, s[0:1]
	v_lshl_add_u64 v[4:5], v[4:5], 4, s[8:9]
	v_lshlrev_b64 v[2:3], 4, v[8:9]
	s_and_saveexec_b64 s[0:1], vcc
	s_cbranch_execz .LBB136_28
; %bb.27:
	v_lshl_add_u64 v[10:11], v[6:7], 0, v[2:3]
	global_load_dwordx4 v[10:13], v[10:11], off
	v_mul_f64 v[30:31], s[44:45], v[28:29]
	v_mul_f64 v[28:29], s[42:43], v[28:29]
	v_fma_f64 v[30:31], s[42:43], v[26:27], -v[30:31]
	v_fmac_f64_e32 v[28:29], s[44:45], v[26:27]
	s_waitcnt vmcnt(0)
	v_mul_f64 v[26:27], s[16:17], v[12:13]
	v_mul_f64 v[12:13], s[14:15], v[12:13]
	v_fma_f64 v[26:27], s[14:15], v[10:11], -v[26:27]
	v_fmac_f64_e32 v[12:13], s[16:17], v[10:11]
	v_add_f64 v[10:11], v[30:31], v[26:27]
	v_add_f64 v[12:13], v[28:29], v[12:13]
	v_lshl_add_u64 v[26:27], v[4:5], 0, v[2:3]
	global_store_dwordx4 v[26:27], v[10:13], off
.LBB136_28:
	s_or_b64 exec, exec, s[0:1]
	v_lshl_add_u64 v[8:9], v[8:9], 0, 16
	v_cmp_gt_i64_e64 s[0:1], s[36:37], v[8:9]
	s_and_saveexec_b64 s[2:3], s[0:1]
	s_cbranch_execz .LBB136_30
; %bb.29:
	v_lshl_add_u64 v[8:9], v[6:7], 0, v[2:3]
	global_load_dwordx4 v[8:11], v[8:9], off offset:256
	v_mul_f64 v[12:13], s[44:45], v[24:25]
	v_mul_f64 v[24:25], s[42:43], v[24:25]
	v_fma_f64 v[12:13], s[42:43], v[22:23], -v[12:13]
	v_fmac_f64_e32 v[24:25], s[44:45], v[22:23]
	s_waitcnt vmcnt(0)
	v_mul_f64 v[22:23], s[16:17], v[10:11]
	v_mul_f64 v[10:11], s[14:15], v[10:11]
	v_fma_f64 v[22:23], s[14:15], v[8:9], -v[22:23]
	v_fmac_f64_e32 v[10:11], s[16:17], v[8:9]
	v_add_f64 v[8:9], v[12:13], v[22:23]
	v_add_f64 v[10:11], v[24:25], v[10:11]
	v_lshl_add_u64 v[12:13], v[4:5], 0, v[2:3]
	global_store_dwordx4 v[12:13], v[8:11], off offset:256
.LBB136_30:
	s_or_b64 exec, exec, s[2:3]
	v_lshl_add_u64 v[0:1], v[0:1], 0, 16
	v_cmp_gt_i64_e64 s[2:3], s[38:39], v[0:1]
	s_and_b64 exec, exec, s[2:3]
	s_cbranch_execz .LBB136_35
; %bb.31:
	s_lshl_b64 s[2:3], s[20:21], 8
	v_lshl_add_u64 v[0:1], v[6:7], 0, s[2:3]
	s_lshl_b64 s[2:3], s[10:11], 8
	v_lshl_add_u64 v[6:7], v[4:5], 0, s[2:3]
	v_lshl_add_u64 v[4:5], v[0:1], 0, v[2:3]
	;; [unrolled: 1-line block ×3, first 2 shown]
	s_and_saveexec_b64 s[2:3], vcc
	s_cbranch_execz .LBB136_33
; %bb.32:
	global_load_dwordx4 v[6:9], v[4:5], off
	v_mul_f64 v[2:3], s[44:45], v[20:21]
	v_mul_f64 v[10:11], s[42:43], v[20:21]
	v_fma_f64 v[2:3], s[42:43], v[18:19], -v[2:3]
	v_fmac_f64_e32 v[10:11], s[44:45], v[18:19]
	s_waitcnt vmcnt(0)
	v_mul_f64 v[12:13], s[16:17], v[8:9]
	v_mul_f64 v[8:9], s[14:15], v[8:9]
	v_fma_f64 v[12:13], s[14:15], v[6:7], -v[12:13]
	v_fmac_f64_e32 v[8:9], s[16:17], v[6:7]
	v_add_f64 v[6:7], v[2:3], v[12:13]
	v_add_f64 v[8:9], v[10:11], v[8:9]
	global_store_dwordx4 v[0:1], v[6:9], off
.LBB136_33:
	s_or_b64 exec, exec, s[2:3]
	s_and_b64 exec, exec, s[0:1]
	s_cbranch_execz .LBB136_35
; %bb.34:
	global_load_dwordx4 v[2:5], v[4:5], off offset:256
	v_mul_f64 v[6:7], s[44:45], v[14:15]
	v_mul_f64 v[8:9], s[42:43], v[14:15]
	v_fma_f64 v[6:7], s[42:43], v[16:17], -v[6:7]
	v_fmac_f64_e32 v[8:9], s[44:45], v[16:17]
	s_waitcnt vmcnt(0)
	v_mul_f64 v[10:11], s[16:17], v[4:5]
	v_mul_f64 v[4:5], s[14:15], v[4:5]
	v_fma_f64 v[10:11], s[14:15], v[2:3], -v[10:11]
	v_fmac_f64_e32 v[4:5], s[16:17], v[2:3]
	v_add_f64 v[2:3], v[6:7], v[10:11]
	v_add_f64 v[4:5], v[8:9], v[4:5]
	global_store_dwordx4 v[0:1], v[2:5], off offset:256
.LBB136_35:
	s_endpgm
	.section	.rodata,"a",@progbits
	.p2align	6, 0x0
	.amdhsa_kernel _ZN12_GLOBAL__N_135rocblas_gemm_batched_general_kernelI19rocblas_complex_numIdELi16ELi16ELi32ELi32ELi8ELi32ELi8ELi8ELi32ELc78ELc78EKS2_S3_S2_EEvlllT_PT11_llS6_llS4_PT12_llPT13_lli
		.amdhsa_group_segment_fixed_size 8192
		.amdhsa_private_segment_fixed_size 0
		.amdhsa_kernarg_size 156
		.amdhsa_user_sgpr_count 2
		.amdhsa_user_sgpr_dispatch_ptr 0
		.amdhsa_user_sgpr_queue_ptr 0
		.amdhsa_user_sgpr_kernarg_segment_ptr 1
		.amdhsa_user_sgpr_dispatch_id 0
		.amdhsa_user_sgpr_kernarg_preload_length 0
		.amdhsa_user_sgpr_kernarg_preload_offset 0
		.amdhsa_user_sgpr_private_segment_size 0
		.amdhsa_uses_dynamic_stack 0
		.amdhsa_enable_private_segment 0
		.amdhsa_system_sgpr_workgroup_id_x 1
		.amdhsa_system_sgpr_workgroup_id_y 1
		.amdhsa_system_sgpr_workgroup_id_z 1
		.amdhsa_system_sgpr_workgroup_info 0
		.amdhsa_system_vgpr_workitem_id 1
		.amdhsa_next_free_vgpr 68
		.amdhsa_next_free_sgpr 52
		.amdhsa_accum_offset 68
		.amdhsa_reserve_vcc 1
		.amdhsa_float_round_mode_32 0
		.amdhsa_float_round_mode_16_64 0
		.amdhsa_float_denorm_mode_32 3
		.amdhsa_float_denorm_mode_16_64 3
		.amdhsa_dx10_clamp 1
		.amdhsa_ieee_mode 1
		.amdhsa_fp16_overflow 0
		.amdhsa_tg_split 0
		.amdhsa_exception_fp_ieee_invalid_op 0
		.amdhsa_exception_fp_denorm_src 0
		.amdhsa_exception_fp_ieee_div_zero 0
		.amdhsa_exception_fp_ieee_overflow 0
		.amdhsa_exception_fp_ieee_underflow 0
		.amdhsa_exception_fp_ieee_inexact 0
		.amdhsa_exception_int_div_zero 0
	.end_amdhsa_kernel
	.section	.text._ZN12_GLOBAL__N_135rocblas_gemm_batched_general_kernelI19rocblas_complex_numIdELi16ELi16ELi32ELi32ELi8ELi32ELi8ELi8ELi32ELc78ELc78EKS2_S3_S2_EEvlllT_PT11_llS6_llS4_PT12_llPT13_lli,"axG",@progbits,_ZN12_GLOBAL__N_135rocblas_gemm_batched_general_kernelI19rocblas_complex_numIdELi16ELi16ELi32ELi32ELi8ELi32ELi8ELi8ELi32ELc78ELc78EKS2_S3_S2_EEvlllT_PT11_llS6_llS4_PT12_llPT13_lli,comdat
.Lfunc_end136:
	.size	_ZN12_GLOBAL__N_135rocblas_gemm_batched_general_kernelI19rocblas_complex_numIdELi16ELi16ELi32ELi32ELi8ELi32ELi8ELi8ELi32ELc78ELc78EKS2_S3_S2_EEvlllT_PT11_llS6_llS4_PT12_llPT13_lli, .Lfunc_end136-_ZN12_GLOBAL__N_135rocblas_gemm_batched_general_kernelI19rocblas_complex_numIdELi16ELi16ELi32ELi32ELi8ELi32ELi8ELi8ELi32ELc78ELc78EKS2_S3_S2_EEvlllT_PT11_llS6_llS4_PT12_llPT13_lli
                                        ; -- End function
	.set _ZN12_GLOBAL__N_135rocblas_gemm_batched_general_kernelI19rocblas_complex_numIdELi16ELi16ELi32ELi32ELi8ELi32ELi8ELi8ELi32ELc78ELc78EKS2_S3_S2_EEvlllT_PT11_llS6_llS4_PT12_llPT13_lli.num_vgpr, 68
	.set _ZN12_GLOBAL__N_135rocblas_gemm_batched_general_kernelI19rocblas_complex_numIdELi16ELi16ELi32ELi32ELi8ELi32ELi8ELi8ELi32ELc78ELc78EKS2_S3_S2_EEvlllT_PT11_llS6_llS4_PT12_llPT13_lli.num_agpr, 0
	.set _ZN12_GLOBAL__N_135rocblas_gemm_batched_general_kernelI19rocblas_complex_numIdELi16ELi16ELi32ELi32ELi8ELi32ELi8ELi8ELi32ELc78ELc78EKS2_S3_S2_EEvlllT_PT11_llS6_llS4_PT12_llPT13_lli.numbered_sgpr, 52
	.set _ZN12_GLOBAL__N_135rocblas_gemm_batched_general_kernelI19rocblas_complex_numIdELi16ELi16ELi32ELi32ELi8ELi32ELi8ELi8ELi32ELc78ELc78EKS2_S3_S2_EEvlllT_PT11_llS6_llS4_PT12_llPT13_lli.num_named_barrier, 0
	.set _ZN12_GLOBAL__N_135rocblas_gemm_batched_general_kernelI19rocblas_complex_numIdELi16ELi16ELi32ELi32ELi8ELi32ELi8ELi8ELi32ELc78ELc78EKS2_S3_S2_EEvlllT_PT11_llS6_llS4_PT12_llPT13_lli.private_seg_size, 0
	.set _ZN12_GLOBAL__N_135rocblas_gemm_batched_general_kernelI19rocblas_complex_numIdELi16ELi16ELi32ELi32ELi8ELi32ELi8ELi8ELi32ELc78ELc78EKS2_S3_S2_EEvlllT_PT11_llS6_llS4_PT12_llPT13_lli.uses_vcc, 1
	.set _ZN12_GLOBAL__N_135rocblas_gemm_batched_general_kernelI19rocblas_complex_numIdELi16ELi16ELi32ELi32ELi8ELi32ELi8ELi8ELi32ELc78ELc78EKS2_S3_S2_EEvlllT_PT11_llS6_llS4_PT12_llPT13_lli.uses_flat_scratch, 0
	.set _ZN12_GLOBAL__N_135rocblas_gemm_batched_general_kernelI19rocblas_complex_numIdELi16ELi16ELi32ELi32ELi8ELi32ELi8ELi8ELi32ELc78ELc78EKS2_S3_S2_EEvlllT_PT11_llS6_llS4_PT12_llPT13_lli.has_dyn_sized_stack, 0
	.set _ZN12_GLOBAL__N_135rocblas_gemm_batched_general_kernelI19rocblas_complex_numIdELi16ELi16ELi32ELi32ELi8ELi32ELi8ELi8ELi32ELc78ELc78EKS2_S3_S2_EEvlllT_PT11_llS6_llS4_PT12_llPT13_lli.has_recursion, 0
	.set _ZN12_GLOBAL__N_135rocblas_gemm_batched_general_kernelI19rocblas_complex_numIdELi16ELi16ELi32ELi32ELi8ELi32ELi8ELi8ELi32ELc78ELc78EKS2_S3_S2_EEvlllT_PT11_llS6_llS4_PT12_llPT13_lli.has_indirect_call, 0
	.section	.AMDGPU.csdata,"",@progbits
; Kernel info:
; codeLenInByte = 3488
; TotalNumSgprs: 58
; NumVgprs: 68
; NumAgprs: 0
; TotalNumVgprs: 68
; ScratchSize: 0
; MemoryBound: 0
; FloatMode: 240
; IeeeMode: 1
; LDSByteSize: 8192 bytes/workgroup (compile time only)
; SGPRBlocks: 7
; VGPRBlocks: 8
; NumSGPRsForWavesPerEU: 58
; NumVGPRsForWavesPerEU: 68
; AccumOffset: 68
; Occupancy: 7
; WaveLimiterHint : 0
; COMPUTE_PGM_RSRC2:SCRATCH_EN: 0
; COMPUTE_PGM_RSRC2:USER_SGPR: 2
; COMPUTE_PGM_RSRC2:TRAP_HANDLER: 0
; COMPUTE_PGM_RSRC2:TGID_X_EN: 1
; COMPUTE_PGM_RSRC2:TGID_Y_EN: 1
; COMPUTE_PGM_RSRC2:TGID_Z_EN: 1
; COMPUTE_PGM_RSRC2:TIDIG_COMP_CNT: 1
; COMPUTE_PGM_RSRC3_GFX90A:ACCUM_OFFSET: 16
; COMPUTE_PGM_RSRC3_GFX90A:TG_SPLIT: 0
	.section	.text._ZN12_GLOBAL__N_135rocblas_gemm_batched_general_kernelI19rocblas_complex_numIdELi16ELi16ELi32ELi32ELi8ELi32ELi8ELi8ELi32ELc84ELc78EKS2_S3_S2_EEvlllT_PT11_llS6_llS4_PT12_llPT13_lli,"axG",@progbits,_ZN12_GLOBAL__N_135rocblas_gemm_batched_general_kernelI19rocblas_complex_numIdELi16ELi16ELi32ELi32ELi8ELi32ELi8ELi8ELi32ELc84ELc78EKS2_S3_S2_EEvlllT_PT11_llS6_llS4_PT12_llPT13_lli,comdat
	.globl	_ZN12_GLOBAL__N_135rocblas_gemm_batched_general_kernelI19rocblas_complex_numIdELi16ELi16ELi32ELi32ELi8ELi32ELi8ELi8ELi32ELc84ELc78EKS2_S3_S2_EEvlllT_PT11_llS6_llS4_PT12_llPT13_lli ; -- Begin function _ZN12_GLOBAL__N_135rocblas_gemm_batched_general_kernelI19rocblas_complex_numIdELi16ELi16ELi32ELi32ELi8ELi32ELi8ELi8ELi32ELc84ELc78EKS2_S3_S2_EEvlllT_PT11_llS6_llS4_PT12_llPT13_lli
	.p2align	8
	.type	_ZN12_GLOBAL__N_135rocblas_gemm_batched_general_kernelI19rocblas_complex_numIdELi16ELi16ELi32ELi32ELi8ELi32ELi8ELi8ELi32ELc84ELc78EKS2_S3_S2_EEvlllT_PT11_llS6_llS4_PT12_llPT13_lli,@function
_ZN12_GLOBAL__N_135rocblas_gemm_batched_general_kernelI19rocblas_complex_numIdELi16ELi16ELi32ELi32ELi8ELi32ELi8ELi8ELi32ELc84ELc78EKS2_S3_S2_EEvlllT_PT11_llS6_llS4_PT12_llPT13_lli: ; @_ZN12_GLOBAL__N_135rocblas_gemm_batched_general_kernelI19rocblas_complex_numIdELi16ELi16ELi32ELi32ELi8ELi32ELi8ELi8ELi32ELc84ELc78EKS2_S3_S2_EEvlllT_PT11_llS6_llS4_PT12_llPT13_lli
; %bb.0:
	s_load_dwordx16 s[36:51], s[0:1], 0x0
	s_load_dwordx16 s[8:23], s[0:1], 0x40
	s_mov_b32 s6, s3
	s_ashr_i32 s3, s2, 31
	v_mov_b32_e32 v1, 0
	s_lshl_b64 s[24:25], s[2:3], 5
	s_ashr_i32 s7, s6, 31
	s_waitcnt lgkmcnt(0)
	v_cmp_lt_i64_e64 s[2:3], s[40:41], 1
	v_and_b32_e32 v2, 0x3ff, v0
	v_bfe_u32 v0, v0, 10, 10
	v_mov_b32_e32 v3, v1
	s_lshl_b64 s[6:7], s[6:7], 5
	s_and_b64 vcc, exec, s[2:3]
	s_cbranch_vccnz .LBB137_11
; %bb.1:
	v_lshl_add_u32 v12, v0, 4, v2
	v_lshrrev_b32_e32 v4, 5, v12
	v_lshrrev_b32_e32 v8, 3, v12
	v_and_b32_e32 v12, 31, v12
	v_and_b32_e32 v6, 7, v2
	v_or_b32_e32 v14, s24, v12
	v_mov_b32_e32 v15, s25
	v_mov_b32_e32 v9, v1
	v_cmp_gt_i64_e32 vcc, s[36:37], v[14:15]
	v_lshlrev_b32_e32 v14, 4, v6
	v_lshl_add_u64 v[10:11], v[8:9], 0, s[6:7]
	v_lshl_or_b32 v8, v8, 7, v14
	v_lshlrev_b32_e32 v9, 4, v12
	v_add_u32_e32 v31, 0x1000, v8
	v_mov_b32_e32 v8, 0x1000
	v_lshl_or_b32 v30, v4, 9, v9
	v_cmp_gt_i64_e64 s[2:3], s[38:39], v[10:11]
	v_lshl_add_u32 v33, v0, 7, v8
	v_mul_lo_u32 v15, s11, v10
	v_mul_lo_u32 v11, s10, v11
	v_mad_u64_u32 v[8:9], s[10:11], s10, v10, 0
	s_mul_i32 s5, s13, s4
	s_mul_hi_u32 s10, s12, s4
	s_add_i32 s11, s10, s5
	s_mul_i32 s10, s12, s4
	v_add3_u32 v9, v9, v11, v15
	s_lshl_b64 s[10:11], s[10:11], 4
	v_mov_b32_e32 v13, v1
	v_lshl_add_u64 v[8:9], v[8:9], 4, s[10:11]
	v_mov_b32_e32 v15, v1
	v_lshl_add_u64 v[8:9], v[8:9], 0, v[14:15]
	v_lshl_add_u64 v[10:11], s[24:25], 0, v[12:13]
	;; [unrolled: 1-line block ×3, first 2 shown]
	v_mul_lo_u32 v12, s49, v10
	v_mul_lo_u32 v13, s48, v11
	v_mad_u64_u32 v[10:11], s[8:9], s48, v10, 0
	s_mul_i32 s5, s51, s4
	s_mul_hi_u32 s8, s50, s4
	s_add_i32 s9, s8, s5
	s_mul_i32 s8, s50, s4
	v_add3_u32 v11, v11, v13, v12
	s_lshl_b64 s[8:9], s[8:9], 4
	v_lshl_add_u64 v[10:11], v[10:11], 4, s[8:9]
	v_lshlrev_b32_e32 v12, 4, v4
	v_mov_b32_e32 v13, v1
	v_lshl_add_u64 v[10:11], v[10:11], 0, v[12:13]
	v_mov_b32_e32 v5, v1
	v_mov_b32_e32 v7, v1
	v_lshlrev_b32_e32 v32, 4, v2
	v_lshl_add_u64 v[10:11], s[46:47], 0, v[10:11]
	s_mov_b64 s[8:9], 0
	v_mov_b64_e32 v[14:15], 0
	s_xor_b64 s[10:11], vcc, -1
	s_xor_b64 s[2:3], s[2:3], -1
	s_mov_b64 s[12:13], 0x80
	v_mov_b64_e32 v[12:13], s[40:41]
	v_mov_b32_e32 v34, v1
	v_mov_b32_e32 v35, v1
	;; [unrolled: 1-line block ×4, first 2 shown]
	v_mov_b64_e32 v[16:17], 0
	v_mov_b64_e32 v[20:21], 0
	;; [unrolled: 1-line block ×7, first 2 shown]
	s_branch .LBB137_3
.LBB137_2:                              ;   in Loop: Header=BB137_3 Depth=1
	s_or_b64 exec, exec, s[26:27]
	s_waitcnt lgkmcnt(0)
	s_barrier
	ds_read_b128 v[38:41], v32
	ds_read_b128 v[42:45], v33
	ds_read_b128 v[46:49], v33 offset:16
	ds_read_b128 v[50:53], v33 offset:32
	ds_read_b128 v[54:57], v33 offset:48
	ds_read_b128 v[58:61], v32 offset:256
	s_waitcnt lgkmcnt(4)
	v_mul_f64 v[62:63], v[44:45], v[40:41]
	v_fma_f64 v[62:63], v[42:43], v[38:39], -v[62:63]
	v_mul_f64 v[64:65], v[42:43], v[40:41]
	v_fmac_f64_e32 v[64:65], v[44:45], v[38:39]
	v_add_f64 v[62:63], v[26:27], v[62:63]
	s_waitcnt lgkmcnt(0)
	v_mul_f64 v[26:27], v[44:45], v[60:61]
	v_add_f64 v[64:65], v[64:65], v[28:29]
	v_fma_f64 v[66:67], v[42:43], v[58:59], -v[26:27]
	ds_read_b128 v[26:29], v33 offset:2048
	v_mul_f64 v[42:43], v[42:43], v[60:61]
	v_fmac_f64_e32 v[42:43], v[44:45], v[58:59]
	v_add_f64 v[44:45], v[22:23], v[66:67]
	v_add_f64 v[42:43], v[42:43], v[24:25]
	ds_read_b128 v[22:25], v33 offset:2064
	s_waitcnt lgkmcnt(1)
	v_mul_f64 v[66:67], v[28:29], v[40:41]
	v_fma_f64 v[66:67], v[26:27], v[38:39], -v[66:67]
	v_mul_f64 v[40:41], v[26:27], v[40:41]
	v_fmac_f64_e32 v[40:41], v[28:29], v[38:39]
	v_add_f64 v[38:39], v[18:19], v[66:67]
	v_mul_f64 v[18:19], v[28:29], v[60:61]
	v_add_f64 v[40:41], v[40:41], v[20:21]
	v_fma_f64 v[66:67], v[26:27], v[58:59], -v[18:19]
	v_mul_f64 v[26:27], v[26:27], v[60:61]
	ds_read_b128 v[18:21], v32 offset:512
	v_fmac_f64_e32 v[26:27], v[28:29], v[58:59]
	v_add_f64 v[28:29], v[16:17], v[66:67]
	v_add_f64 v[26:27], v[26:27], v[14:15]
	ds_read_b128 v[14:17], v32 offset:768
	s_waitcnt lgkmcnt(1)
	v_mul_f64 v[58:59], v[48:49], v[20:21]
	v_fma_f64 v[58:59], v[46:47], v[18:19], -v[58:59]
	v_add_f64 v[58:59], v[62:63], v[58:59]
	v_mul_f64 v[60:61], v[46:47], v[20:21]
	s_waitcnt lgkmcnt(0)
	v_mul_f64 v[62:63], v[48:49], v[16:17]
	v_fma_f64 v[62:63], v[46:47], v[14:15], -v[62:63]
	v_mul_f64 v[46:47], v[46:47], v[16:17]
	v_fmac_f64_e32 v[46:47], v[48:49], v[14:15]
	v_add_f64 v[42:43], v[46:47], v[42:43]
	v_mul_f64 v[46:47], v[24:25], v[20:21]
	v_mul_f64 v[20:21], v[22:23], v[20:21]
	v_fmac_f64_e32 v[60:61], v[48:49], v[18:19]
	v_fma_f64 v[46:47], v[22:23], v[18:19], -v[46:47]
	v_fmac_f64_e32 v[20:21], v[24:25], v[18:19]
	v_mul_f64 v[18:19], v[24:25], v[16:17]
	v_add_f64 v[48:49], v[20:21], v[40:41]
	v_fma_f64 v[20:21], v[22:23], v[14:15], -v[18:19]
	v_mul_f64 v[22:23], v[22:23], v[16:17]
	ds_read_b128 v[16:19], v32 offset:1024
	v_fmac_f64_e32 v[22:23], v[24:25], v[14:15]
	v_add_f64 v[44:45], v[44:45], v[62:63]
	v_add_f64 v[28:29], v[28:29], v[20:21]
	;; [unrolled: 1-line block ×3, first 2 shown]
	ds_read_b128 v[20:23], v32 offset:1280
	s_waitcnt lgkmcnt(1)
	v_mul_f64 v[24:25], v[50:51], v[18:19]
	v_add_f64 v[60:61], v[60:61], v[64:65]
	v_fmac_f64_e32 v[24:25], v[52:53], v[16:17]
	v_add_f64 v[60:61], v[24:25], v[60:61]
	ds_read_b128 v[24:27], v33 offset:2080
	v_mul_f64 v[14:15], v[52:53], v[18:19]
	v_fma_f64 v[14:15], v[50:51], v[16:17], -v[14:15]
	v_add_f64 v[46:47], v[38:39], v[46:47]
	v_add_f64 v[58:59], v[58:59], v[14:15]
	s_waitcnt lgkmcnt(1)
	v_mul_f64 v[14:15], v[52:53], v[22:23]
	v_mul_f64 v[38:39], v[50:51], v[22:23]
	v_fma_f64 v[14:15], v[50:51], v[20:21], -v[14:15]
	v_fmac_f64_e32 v[38:39], v[52:53], v[20:21]
	v_add_f64 v[44:45], v[44:45], v[14:15]
	v_add_f64 v[42:43], v[38:39], v[42:43]
	ds_read_b128 v[38:41], v33 offset:2096
	s_waitcnt lgkmcnt(1)
	v_mul_f64 v[14:15], v[26:27], v[18:19]
	v_fma_f64 v[14:15], v[24:25], v[16:17], -v[14:15]
	v_mul_f64 v[18:19], v[24:25], v[18:19]
	v_fmac_f64_e32 v[18:19], v[26:27], v[16:17]
	v_add_f64 v[46:47], v[46:47], v[14:15]
	v_mul_f64 v[14:15], v[26:27], v[22:23]
	v_add_f64 v[48:49], v[18:19], v[48:49]
	v_fma_f64 v[18:19], v[24:25], v[20:21], -v[14:15]
	ds_read_b128 v[14:17], v32 offset:1536
	v_mul_f64 v[22:23], v[24:25], v[22:23]
	v_fmac_f64_e32 v[22:23], v[26:27], v[20:21]
	v_add_f64 v[24:25], v[28:29], v[18:19]
	ds_read_b128 v[18:21], v32 offset:1792
	s_waitcnt lgkmcnt(1)
	v_mul_f64 v[26:27], v[56:57], v[16:17]
	v_fma_f64 v[26:27], v[54:55], v[14:15], -v[26:27]
	v_mul_f64 v[28:29], v[54:55], v[16:17]
	v_fmac_f64_e32 v[28:29], v[56:57], v[14:15]
	v_add_f64 v[50:51], v[58:59], v[26:27]
	s_waitcnt lgkmcnt(0)
	v_mul_f64 v[26:27], v[56:57], v[20:21]
	v_add_f64 v[52:53], v[28:29], v[60:61]
	v_fma_f64 v[26:27], v[54:55], v[18:19], -v[26:27]
	v_mul_f64 v[28:29], v[54:55], v[20:21]
	v_fmac_f64_e32 v[28:29], v[56:57], v[18:19]
	v_add_f64 v[44:45], v[44:45], v[26:27]
	v_mul_f64 v[26:27], v[40:41], v[16:17]
	v_mul_f64 v[16:17], v[38:39], v[16:17]
	v_add_f64 v[42:43], v[28:29], v[42:43]
	v_fma_f64 v[26:27], v[38:39], v[14:15], -v[26:27]
	v_fmac_f64_e32 v[16:17], v[40:41], v[14:15]
	v_mul_f64 v[14:15], v[40:41], v[20:21]
	v_mul_f64 v[28:29], v[38:39], v[20:21]
	v_add_f64 v[46:47], v[46:47], v[26:27]
	v_add_f64 v[48:49], v[16:17], v[48:49]
	v_fma_f64 v[26:27], v[38:39], v[18:19], -v[14:15]
	v_fmac_f64_e32 v[28:29], v[40:41], v[18:19]
	ds_read_b128 v[14:17], v33 offset:64
	ds_read_b128 v[18:21], v32 offset:2048
	v_add_f64 v[22:23], v[22:23], v[62:63]
	v_add_f64 v[54:55], v[24:25], v[26:27]
	;; [unrolled: 1-line block ×3, first 2 shown]
	ds_read_b128 v[22:25], v32 offset:2304
	ds_read_b128 v[26:29], v33 offset:80
	s_waitcnt lgkmcnt(2)
	v_mul_f64 v[38:39], v[16:17], v[20:21]
	v_fma_f64 v[38:39], v[14:15], v[18:19], -v[38:39]
	v_mul_f64 v[40:41], v[14:15], v[20:21]
	v_fmac_f64_e32 v[40:41], v[16:17], v[18:19]
	v_add_f64 v[50:51], v[50:51], v[38:39]
	s_waitcnt lgkmcnt(1)
	v_mul_f64 v[38:39], v[16:17], v[24:25]
	v_add_f64 v[52:53], v[40:41], v[52:53]
	v_fma_f64 v[58:59], v[14:15], v[22:23], -v[38:39]
	ds_read_b128 v[38:41], v33 offset:2112
	v_mul_f64 v[14:15], v[14:15], v[24:25]
	v_fmac_f64_e32 v[14:15], v[16:17], v[22:23]
	v_add_f64 v[44:45], v[44:45], v[58:59]
	v_add_f64 v[42:43], v[14:15], v[42:43]
	ds_read_b128 v[14:17], v33 offset:2128
	s_waitcnt lgkmcnt(1)
	v_mul_f64 v[58:59], v[40:41], v[20:21]
	v_mul_f64 v[20:21], v[38:39], v[20:21]
	v_fma_f64 v[58:59], v[38:39], v[18:19], -v[58:59]
	v_fmac_f64_e32 v[20:21], v[40:41], v[18:19]
	v_mul_f64 v[18:19], v[40:41], v[24:25]
	v_add_f64 v[46:47], v[46:47], v[58:59]
	v_add_f64 v[48:49], v[20:21], v[48:49]
	v_fma_f64 v[58:59], v[38:39], v[22:23], -v[18:19]
	v_mul_f64 v[24:25], v[38:39], v[24:25]
	ds_read_b128 v[18:21], v32 offset:2560
	v_fmac_f64_e32 v[24:25], v[40:41], v[22:23]
	v_add_f64 v[40:41], v[24:25], v[56:57]
	ds_read_b128 v[22:25], v32 offset:2816
	v_add_f64 v[38:39], v[54:55], v[58:59]
	s_waitcnt lgkmcnt(1)
	v_mul_f64 v[54:55], v[28:29], v[20:21]
	v_fma_f64 v[54:55], v[26:27], v[18:19], -v[54:55]
	v_add_f64 v[50:51], v[50:51], v[54:55]
	s_waitcnt lgkmcnt(0)
	v_mul_f64 v[54:55], v[28:29], v[24:25]
	v_mul_f64 v[56:57], v[26:27], v[20:21]
	v_fma_f64 v[54:55], v[26:27], v[22:23], -v[54:55]
	v_mul_f64 v[26:27], v[26:27], v[24:25]
	v_fmac_f64_e32 v[26:27], v[28:29], v[22:23]
	v_add_f64 v[42:43], v[26:27], v[42:43]
	v_mul_f64 v[26:27], v[16:17], v[20:21]
	v_mul_f64 v[20:21], v[14:15], v[20:21]
	v_fmac_f64_e32 v[56:57], v[28:29], v[18:19]
	v_fma_f64 v[26:27], v[14:15], v[18:19], -v[26:27]
	v_fmac_f64_e32 v[20:21], v[16:17], v[18:19]
	v_mul_f64 v[18:19], v[16:17], v[24:25]
	v_mul_f64 v[24:25], v[14:15], v[24:25]
	v_add_f64 v[46:47], v[46:47], v[26:27]
	v_add_f64 v[48:49], v[20:21], v[48:49]
	v_fma_f64 v[26:27], v[14:15], v[22:23], -v[18:19]
	v_fmac_f64_e32 v[24:25], v[16:17], v[22:23]
	ds_read_b128 v[14:17], v33 offset:96
	ds_read_b128 v[18:21], v32 offset:3072
	v_add_f64 v[52:53], v[56:57], v[52:53]
	v_add_f64 v[44:45], v[44:45], v[54:55]
	;; [unrolled: 1-line block ×4, first 2 shown]
	ds_read_b128 v[22:25], v32 offset:3328
	ds_read_b128 v[38:41], v33 offset:112
	s_waitcnt lgkmcnt(2)
	v_mul_f64 v[26:27], v[16:17], v[20:21]
	v_fma_f64 v[26:27], v[14:15], v[18:19], -v[26:27]
	v_mul_f64 v[28:29], v[14:15], v[20:21]
	v_fmac_f64_e32 v[28:29], v[16:17], v[18:19]
	v_add_f64 v[50:51], v[50:51], v[26:27]
	s_waitcnt lgkmcnt(1)
	v_mul_f64 v[26:27], v[16:17], v[24:25]
	v_add_f64 v[52:53], v[28:29], v[52:53]
	v_fma_f64 v[58:59], v[14:15], v[22:23], -v[26:27]
	ds_read_b128 v[26:29], v33 offset:2144
	v_mul_f64 v[14:15], v[14:15], v[24:25]
	v_fmac_f64_e32 v[14:15], v[16:17], v[22:23]
	v_add_f64 v[60:61], v[14:15], v[42:43]
	ds_read_b128 v[14:17], v33 offset:2160
	s_waitcnt lgkmcnt(1)
	v_mul_f64 v[42:43], v[28:29], v[20:21]
	v_mul_f64 v[20:21], v[26:27], v[20:21]
	v_fma_f64 v[42:43], v[26:27], v[18:19], -v[42:43]
	v_fmac_f64_e32 v[20:21], v[28:29], v[18:19]
	v_mul_f64 v[18:19], v[28:29], v[24:25]
	v_add_f64 v[46:47], v[46:47], v[42:43]
	v_add_f64 v[48:49], v[20:21], v[48:49]
	v_fma_f64 v[42:43], v[26:27], v[22:23], -v[18:19]
	ds_read_b128 v[18:21], v32 offset:3584
	v_add_f64 v[58:59], v[44:45], v[58:59]
	v_add_f64 v[54:55], v[54:55], v[42:43]
	ds_read_b128 v[42:45], v32 offset:3840
	v_mul_f64 v[24:25], v[26:27], v[24:25]
	v_fmac_f64_e32 v[24:25], v[28:29], v[22:23]
	s_waitcnt lgkmcnt(1)
	v_mul_f64 v[22:23], v[40:41], v[20:21]
	v_add_f64 v[56:57], v[24:25], v[56:57]
	v_fma_f64 v[22:23], v[38:39], v[18:19], -v[22:23]
	v_mul_f64 v[24:25], v[38:39], v[20:21]
	v_fmac_f64_e32 v[24:25], v[40:41], v[18:19]
	v_add_f64 v[26:27], v[50:51], v[22:23]
	s_waitcnt lgkmcnt(0)
	v_mul_f64 v[22:23], v[40:41], v[44:45]
	v_add_f64 v[28:29], v[24:25], v[52:53]
	v_fma_f64 v[22:23], v[38:39], v[42:43], -v[22:23]
	v_mul_f64 v[24:25], v[38:39], v[44:45]
	v_mul_f64 v[38:39], v[16:17], v[20:21]
	v_fma_f64 v[38:39], v[14:15], v[18:19], -v[38:39]
	v_mul_f64 v[20:21], v[14:15], v[20:21]
	v_fmac_f64_e32 v[20:21], v[16:17], v[18:19]
	v_add_f64 v[18:19], v[46:47], v[38:39]
	v_mul_f64 v[38:39], v[16:17], v[44:45]
	s_add_u32 s8, s8, 8
	v_fma_f64 v[38:39], v[14:15], v[42:43], -v[38:39]
	v_mul_f64 v[14:15], v[14:15], v[44:45]
	s_addc_u32 s9, s9, 0
	v_fmac_f64_e32 v[24:25], v[40:41], v[42:43]
	v_fmac_f64_e32 v[14:15], v[16:17], v[42:43]
	v_cmp_lt_i64_e32 vcc, s[8:9], v[12:13]
	v_add_f64 v[22:23], v[58:59], v[22:23]
	v_add_f64 v[24:25], v[24:25], v[60:61]
	;; [unrolled: 1-line block ×5, first 2 shown]
	v_lshl_add_u64 v[8:9], v[8:9], 0, s[12:13]
	v_lshl_add_u64 v[10:11], v[10:11], 0, s[12:13]
	s_barrier
	s_cbranch_vccz .LBB137_12
.LBB137_3:                              ; =>This Inner Loop Header: Depth=1
	v_lshl_add_u64 v[38:39], v[4:5], 0, s[8:9]
	v_cmp_le_i64_e32 vcc, s[40:41], v[38:39]
	s_or_b64 s[26:27], s[10:11], vcc
	s_and_saveexec_b64 s[28:29], s[26:27]
	s_xor_b64 s[26:27], exec, s[28:29]
; %bb.4:                                ;   in Loop: Header=BB137_3 Depth=1
	ds_write_b128 v30, v[34:37]
; %bb.5:                                ;   in Loop: Header=BB137_3 Depth=1
	s_andn2_saveexec_b64 s[26:27], s[26:27]
	s_cbranch_execz .LBB137_7
; %bb.6:                                ;   in Loop: Header=BB137_3 Depth=1
	global_load_dwordx4 v[38:41], v[10:11], off
	s_waitcnt vmcnt(0)
	ds_write2_b64 v30, v[38:39], v[40:41] offset1:1
.LBB137_7:                              ;   in Loop: Header=BB137_3 Depth=1
	s_or_b64 exec, exec, s[26:27]
	v_lshl_add_u64 v[38:39], v[6:7], 0, s[8:9]
	v_cmp_le_i64_e32 vcc, s[40:41], v[38:39]
	s_or_b64 s[26:27], vcc, s[2:3]
	s_and_saveexec_b64 s[28:29], s[26:27]
	s_xor_b64 s[26:27], exec, s[28:29]
; %bb.8:                                ;   in Loop: Header=BB137_3 Depth=1
	ds_write_b128 v31, v[34:37]
; %bb.9:                                ;   in Loop: Header=BB137_3 Depth=1
	s_andn2_saveexec_b64 s[26:27], s[26:27]
	s_cbranch_execz .LBB137_2
; %bb.10:                               ;   in Loop: Header=BB137_3 Depth=1
	global_load_dwordx4 v[38:41], v[8:9], off
	s_waitcnt vmcnt(0)
	ds_write2_b64 v31, v[38:39], v[40:41] offset1:1
	s_branch .LBB137_2
.LBB137_11:
	v_mov_b64_e32 v[26:27], 0
	v_mov_b64_e32 v[28:29], 0
	;; [unrolled: 1-line block ×8, first 2 shown]
.LBB137_12:
	s_load_dwordx2 s[2:3], s[0:1], 0x90
	s_load_dwordx4 s[8:11], s[0:1], 0x80
	v_lshl_add_u64 v[0:1], s[6:7], 0, v[0:1]
	s_waitcnt lgkmcnt(0)
	s_mul_i32 s1, s3, s4
	s_mul_hi_u32 s3, s2, s4
	s_mul_i32 s0, s2, s4
	s_add_i32 s1, s3, s1
	s_lshl_b64 s[0:1], s[0:1], 4
	s_add_u32 s8, s8, s0
	s_addc_u32 s9, s9, s1
	v_cmp_neq_f64_e64 s[0:1], s[14:15], 0
	v_cmp_neq_f64_e64 s[2:3], s[16:17], 0
	s_or_b64 s[6:7], s[0:1], s[2:3]
	v_cmp_gt_i64_e64 s[0:1], s[38:39], v[0:1]
	s_mov_b64 s[2:3], -1
	s_and_b64 vcc, exec, s[6:7]
	s_cbranch_vccnz .LBB137_24
; %bb.13:
	s_and_saveexec_b64 s[12:13], s[0:1]
	s_cbranch_execz .LBB137_23
; %bb.14:
	v_mul_lo_u32 v8, v1, s10
	v_mul_lo_u32 v9, v0, s11
	v_mad_u64_u32 v[6:7], s[2:3], v0, s10, 0
	v_add3_u32 v7, v7, v9, v8
	v_lshl_add_u64 v[4:5], s[24:25], 0, v[2:3]
	v_lshl_add_u64 v[6:7], v[6:7], 4, s[8:9]
	v_cmp_gt_i64_e32 vcc, s[36:37], v[4:5]
	v_lshl_add_u64 v[8:9], v[4:5], 4, v[6:7]
	s_and_saveexec_b64 s[2:3], vcc
	s_cbranch_execz .LBB137_16
; %bb.15:
	v_mul_f64 v[10:11], s[44:45], v[28:29]
	v_mul_f64 v[12:13], s[42:43], v[28:29]
	v_fma_f64 v[10:11], s[42:43], v[26:27], -v[10:11]
	v_fmac_f64_e32 v[12:13], s[44:45], v[26:27]
	global_store_dwordx4 v[8:9], v[10:13], off
.LBB137_16:
	s_or_b64 exec, exec, s[2:3]
	s_nop 0
	v_lshl_add_u64 v[10:11], v[4:5], 0, 16
	v_cmp_gt_i64_e64 s[2:3], s[36:37], v[10:11]
	s_and_saveexec_b64 s[6:7], s[2:3]
	s_cbranch_execz .LBB137_18
; %bb.17:
	v_mul_f64 v[10:11], s[44:45], v[24:25]
	v_mul_f64 v[12:13], s[42:43], v[24:25]
	v_fma_f64 v[10:11], s[42:43], v[22:23], -v[10:11]
	v_fmac_f64_e32 v[12:13], s[44:45], v[22:23]
	global_store_dwordx4 v[8:9], v[10:13], off offset:256
.LBB137_18:
	s_or_b64 exec, exec, s[6:7]
	v_lshl_add_u64 v[8:9], v[0:1], 0, 16
	v_cmp_gt_i64_e64 s[6:7], s[38:39], v[8:9]
	s_and_b64 exec, exec, s[6:7]
	s_cbranch_execz .LBB137_23
; %bb.19:
	s_lshl_b64 s[6:7], s[10:11], 8
	v_lshl_add_u64 v[6:7], v[6:7], 0, s[6:7]
	v_lshl_add_u64 v[4:5], v[4:5], 4, v[6:7]
	s_and_saveexec_b64 s[6:7], vcc
	s_cbranch_execz .LBB137_21
; %bb.20:
	v_mul_f64 v[6:7], s[44:45], v[20:21]
	v_mul_f64 v[8:9], s[42:43], v[20:21]
	v_fma_f64 v[6:7], s[42:43], v[18:19], -v[6:7]
	v_fmac_f64_e32 v[8:9], s[44:45], v[18:19]
	global_store_dwordx4 v[4:5], v[6:9], off
.LBB137_21:
	s_or_b64 exec, exec, s[6:7]
	s_and_b64 exec, exec, s[2:3]
	s_cbranch_execz .LBB137_23
; %bb.22:
	v_mul_f64 v[6:7], s[44:45], v[14:15]
	v_mul_f64 v[8:9], s[42:43], v[14:15]
	v_fma_f64 v[6:7], s[42:43], v[16:17], -v[6:7]
	v_fmac_f64_e32 v[8:9], s[44:45], v[16:17]
	global_store_dwordx4 v[4:5], v[6:9], off offset:256
.LBB137_23:
	s_or_b64 exec, exec, s[12:13]
	s_mov_b64 s[2:3], 0
.LBB137_24:
	s_andn2_b64 vcc, exec, s[2:3]
	s_cbranch_vccnz .LBB137_35
; %bb.25:
	s_and_saveexec_b64 s[2:3], s[0:1]
	s_cbranch_execz .LBB137_35
; %bb.26:
	s_mul_i32 s0, s23, s4
	s_mul_hi_u32 s1, s22, s4
	s_add_i32 s1, s1, s0
	s_mul_i32 s0, s22, s4
	s_lshl_b64 s[0:1], s[0:1], 4
	v_lshl_add_u64 v[8:9], s[24:25], 0, v[2:3]
	v_mul_lo_u32 v4, v1, s20
	v_mul_lo_u32 v5, v0, s21
	v_mad_u64_u32 v[2:3], s[2:3], v0, s20, 0
	s_add_u32 s0, s18, s0
	v_add3_u32 v3, v3, v5, v4
	v_mul_lo_u32 v6, v1, s10
	v_mul_lo_u32 v7, v0, s11
	v_mad_u64_u32 v[4:5], s[2:3], v0, s10, 0
	s_addc_u32 s1, s19, s1
	v_add3_u32 v5, v5, v7, v6
	v_cmp_gt_i64_e32 vcc, s[36:37], v[8:9]
	v_lshl_add_u64 v[6:7], v[2:3], 4, s[0:1]
	v_lshl_add_u64 v[4:5], v[4:5], 4, s[8:9]
	v_lshlrev_b64 v[2:3], 4, v[8:9]
	s_and_saveexec_b64 s[0:1], vcc
	s_cbranch_execz .LBB137_28
; %bb.27:
	v_lshl_add_u64 v[10:11], v[6:7], 0, v[2:3]
	global_load_dwordx4 v[10:13], v[10:11], off
	v_mul_f64 v[30:31], s[44:45], v[28:29]
	v_mul_f64 v[28:29], s[42:43], v[28:29]
	v_fma_f64 v[30:31], s[42:43], v[26:27], -v[30:31]
	v_fmac_f64_e32 v[28:29], s[44:45], v[26:27]
	s_waitcnt vmcnt(0)
	v_mul_f64 v[26:27], s[16:17], v[12:13]
	v_mul_f64 v[12:13], s[14:15], v[12:13]
	v_fma_f64 v[26:27], s[14:15], v[10:11], -v[26:27]
	v_fmac_f64_e32 v[12:13], s[16:17], v[10:11]
	v_add_f64 v[10:11], v[30:31], v[26:27]
	v_add_f64 v[12:13], v[28:29], v[12:13]
	v_lshl_add_u64 v[26:27], v[4:5], 0, v[2:3]
	global_store_dwordx4 v[26:27], v[10:13], off
.LBB137_28:
	s_or_b64 exec, exec, s[0:1]
	v_lshl_add_u64 v[8:9], v[8:9], 0, 16
	v_cmp_gt_i64_e64 s[0:1], s[36:37], v[8:9]
	s_and_saveexec_b64 s[2:3], s[0:1]
	s_cbranch_execz .LBB137_30
; %bb.29:
	v_lshl_add_u64 v[8:9], v[6:7], 0, v[2:3]
	global_load_dwordx4 v[8:11], v[8:9], off offset:256
	v_mul_f64 v[12:13], s[44:45], v[24:25]
	v_mul_f64 v[24:25], s[42:43], v[24:25]
	v_fma_f64 v[12:13], s[42:43], v[22:23], -v[12:13]
	v_fmac_f64_e32 v[24:25], s[44:45], v[22:23]
	s_waitcnt vmcnt(0)
	v_mul_f64 v[22:23], s[16:17], v[10:11]
	v_mul_f64 v[10:11], s[14:15], v[10:11]
	v_fma_f64 v[22:23], s[14:15], v[8:9], -v[22:23]
	v_fmac_f64_e32 v[10:11], s[16:17], v[8:9]
	v_add_f64 v[8:9], v[12:13], v[22:23]
	v_add_f64 v[10:11], v[24:25], v[10:11]
	v_lshl_add_u64 v[12:13], v[4:5], 0, v[2:3]
	global_store_dwordx4 v[12:13], v[8:11], off offset:256
.LBB137_30:
	s_or_b64 exec, exec, s[2:3]
	v_lshl_add_u64 v[0:1], v[0:1], 0, 16
	v_cmp_gt_i64_e64 s[2:3], s[38:39], v[0:1]
	s_and_b64 exec, exec, s[2:3]
	s_cbranch_execz .LBB137_35
; %bb.31:
	s_lshl_b64 s[2:3], s[20:21], 8
	v_lshl_add_u64 v[0:1], v[6:7], 0, s[2:3]
	s_lshl_b64 s[2:3], s[10:11], 8
	v_lshl_add_u64 v[6:7], v[4:5], 0, s[2:3]
	v_lshl_add_u64 v[4:5], v[0:1], 0, v[2:3]
	;; [unrolled: 1-line block ×3, first 2 shown]
	s_and_saveexec_b64 s[2:3], vcc
	s_cbranch_execz .LBB137_33
; %bb.32:
	global_load_dwordx4 v[6:9], v[4:5], off
	v_mul_f64 v[2:3], s[44:45], v[20:21]
	v_mul_f64 v[10:11], s[42:43], v[20:21]
	v_fma_f64 v[2:3], s[42:43], v[18:19], -v[2:3]
	v_fmac_f64_e32 v[10:11], s[44:45], v[18:19]
	s_waitcnt vmcnt(0)
	v_mul_f64 v[12:13], s[16:17], v[8:9]
	v_mul_f64 v[8:9], s[14:15], v[8:9]
	v_fma_f64 v[12:13], s[14:15], v[6:7], -v[12:13]
	v_fmac_f64_e32 v[8:9], s[16:17], v[6:7]
	v_add_f64 v[6:7], v[2:3], v[12:13]
	v_add_f64 v[8:9], v[10:11], v[8:9]
	global_store_dwordx4 v[0:1], v[6:9], off
.LBB137_33:
	s_or_b64 exec, exec, s[2:3]
	s_and_b64 exec, exec, s[0:1]
	s_cbranch_execz .LBB137_35
; %bb.34:
	global_load_dwordx4 v[2:5], v[4:5], off offset:256
	v_mul_f64 v[6:7], s[44:45], v[14:15]
	v_mul_f64 v[8:9], s[42:43], v[14:15]
	v_fma_f64 v[6:7], s[42:43], v[16:17], -v[6:7]
	v_fmac_f64_e32 v[8:9], s[44:45], v[16:17]
	s_waitcnt vmcnt(0)
	v_mul_f64 v[10:11], s[16:17], v[4:5]
	v_mul_f64 v[4:5], s[14:15], v[4:5]
	v_fma_f64 v[10:11], s[14:15], v[2:3], -v[10:11]
	v_fmac_f64_e32 v[4:5], s[16:17], v[2:3]
	v_add_f64 v[2:3], v[6:7], v[10:11]
	v_add_f64 v[4:5], v[8:9], v[4:5]
	global_store_dwordx4 v[0:1], v[2:5], off offset:256
.LBB137_35:
	s_endpgm
	.section	.rodata,"a",@progbits
	.p2align	6, 0x0
	.amdhsa_kernel _ZN12_GLOBAL__N_135rocblas_gemm_batched_general_kernelI19rocblas_complex_numIdELi16ELi16ELi32ELi32ELi8ELi32ELi8ELi8ELi32ELc84ELc78EKS2_S3_S2_EEvlllT_PT11_llS6_llS4_PT12_llPT13_lli
		.amdhsa_group_segment_fixed_size 8192
		.amdhsa_private_segment_fixed_size 0
		.amdhsa_kernarg_size 156
		.amdhsa_user_sgpr_count 2
		.amdhsa_user_sgpr_dispatch_ptr 0
		.amdhsa_user_sgpr_queue_ptr 0
		.amdhsa_user_sgpr_kernarg_segment_ptr 1
		.amdhsa_user_sgpr_dispatch_id 0
		.amdhsa_user_sgpr_kernarg_preload_length 0
		.amdhsa_user_sgpr_kernarg_preload_offset 0
		.amdhsa_user_sgpr_private_segment_size 0
		.amdhsa_uses_dynamic_stack 0
		.amdhsa_enable_private_segment 0
		.amdhsa_system_sgpr_workgroup_id_x 1
		.amdhsa_system_sgpr_workgroup_id_y 1
		.amdhsa_system_sgpr_workgroup_id_z 1
		.amdhsa_system_sgpr_workgroup_info 0
		.amdhsa_system_vgpr_workitem_id 1
		.amdhsa_next_free_vgpr 68
		.amdhsa_next_free_sgpr 52
		.amdhsa_accum_offset 68
		.amdhsa_reserve_vcc 1
		.amdhsa_float_round_mode_32 0
		.amdhsa_float_round_mode_16_64 0
		.amdhsa_float_denorm_mode_32 3
		.amdhsa_float_denorm_mode_16_64 3
		.amdhsa_dx10_clamp 1
		.amdhsa_ieee_mode 1
		.amdhsa_fp16_overflow 0
		.amdhsa_tg_split 0
		.amdhsa_exception_fp_ieee_invalid_op 0
		.amdhsa_exception_fp_denorm_src 0
		.amdhsa_exception_fp_ieee_div_zero 0
		.amdhsa_exception_fp_ieee_overflow 0
		.amdhsa_exception_fp_ieee_underflow 0
		.amdhsa_exception_fp_ieee_inexact 0
		.amdhsa_exception_int_div_zero 0
	.end_amdhsa_kernel
	.section	.text._ZN12_GLOBAL__N_135rocblas_gemm_batched_general_kernelI19rocblas_complex_numIdELi16ELi16ELi32ELi32ELi8ELi32ELi8ELi8ELi32ELc84ELc78EKS2_S3_S2_EEvlllT_PT11_llS6_llS4_PT12_llPT13_lli,"axG",@progbits,_ZN12_GLOBAL__N_135rocblas_gemm_batched_general_kernelI19rocblas_complex_numIdELi16ELi16ELi32ELi32ELi8ELi32ELi8ELi8ELi32ELc84ELc78EKS2_S3_S2_EEvlllT_PT11_llS6_llS4_PT12_llPT13_lli,comdat
.Lfunc_end137:
	.size	_ZN12_GLOBAL__N_135rocblas_gemm_batched_general_kernelI19rocblas_complex_numIdELi16ELi16ELi32ELi32ELi8ELi32ELi8ELi8ELi32ELc84ELc78EKS2_S3_S2_EEvlllT_PT11_llS6_llS4_PT12_llPT13_lli, .Lfunc_end137-_ZN12_GLOBAL__N_135rocblas_gemm_batched_general_kernelI19rocblas_complex_numIdELi16ELi16ELi32ELi32ELi8ELi32ELi8ELi8ELi32ELc84ELc78EKS2_S3_S2_EEvlllT_PT11_llS6_llS4_PT12_llPT13_lli
                                        ; -- End function
	.set _ZN12_GLOBAL__N_135rocblas_gemm_batched_general_kernelI19rocblas_complex_numIdELi16ELi16ELi32ELi32ELi8ELi32ELi8ELi8ELi32ELc84ELc78EKS2_S3_S2_EEvlllT_PT11_llS6_llS4_PT12_llPT13_lli.num_vgpr, 68
	.set _ZN12_GLOBAL__N_135rocblas_gemm_batched_general_kernelI19rocblas_complex_numIdELi16ELi16ELi32ELi32ELi8ELi32ELi8ELi8ELi32ELc84ELc78EKS2_S3_S2_EEvlllT_PT11_llS6_llS4_PT12_llPT13_lli.num_agpr, 0
	.set _ZN12_GLOBAL__N_135rocblas_gemm_batched_general_kernelI19rocblas_complex_numIdELi16ELi16ELi32ELi32ELi8ELi32ELi8ELi8ELi32ELc84ELc78EKS2_S3_S2_EEvlllT_PT11_llS6_llS4_PT12_llPT13_lli.numbered_sgpr, 52
	.set _ZN12_GLOBAL__N_135rocblas_gemm_batched_general_kernelI19rocblas_complex_numIdELi16ELi16ELi32ELi32ELi8ELi32ELi8ELi8ELi32ELc84ELc78EKS2_S3_S2_EEvlllT_PT11_llS6_llS4_PT12_llPT13_lli.num_named_barrier, 0
	.set _ZN12_GLOBAL__N_135rocblas_gemm_batched_general_kernelI19rocblas_complex_numIdELi16ELi16ELi32ELi32ELi8ELi32ELi8ELi8ELi32ELc84ELc78EKS2_S3_S2_EEvlllT_PT11_llS6_llS4_PT12_llPT13_lli.private_seg_size, 0
	.set _ZN12_GLOBAL__N_135rocblas_gemm_batched_general_kernelI19rocblas_complex_numIdELi16ELi16ELi32ELi32ELi8ELi32ELi8ELi8ELi32ELc84ELc78EKS2_S3_S2_EEvlllT_PT11_llS6_llS4_PT12_llPT13_lli.uses_vcc, 1
	.set _ZN12_GLOBAL__N_135rocblas_gemm_batched_general_kernelI19rocblas_complex_numIdELi16ELi16ELi32ELi32ELi8ELi32ELi8ELi8ELi32ELc84ELc78EKS2_S3_S2_EEvlllT_PT11_llS6_llS4_PT12_llPT13_lli.uses_flat_scratch, 0
	.set _ZN12_GLOBAL__N_135rocblas_gemm_batched_general_kernelI19rocblas_complex_numIdELi16ELi16ELi32ELi32ELi8ELi32ELi8ELi8ELi32ELc84ELc78EKS2_S3_S2_EEvlllT_PT11_llS6_llS4_PT12_llPT13_lli.has_dyn_sized_stack, 0
	.set _ZN12_GLOBAL__N_135rocblas_gemm_batched_general_kernelI19rocblas_complex_numIdELi16ELi16ELi32ELi32ELi8ELi32ELi8ELi8ELi32ELc84ELc78EKS2_S3_S2_EEvlllT_PT11_llS6_llS4_PT12_llPT13_lli.has_recursion, 0
	.set _ZN12_GLOBAL__N_135rocblas_gemm_batched_general_kernelI19rocblas_complex_numIdELi16ELi16ELi32ELi32ELi8ELi32ELi8ELi8ELi32ELc84ELc78EKS2_S3_S2_EEvlllT_PT11_llS6_llS4_PT12_llPT13_lli.has_indirect_call, 0
	.section	.AMDGPU.csdata,"",@progbits
; Kernel info:
; codeLenInByte = 3496
; TotalNumSgprs: 58
; NumVgprs: 68
; NumAgprs: 0
; TotalNumVgprs: 68
; ScratchSize: 0
; MemoryBound: 0
; FloatMode: 240
; IeeeMode: 1
; LDSByteSize: 8192 bytes/workgroup (compile time only)
; SGPRBlocks: 7
; VGPRBlocks: 8
; NumSGPRsForWavesPerEU: 58
; NumVGPRsForWavesPerEU: 68
; AccumOffset: 68
; Occupancy: 7
; WaveLimiterHint : 0
; COMPUTE_PGM_RSRC2:SCRATCH_EN: 0
; COMPUTE_PGM_RSRC2:USER_SGPR: 2
; COMPUTE_PGM_RSRC2:TRAP_HANDLER: 0
; COMPUTE_PGM_RSRC2:TGID_X_EN: 1
; COMPUTE_PGM_RSRC2:TGID_Y_EN: 1
; COMPUTE_PGM_RSRC2:TGID_Z_EN: 1
; COMPUTE_PGM_RSRC2:TIDIG_COMP_CNT: 1
; COMPUTE_PGM_RSRC3_GFX90A:ACCUM_OFFSET: 16
; COMPUTE_PGM_RSRC3_GFX90A:TG_SPLIT: 0
	.section	.text._ZN12_GLOBAL__N_135rocblas_gemm_batched_general_kernelI19rocblas_complex_numIdELi16ELi16ELi32ELi32ELi8ELi32ELi8ELi8ELi32ELc78ELc84EKS2_S3_S2_EEvlllT_PT11_llS6_llS4_PT12_llPT13_lli,"axG",@progbits,_ZN12_GLOBAL__N_135rocblas_gemm_batched_general_kernelI19rocblas_complex_numIdELi16ELi16ELi32ELi32ELi8ELi32ELi8ELi8ELi32ELc78ELc84EKS2_S3_S2_EEvlllT_PT11_llS6_llS4_PT12_llPT13_lli,comdat
	.globl	_ZN12_GLOBAL__N_135rocblas_gemm_batched_general_kernelI19rocblas_complex_numIdELi16ELi16ELi32ELi32ELi8ELi32ELi8ELi8ELi32ELc78ELc84EKS2_S3_S2_EEvlllT_PT11_llS6_llS4_PT12_llPT13_lli ; -- Begin function _ZN12_GLOBAL__N_135rocblas_gemm_batched_general_kernelI19rocblas_complex_numIdELi16ELi16ELi32ELi32ELi8ELi32ELi8ELi8ELi32ELc78ELc84EKS2_S3_S2_EEvlllT_PT11_llS6_llS4_PT12_llPT13_lli
	.p2align	8
	.type	_ZN12_GLOBAL__N_135rocblas_gemm_batched_general_kernelI19rocblas_complex_numIdELi16ELi16ELi32ELi32ELi8ELi32ELi8ELi8ELi32ELc78ELc84EKS2_S3_S2_EEvlllT_PT11_llS6_llS4_PT12_llPT13_lli,@function
_ZN12_GLOBAL__N_135rocblas_gemm_batched_general_kernelI19rocblas_complex_numIdELi16ELi16ELi32ELi32ELi8ELi32ELi8ELi8ELi32ELc78ELc84EKS2_S3_S2_EEvlllT_PT11_llS6_llS4_PT12_llPT13_lli: ; @_ZN12_GLOBAL__N_135rocblas_gemm_batched_general_kernelI19rocblas_complex_numIdELi16ELi16ELi32ELi32ELi8ELi32ELi8ELi8ELi32ELc78ELc84EKS2_S3_S2_EEvlllT_PT11_llS6_llS4_PT12_llPT13_lli
; %bb.0:
	s_load_dwordx16 s[36:51], s[0:1], 0x0
	s_load_dwordx16 s[8:23], s[0:1], 0x40
	s_mov_b32 s28, s3
	v_mov_b32_e32 v1, 0
	s_ashr_i32 s3, s2, 31
	s_ashr_i32 s29, s28, 31
	s_waitcnt lgkmcnt(0)
	v_cmp_lt_i64_e64 s[6:7], s[40:41], 1
	v_and_b32_e32 v2, 0x3ff, v0
	v_bfe_u32 v0, v0, 10, 10
	v_mov_b32_e32 v3, v1
	s_lshl_b64 s[24:25], s[2:3], 5
	s_lshl_b64 s[26:27], s[28:29], 5
	s_and_b64 vcc, exec, s[6:7]
	s_cbranch_vccnz .LBB138_11
; %bb.1:
	v_lshl_add_u32 v12, v0, 4, v2
	v_lshrrev_b32_e32 v8, 3, v12
	v_mov_b32_e32 v9, v1
	v_and_b32_e32 v6, 7, v2
	v_lshl_add_u64 v[10:11], v[8:9], 0, s[26:27]
	v_and_b32_e32 v9, 31, v12
	s_mul_i32 s5, s13, s4
	s_mul_hi_u32 s13, s12, s4
	v_lshrrev_b32_e32 v4, 5, v12
	v_or_b32_e32 v12, s24, v9
	v_mov_b32_e32 v13, s25
	v_cmp_gt_i64_e64 s[6:7], s[38:39], v[10:11]
	s_add_i32 s13, s13, s5
	s_mul_i32 s12, s12, s4
	v_mad_u64_u32 v[10:11], s[30:31], s10, v6, 0
	v_cmp_gt_i64_e32 vcc, s[36:37], v[12:13]
	v_lshlrev_b32_e32 v12, 4, v9
	v_lshlrev_b32_e32 v9, 4, v6
	s_lshl_b64 s[12:13], s[12:13], 4
	v_mov_b32_e32 v14, v11
	s_lshl_b64 s[28:29], s[28:29], 9
	v_lshl_or_b32 v9, v8, 7, v9
	v_mad_u64_u32 v[14:15], s[30:31], s11, v6, v[14:15]
	s_add_u32 s12, s28, s12
	v_add_u32_e32 v31, 0x1000, v9
	v_mov_b32_e32 v9, 0x1000
	v_mov_b32_e32 v11, v14
	s_addc_u32 s13, s29, s13
	v_lshl_add_u32 v33, v0, 7, v9
	v_lshl_add_u64 v[10:11], v[10:11], 4, s[12:13]
	v_lshlrev_b32_e32 v8, 4, v8
	v_mov_b32_e32 v9, v1
	v_lshl_add_u64 v[8:9], v[10:11], 0, v[8:9]
	v_lshl_add_u64 v[8:9], s[8:9], 0, v[8:9]
	s_lshl_b64 s[8:9], s[10:11], 7
	v_mad_u64_u32 v[10:11], s[10:11], s48, v4, 0
	v_mov_b32_e32 v14, v11
	v_mad_u64_u32 v[14:15], s[10:11], s49, v4, v[14:15]
	s_mul_i32 s5, s51, s4
	s_mul_hi_u32 s10, s50, s4
	s_add_i32 s11, s10, s5
	s_mul_i32 s10, s50, s4
	s_lshl_b64 s[10:11], s[10:11], 4
	s_lshl_b64 s[2:3], s[2:3], 9
	s_add_u32 s2, s2, s10
	v_mov_b32_e32 v11, v14
	s_addc_u32 s3, s3, s11
	v_lshl_add_u64 v[10:11], v[10:11], 4, s[2:3]
	v_mov_b32_e32 v13, v1
	v_lshl_add_u64 v[10:11], v[10:11], 0, v[12:13]
	v_mov_b32_e32 v5, v1
	v_mov_b32_e32 v7, v1
	v_lshl_or_b32 v30, v4, 9, v12
	v_lshlrev_b32_e32 v32, 4, v2
	v_lshl_add_u64 v[10:11], s[46:47], 0, v[10:11]
	s_lshl_b64 s[2:3], s[48:49], 7
	s_mov_b64 s[10:11], 0
	v_mov_b64_e32 v[14:15], 0
	s_xor_b64 s[12:13], vcc, -1
	s_xor_b64 s[6:7], s[6:7], -1
	v_mov_b64_e32 v[12:13], s[40:41]
	v_mov_b32_e32 v34, v1
	v_mov_b32_e32 v35, v1
	;; [unrolled: 1-line block ×4, first 2 shown]
	v_mov_b64_e32 v[16:17], 0
	v_mov_b64_e32 v[20:21], 0
	;; [unrolled: 1-line block ×7, first 2 shown]
	s_branch .LBB138_3
.LBB138_2:                              ;   in Loop: Header=BB138_3 Depth=1
	s_or_b64 exec, exec, s[28:29]
	s_waitcnt lgkmcnt(0)
	s_barrier
	ds_read_b128 v[38:41], v32
	ds_read_b128 v[42:45], v33
	ds_read_b128 v[46:49], v33 offset:16
	ds_read_b128 v[50:53], v33 offset:32
	;; [unrolled: 1-line block ×4, first 2 shown]
	s_waitcnt lgkmcnt(4)
	v_mul_f64 v[62:63], v[44:45], v[40:41]
	v_fma_f64 v[62:63], v[42:43], v[38:39], -v[62:63]
	v_mul_f64 v[64:65], v[42:43], v[40:41]
	v_fmac_f64_e32 v[64:65], v[44:45], v[38:39]
	v_add_f64 v[62:63], v[26:27], v[62:63]
	s_waitcnt lgkmcnt(0)
	v_mul_f64 v[26:27], v[44:45], v[60:61]
	v_add_f64 v[64:65], v[64:65], v[28:29]
	v_fma_f64 v[66:67], v[42:43], v[58:59], -v[26:27]
	ds_read_b128 v[26:29], v33 offset:2048
	v_mul_f64 v[42:43], v[42:43], v[60:61]
	v_fmac_f64_e32 v[42:43], v[44:45], v[58:59]
	v_add_f64 v[44:45], v[22:23], v[66:67]
	v_add_f64 v[42:43], v[42:43], v[24:25]
	ds_read_b128 v[22:25], v33 offset:2064
	s_waitcnt lgkmcnt(1)
	v_mul_f64 v[66:67], v[28:29], v[40:41]
	v_fma_f64 v[66:67], v[26:27], v[38:39], -v[66:67]
	v_mul_f64 v[40:41], v[26:27], v[40:41]
	v_fmac_f64_e32 v[40:41], v[28:29], v[38:39]
	v_add_f64 v[38:39], v[18:19], v[66:67]
	v_mul_f64 v[18:19], v[28:29], v[60:61]
	v_add_f64 v[40:41], v[40:41], v[20:21]
	v_fma_f64 v[66:67], v[26:27], v[58:59], -v[18:19]
	v_mul_f64 v[26:27], v[26:27], v[60:61]
	ds_read_b128 v[18:21], v32 offset:512
	v_fmac_f64_e32 v[26:27], v[28:29], v[58:59]
	v_add_f64 v[28:29], v[16:17], v[66:67]
	v_add_f64 v[26:27], v[26:27], v[14:15]
	ds_read_b128 v[14:17], v32 offset:768
	s_waitcnt lgkmcnt(1)
	v_mul_f64 v[58:59], v[48:49], v[20:21]
	v_fma_f64 v[58:59], v[46:47], v[18:19], -v[58:59]
	v_add_f64 v[58:59], v[62:63], v[58:59]
	v_mul_f64 v[60:61], v[46:47], v[20:21]
	s_waitcnt lgkmcnt(0)
	v_mul_f64 v[62:63], v[48:49], v[16:17]
	v_fma_f64 v[62:63], v[46:47], v[14:15], -v[62:63]
	v_mul_f64 v[46:47], v[46:47], v[16:17]
	v_fmac_f64_e32 v[46:47], v[48:49], v[14:15]
	v_add_f64 v[42:43], v[46:47], v[42:43]
	v_mul_f64 v[46:47], v[24:25], v[20:21]
	v_mul_f64 v[20:21], v[22:23], v[20:21]
	v_fmac_f64_e32 v[60:61], v[48:49], v[18:19]
	v_fma_f64 v[46:47], v[22:23], v[18:19], -v[46:47]
	v_fmac_f64_e32 v[20:21], v[24:25], v[18:19]
	v_mul_f64 v[18:19], v[24:25], v[16:17]
	v_add_f64 v[48:49], v[20:21], v[40:41]
	v_fma_f64 v[20:21], v[22:23], v[14:15], -v[18:19]
	v_mul_f64 v[22:23], v[22:23], v[16:17]
	ds_read_b128 v[16:19], v32 offset:1024
	v_fmac_f64_e32 v[22:23], v[24:25], v[14:15]
	v_add_f64 v[44:45], v[44:45], v[62:63]
	v_add_f64 v[28:29], v[28:29], v[20:21]
	;; [unrolled: 1-line block ×3, first 2 shown]
	ds_read_b128 v[20:23], v32 offset:1280
	s_waitcnt lgkmcnt(1)
	v_mul_f64 v[24:25], v[50:51], v[18:19]
	v_add_f64 v[60:61], v[60:61], v[64:65]
	v_fmac_f64_e32 v[24:25], v[52:53], v[16:17]
	v_add_f64 v[60:61], v[24:25], v[60:61]
	ds_read_b128 v[24:27], v33 offset:2080
	v_mul_f64 v[14:15], v[52:53], v[18:19]
	v_fma_f64 v[14:15], v[50:51], v[16:17], -v[14:15]
	v_add_f64 v[46:47], v[38:39], v[46:47]
	v_add_f64 v[58:59], v[58:59], v[14:15]
	s_waitcnt lgkmcnt(1)
	v_mul_f64 v[14:15], v[52:53], v[22:23]
	v_mul_f64 v[38:39], v[50:51], v[22:23]
	v_fma_f64 v[14:15], v[50:51], v[20:21], -v[14:15]
	v_fmac_f64_e32 v[38:39], v[52:53], v[20:21]
	v_add_f64 v[44:45], v[44:45], v[14:15]
	v_add_f64 v[42:43], v[38:39], v[42:43]
	ds_read_b128 v[38:41], v33 offset:2096
	s_waitcnt lgkmcnt(1)
	v_mul_f64 v[14:15], v[26:27], v[18:19]
	v_fma_f64 v[14:15], v[24:25], v[16:17], -v[14:15]
	v_mul_f64 v[18:19], v[24:25], v[18:19]
	v_fmac_f64_e32 v[18:19], v[26:27], v[16:17]
	v_add_f64 v[46:47], v[46:47], v[14:15]
	v_mul_f64 v[14:15], v[26:27], v[22:23]
	v_add_f64 v[48:49], v[18:19], v[48:49]
	v_fma_f64 v[18:19], v[24:25], v[20:21], -v[14:15]
	ds_read_b128 v[14:17], v32 offset:1536
	v_mul_f64 v[22:23], v[24:25], v[22:23]
	v_fmac_f64_e32 v[22:23], v[26:27], v[20:21]
	v_add_f64 v[24:25], v[28:29], v[18:19]
	ds_read_b128 v[18:21], v32 offset:1792
	s_waitcnt lgkmcnt(1)
	v_mul_f64 v[26:27], v[56:57], v[16:17]
	v_fma_f64 v[26:27], v[54:55], v[14:15], -v[26:27]
	v_mul_f64 v[28:29], v[54:55], v[16:17]
	v_fmac_f64_e32 v[28:29], v[56:57], v[14:15]
	v_add_f64 v[50:51], v[58:59], v[26:27]
	s_waitcnt lgkmcnt(0)
	v_mul_f64 v[26:27], v[56:57], v[20:21]
	v_add_f64 v[52:53], v[28:29], v[60:61]
	v_fma_f64 v[26:27], v[54:55], v[18:19], -v[26:27]
	v_mul_f64 v[28:29], v[54:55], v[20:21]
	v_fmac_f64_e32 v[28:29], v[56:57], v[18:19]
	v_add_f64 v[44:45], v[44:45], v[26:27]
	v_mul_f64 v[26:27], v[40:41], v[16:17]
	v_mul_f64 v[16:17], v[38:39], v[16:17]
	v_add_f64 v[42:43], v[28:29], v[42:43]
	v_fma_f64 v[26:27], v[38:39], v[14:15], -v[26:27]
	v_fmac_f64_e32 v[16:17], v[40:41], v[14:15]
	v_mul_f64 v[14:15], v[40:41], v[20:21]
	v_mul_f64 v[28:29], v[38:39], v[20:21]
	v_add_f64 v[46:47], v[46:47], v[26:27]
	v_add_f64 v[48:49], v[16:17], v[48:49]
	v_fma_f64 v[26:27], v[38:39], v[18:19], -v[14:15]
	v_fmac_f64_e32 v[28:29], v[40:41], v[18:19]
	ds_read_b128 v[14:17], v33 offset:64
	ds_read_b128 v[18:21], v32 offset:2048
	v_add_f64 v[22:23], v[22:23], v[62:63]
	v_add_f64 v[54:55], v[24:25], v[26:27]
	v_add_f64 v[56:57], v[28:29], v[22:23]
	ds_read_b128 v[22:25], v32 offset:2304
	ds_read_b128 v[26:29], v33 offset:80
	s_waitcnt lgkmcnt(2)
	v_mul_f64 v[38:39], v[16:17], v[20:21]
	v_fma_f64 v[38:39], v[14:15], v[18:19], -v[38:39]
	v_mul_f64 v[40:41], v[14:15], v[20:21]
	v_fmac_f64_e32 v[40:41], v[16:17], v[18:19]
	v_add_f64 v[50:51], v[50:51], v[38:39]
	s_waitcnt lgkmcnt(1)
	v_mul_f64 v[38:39], v[16:17], v[24:25]
	v_add_f64 v[52:53], v[40:41], v[52:53]
	v_fma_f64 v[58:59], v[14:15], v[22:23], -v[38:39]
	ds_read_b128 v[38:41], v33 offset:2112
	v_mul_f64 v[14:15], v[14:15], v[24:25]
	v_fmac_f64_e32 v[14:15], v[16:17], v[22:23]
	v_add_f64 v[44:45], v[44:45], v[58:59]
	v_add_f64 v[42:43], v[14:15], v[42:43]
	ds_read_b128 v[14:17], v33 offset:2128
	s_waitcnt lgkmcnt(1)
	v_mul_f64 v[58:59], v[40:41], v[20:21]
	v_mul_f64 v[20:21], v[38:39], v[20:21]
	v_fma_f64 v[58:59], v[38:39], v[18:19], -v[58:59]
	v_fmac_f64_e32 v[20:21], v[40:41], v[18:19]
	v_mul_f64 v[18:19], v[40:41], v[24:25]
	v_add_f64 v[46:47], v[46:47], v[58:59]
	v_add_f64 v[48:49], v[20:21], v[48:49]
	v_fma_f64 v[58:59], v[38:39], v[22:23], -v[18:19]
	v_mul_f64 v[24:25], v[38:39], v[24:25]
	ds_read_b128 v[18:21], v32 offset:2560
	v_fmac_f64_e32 v[24:25], v[40:41], v[22:23]
	v_add_f64 v[40:41], v[24:25], v[56:57]
	ds_read_b128 v[22:25], v32 offset:2816
	v_add_f64 v[38:39], v[54:55], v[58:59]
	s_waitcnt lgkmcnt(1)
	v_mul_f64 v[54:55], v[28:29], v[20:21]
	v_fma_f64 v[54:55], v[26:27], v[18:19], -v[54:55]
	v_add_f64 v[50:51], v[50:51], v[54:55]
	s_waitcnt lgkmcnt(0)
	v_mul_f64 v[54:55], v[28:29], v[24:25]
	v_mul_f64 v[56:57], v[26:27], v[20:21]
	v_fma_f64 v[54:55], v[26:27], v[22:23], -v[54:55]
	v_mul_f64 v[26:27], v[26:27], v[24:25]
	v_fmac_f64_e32 v[26:27], v[28:29], v[22:23]
	v_add_f64 v[42:43], v[26:27], v[42:43]
	v_mul_f64 v[26:27], v[16:17], v[20:21]
	v_mul_f64 v[20:21], v[14:15], v[20:21]
	v_fmac_f64_e32 v[56:57], v[28:29], v[18:19]
	v_fma_f64 v[26:27], v[14:15], v[18:19], -v[26:27]
	v_fmac_f64_e32 v[20:21], v[16:17], v[18:19]
	v_mul_f64 v[18:19], v[16:17], v[24:25]
	v_mul_f64 v[24:25], v[14:15], v[24:25]
	v_add_f64 v[46:47], v[46:47], v[26:27]
	v_add_f64 v[48:49], v[20:21], v[48:49]
	v_fma_f64 v[26:27], v[14:15], v[22:23], -v[18:19]
	v_fmac_f64_e32 v[24:25], v[16:17], v[22:23]
	ds_read_b128 v[14:17], v33 offset:96
	ds_read_b128 v[18:21], v32 offset:3072
	v_add_f64 v[52:53], v[56:57], v[52:53]
	v_add_f64 v[44:45], v[44:45], v[54:55]
	;; [unrolled: 1-line block ×4, first 2 shown]
	ds_read_b128 v[22:25], v32 offset:3328
	ds_read_b128 v[38:41], v33 offset:112
	s_waitcnt lgkmcnt(2)
	v_mul_f64 v[26:27], v[16:17], v[20:21]
	v_fma_f64 v[26:27], v[14:15], v[18:19], -v[26:27]
	v_mul_f64 v[28:29], v[14:15], v[20:21]
	v_fmac_f64_e32 v[28:29], v[16:17], v[18:19]
	v_add_f64 v[50:51], v[50:51], v[26:27]
	s_waitcnt lgkmcnt(1)
	v_mul_f64 v[26:27], v[16:17], v[24:25]
	v_add_f64 v[52:53], v[28:29], v[52:53]
	v_fma_f64 v[58:59], v[14:15], v[22:23], -v[26:27]
	ds_read_b128 v[26:29], v33 offset:2144
	v_mul_f64 v[14:15], v[14:15], v[24:25]
	v_fmac_f64_e32 v[14:15], v[16:17], v[22:23]
	v_add_f64 v[60:61], v[14:15], v[42:43]
	ds_read_b128 v[14:17], v33 offset:2160
	s_waitcnt lgkmcnt(1)
	v_mul_f64 v[42:43], v[28:29], v[20:21]
	v_mul_f64 v[20:21], v[26:27], v[20:21]
	v_fma_f64 v[42:43], v[26:27], v[18:19], -v[42:43]
	v_fmac_f64_e32 v[20:21], v[28:29], v[18:19]
	v_mul_f64 v[18:19], v[28:29], v[24:25]
	v_add_f64 v[46:47], v[46:47], v[42:43]
	v_add_f64 v[48:49], v[20:21], v[48:49]
	v_fma_f64 v[42:43], v[26:27], v[22:23], -v[18:19]
	ds_read_b128 v[18:21], v32 offset:3584
	v_add_f64 v[58:59], v[44:45], v[58:59]
	v_add_f64 v[54:55], v[54:55], v[42:43]
	ds_read_b128 v[42:45], v32 offset:3840
	v_mul_f64 v[24:25], v[26:27], v[24:25]
	v_fmac_f64_e32 v[24:25], v[28:29], v[22:23]
	s_waitcnt lgkmcnt(1)
	v_mul_f64 v[22:23], v[40:41], v[20:21]
	v_add_f64 v[56:57], v[24:25], v[56:57]
	v_fma_f64 v[22:23], v[38:39], v[18:19], -v[22:23]
	v_mul_f64 v[24:25], v[38:39], v[20:21]
	v_fmac_f64_e32 v[24:25], v[40:41], v[18:19]
	v_add_f64 v[26:27], v[50:51], v[22:23]
	s_waitcnt lgkmcnt(0)
	v_mul_f64 v[22:23], v[40:41], v[44:45]
	v_add_f64 v[28:29], v[24:25], v[52:53]
	v_fma_f64 v[22:23], v[38:39], v[42:43], -v[22:23]
	v_mul_f64 v[24:25], v[38:39], v[44:45]
	v_mul_f64 v[38:39], v[16:17], v[20:21]
	v_fma_f64 v[38:39], v[14:15], v[18:19], -v[38:39]
	v_mul_f64 v[20:21], v[14:15], v[20:21]
	v_fmac_f64_e32 v[20:21], v[16:17], v[18:19]
	v_add_f64 v[18:19], v[46:47], v[38:39]
	v_mul_f64 v[38:39], v[16:17], v[44:45]
	s_add_u32 s10, s10, 8
	v_fma_f64 v[38:39], v[14:15], v[42:43], -v[38:39]
	v_mul_f64 v[14:15], v[14:15], v[44:45]
	s_addc_u32 s11, s11, 0
	v_fmac_f64_e32 v[24:25], v[40:41], v[42:43]
	v_fmac_f64_e32 v[14:15], v[16:17], v[42:43]
	v_cmp_lt_i64_e32 vcc, s[10:11], v[12:13]
	v_add_f64 v[22:23], v[58:59], v[22:23]
	v_add_f64 v[24:25], v[24:25], v[60:61]
	;; [unrolled: 1-line block ×5, first 2 shown]
	v_lshl_add_u64 v[8:9], v[8:9], 0, s[8:9]
	v_lshl_add_u64 v[10:11], v[10:11], 0, s[2:3]
	s_barrier
	s_cbranch_vccz .LBB138_12
.LBB138_3:                              ; =>This Inner Loop Header: Depth=1
	v_lshl_add_u64 v[38:39], v[4:5], 0, s[10:11]
	v_cmp_le_i64_e32 vcc, s[40:41], v[38:39]
	s_or_b64 s[28:29], s[12:13], vcc
	s_and_saveexec_b64 s[30:31], s[28:29]
	s_xor_b64 s[28:29], exec, s[30:31]
; %bb.4:                                ;   in Loop: Header=BB138_3 Depth=1
	ds_write_b128 v30, v[34:37]
; %bb.5:                                ;   in Loop: Header=BB138_3 Depth=1
	s_andn2_saveexec_b64 s[28:29], s[28:29]
	s_cbranch_execz .LBB138_7
; %bb.6:                                ;   in Loop: Header=BB138_3 Depth=1
	global_load_dwordx4 v[38:41], v[10:11], off
	s_waitcnt vmcnt(0)
	ds_write2_b64 v30, v[38:39], v[40:41] offset1:1
.LBB138_7:                              ;   in Loop: Header=BB138_3 Depth=1
	s_or_b64 exec, exec, s[28:29]
	v_lshl_add_u64 v[38:39], v[6:7], 0, s[10:11]
	v_cmp_le_i64_e32 vcc, s[40:41], v[38:39]
	s_or_b64 s[28:29], vcc, s[6:7]
	s_and_saveexec_b64 s[30:31], s[28:29]
	s_xor_b64 s[28:29], exec, s[30:31]
; %bb.8:                                ;   in Loop: Header=BB138_3 Depth=1
	ds_write_b128 v31, v[34:37]
; %bb.9:                                ;   in Loop: Header=BB138_3 Depth=1
	s_andn2_saveexec_b64 s[28:29], s[28:29]
	s_cbranch_execz .LBB138_2
; %bb.10:                               ;   in Loop: Header=BB138_3 Depth=1
	global_load_dwordx4 v[38:41], v[8:9], off
	s_waitcnt vmcnt(0)
	ds_write2_b64 v31, v[38:39], v[40:41] offset1:1
	s_branch .LBB138_2
.LBB138_11:
	v_mov_b64_e32 v[26:27], 0
	v_mov_b64_e32 v[28:29], 0
	;; [unrolled: 1-line block ×8, first 2 shown]
.LBB138_12:
	s_load_dwordx2 s[2:3], s[0:1], 0x90
	s_load_dwordx4 s[8:11], s[0:1], 0x80
	v_lshl_add_u64 v[0:1], s[26:27], 0, v[0:1]
	s_waitcnt lgkmcnt(0)
	s_mul_i32 s1, s3, s4
	s_mul_hi_u32 s3, s2, s4
	s_mul_i32 s0, s2, s4
	s_add_i32 s1, s3, s1
	s_lshl_b64 s[0:1], s[0:1], 4
	s_add_u32 s8, s8, s0
	s_addc_u32 s9, s9, s1
	v_cmp_neq_f64_e64 s[0:1], s[14:15], 0
	v_cmp_neq_f64_e64 s[2:3], s[16:17], 0
	s_or_b64 s[6:7], s[0:1], s[2:3]
	v_cmp_gt_i64_e64 s[0:1], s[38:39], v[0:1]
	s_mov_b64 s[2:3], -1
	s_and_b64 vcc, exec, s[6:7]
	s_cbranch_vccnz .LBB138_24
; %bb.13:
	s_and_saveexec_b64 s[12:13], s[0:1]
	s_cbranch_execz .LBB138_23
; %bb.14:
	v_mul_lo_u32 v8, v1, s10
	v_mul_lo_u32 v9, v0, s11
	v_mad_u64_u32 v[6:7], s[2:3], v0, s10, 0
	v_add3_u32 v7, v7, v9, v8
	v_lshl_add_u64 v[4:5], s[24:25], 0, v[2:3]
	v_lshl_add_u64 v[6:7], v[6:7], 4, s[8:9]
	v_cmp_gt_i64_e32 vcc, s[36:37], v[4:5]
	v_lshl_add_u64 v[8:9], v[4:5], 4, v[6:7]
	s_and_saveexec_b64 s[2:3], vcc
	s_cbranch_execz .LBB138_16
; %bb.15:
	v_mul_f64 v[10:11], s[44:45], v[28:29]
	v_mul_f64 v[12:13], s[42:43], v[28:29]
	v_fma_f64 v[10:11], s[42:43], v[26:27], -v[10:11]
	v_fmac_f64_e32 v[12:13], s[44:45], v[26:27]
	global_store_dwordx4 v[8:9], v[10:13], off
.LBB138_16:
	s_or_b64 exec, exec, s[2:3]
	s_nop 0
	v_lshl_add_u64 v[10:11], v[4:5], 0, 16
	v_cmp_gt_i64_e64 s[2:3], s[36:37], v[10:11]
	s_and_saveexec_b64 s[6:7], s[2:3]
	s_cbranch_execz .LBB138_18
; %bb.17:
	v_mul_f64 v[10:11], s[44:45], v[24:25]
	v_mul_f64 v[12:13], s[42:43], v[24:25]
	v_fma_f64 v[10:11], s[42:43], v[22:23], -v[10:11]
	v_fmac_f64_e32 v[12:13], s[44:45], v[22:23]
	global_store_dwordx4 v[8:9], v[10:13], off offset:256
.LBB138_18:
	s_or_b64 exec, exec, s[6:7]
	v_lshl_add_u64 v[8:9], v[0:1], 0, 16
	v_cmp_gt_i64_e64 s[6:7], s[38:39], v[8:9]
	s_and_b64 exec, exec, s[6:7]
	s_cbranch_execz .LBB138_23
; %bb.19:
	s_lshl_b64 s[6:7], s[10:11], 8
	v_lshl_add_u64 v[6:7], v[6:7], 0, s[6:7]
	v_lshl_add_u64 v[4:5], v[4:5], 4, v[6:7]
	s_and_saveexec_b64 s[6:7], vcc
	s_cbranch_execz .LBB138_21
; %bb.20:
	v_mul_f64 v[6:7], s[44:45], v[20:21]
	v_mul_f64 v[8:9], s[42:43], v[20:21]
	v_fma_f64 v[6:7], s[42:43], v[18:19], -v[6:7]
	v_fmac_f64_e32 v[8:9], s[44:45], v[18:19]
	global_store_dwordx4 v[4:5], v[6:9], off
.LBB138_21:
	s_or_b64 exec, exec, s[6:7]
	s_and_b64 exec, exec, s[2:3]
	s_cbranch_execz .LBB138_23
; %bb.22:
	v_mul_f64 v[6:7], s[44:45], v[14:15]
	v_mul_f64 v[8:9], s[42:43], v[14:15]
	v_fma_f64 v[6:7], s[42:43], v[16:17], -v[6:7]
	v_fmac_f64_e32 v[8:9], s[44:45], v[16:17]
	global_store_dwordx4 v[4:5], v[6:9], off offset:256
.LBB138_23:
	s_or_b64 exec, exec, s[12:13]
	s_mov_b64 s[2:3], 0
.LBB138_24:
	s_andn2_b64 vcc, exec, s[2:3]
	s_cbranch_vccnz .LBB138_35
; %bb.25:
	s_and_saveexec_b64 s[2:3], s[0:1]
	s_cbranch_execz .LBB138_35
; %bb.26:
	s_mul_i32 s0, s23, s4
	s_mul_hi_u32 s1, s22, s4
	s_add_i32 s1, s1, s0
	s_mul_i32 s0, s22, s4
	s_lshl_b64 s[0:1], s[0:1], 4
	v_lshl_add_u64 v[8:9], s[24:25], 0, v[2:3]
	v_mul_lo_u32 v4, v1, s20
	v_mul_lo_u32 v5, v0, s21
	v_mad_u64_u32 v[2:3], s[2:3], v0, s20, 0
	s_add_u32 s0, s18, s0
	v_add3_u32 v3, v3, v5, v4
	v_mul_lo_u32 v6, v1, s10
	v_mul_lo_u32 v7, v0, s11
	v_mad_u64_u32 v[4:5], s[2:3], v0, s10, 0
	s_addc_u32 s1, s19, s1
	v_add3_u32 v5, v5, v7, v6
	v_cmp_gt_i64_e32 vcc, s[36:37], v[8:9]
	v_lshl_add_u64 v[6:7], v[2:3], 4, s[0:1]
	v_lshl_add_u64 v[4:5], v[4:5], 4, s[8:9]
	v_lshlrev_b64 v[2:3], 4, v[8:9]
	s_and_saveexec_b64 s[0:1], vcc
	s_cbranch_execz .LBB138_28
; %bb.27:
	v_lshl_add_u64 v[10:11], v[6:7], 0, v[2:3]
	global_load_dwordx4 v[10:13], v[10:11], off
	v_mul_f64 v[30:31], s[44:45], v[28:29]
	v_mul_f64 v[28:29], s[42:43], v[28:29]
	v_fma_f64 v[30:31], s[42:43], v[26:27], -v[30:31]
	v_fmac_f64_e32 v[28:29], s[44:45], v[26:27]
	s_waitcnt vmcnt(0)
	v_mul_f64 v[26:27], s[16:17], v[12:13]
	v_mul_f64 v[12:13], s[14:15], v[12:13]
	v_fma_f64 v[26:27], s[14:15], v[10:11], -v[26:27]
	v_fmac_f64_e32 v[12:13], s[16:17], v[10:11]
	v_add_f64 v[10:11], v[30:31], v[26:27]
	v_add_f64 v[12:13], v[28:29], v[12:13]
	v_lshl_add_u64 v[26:27], v[4:5], 0, v[2:3]
	global_store_dwordx4 v[26:27], v[10:13], off
.LBB138_28:
	s_or_b64 exec, exec, s[0:1]
	v_lshl_add_u64 v[8:9], v[8:9], 0, 16
	v_cmp_gt_i64_e64 s[0:1], s[36:37], v[8:9]
	s_and_saveexec_b64 s[2:3], s[0:1]
	s_cbranch_execz .LBB138_30
; %bb.29:
	v_lshl_add_u64 v[8:9], v[6:7], 0, v[2:3]
	global_load_dwordx4 v[8:11], v[8:9], off offset:256
	v_mul_f64 v[12:13], s[44:45], v[24:25]
	v_mul_f64 v[24:25], s[42:43], v[24:25]
	v_fma_f64 v[12:13], s[42:43], v[22:23], -v[12:13]
	v_fmac_f64_e32 v[24:25], s[44:45], v[22:23]
	s_waitcnt vmcnt(0)
	v_mul_f64 v[22:23], s[16:17], v[10:11]
	v_mul_f64 v[10:11], s[14:15], v[10:11]
	v_fma_f64 v[22:23], s[14:15], v[8:9], -v[22:23]
	v_fmac_f64_e32 v[10:11], s[16:17], v[8:9]
	v_add_f64 v[8:9], v[12:13], v[22:23]
	v_add_f64 v[10:11], v[24:25], v[10:11]
	v_lshl_add_u64 v[12:13], v[4:5], 0, v[2:3]
	global_store_dwordx4 v[12:13], v[8:11], off offset:256
.LBB138_30:
	s_or_b64 exec, exec, s[2:3]
	v_lshl_add_u64 v[0:1], v[0:1], 0, 16
	v_cmp_gt_i64_e64 s[2:3], s[38:39], v[0:1]
	s_and_b64 exec, exec, s[2:3]
	s_cbranch_execz .LBB138_35
; %bb.31:
	s_lshl_b64 s[2:3], s[20:21], 8
	v_lshl_add_u64 v[0:1], v[6:7], 0, s[2:3]
	s_lshl_b64 s[2:3], s[10:11], 8
	v_lshl_add_u64 v[6:7], v[4:5], 0, s[2:3]
	v_lshl_add_u64 v[4:5], v[0:1], 0, v[2:3]
	;; [unrolled: 1-line block ×3, first 2 shown]
	s_and_saveexec_b64 s[2:3], vcc
	s_cbranch_execz .LBB138_33
; %bb.32:
	global_load_dwordx4 v[6:9], v[4:5], off
	v_mul_f64 v[2:3], s[44:45], v[20:21]
	v_mul_f64 v[10:11], s[42:43], v[20:21]
	v_fma_f64 v[2:3], s[42:43], v[18:19], -v[2:3]
	v_fmac_f64_e32 v[10:11], s[44:45], v[18:19]
	s_waitcnt vmcnt(0)
	v_mul_f64 v[12:13], s[16:17], v[8:9]
	v_mul_f64 v[8:9], s[14:15], v[8:9]
	v_fma_f64 v[12:13], s[14:15], v[6:7], -v[12:13]
	v_fmac_f64_e32 v[8:9], s[16:17], v[6:7]
	v_add_f64 v[6:7], v[2:3], v[12:13]
	v_add_f64 v[8:9], v[10:11], v[8:9]
	global_store_dwordx4 v[0:1], v[6:9], off
.LBB138_33:
	s_or_b64 exec, exec, s[2:3]
	s_and_b64 exec, exec, s[0:1]
	s_cbranch_execz .LBB138_35
; %bb.34:
	global_load_dwordx4 v[2:5], v[4:5], off offset:256
	v_mul_f64 v[6:7], s[44:45], v[14:15]
	v_mul_f64 v[8:9], s[42:43], v[14:15]
	v_fma_f64 v[6:7], s[42:43], v[16:17], -v[6:7]
	v_fmac_f64_e32 v[8:9], s[44:45], v[16:17]
	s_waitcnt vmcnt(0)
	v_mul_f64 v[10:11], s[16:17], v[4:5]
	v_mul_f64 v[4:5], s[14:15], v[4:5]
	v_fma_f64 v[10:11], s[14:15], v[2:3], -v[10:11]
	v_fmac_f64_e32 v[4:5], s[16:17], v[2:3]
	v_add_f64 v[2:3], v[6:7], v[10:11]
	v_add_f64 v[4:5], v[8:9], v[4:5]
	global_store_dwordx4 v[0:1], v[2:5], off offset:256
.LBB138_35:
	s_endpgm
	.section	.rodata,"a",@progbits
	.p2align	6, 0x0
	.amdhsa_kernel _ZN12_GLOBAL__N_135rocblas_gemm_batched_general_kernelI19rocblas_complex_numIdELi16ELi16ELi32ELi32ELi8ELi32ELi8ELi8ELi32ELc78ELc84EKS2_S3_S2_EEvlllT_PT11_llS6_llS4_PT12_llPT13_lli
		.amdhsa_group_segment_fixed_size 8192
		.amdhsa_private_segment_fixed_size 0
		.amdhsa_kernarg_size 156
		.amdhsa_user_sgpr_count 2
		.amdhsa_user_sgpr_dispatch_ptr 0
		.amdhsa_user_sgpr_queue_ptr 0
		.amdhsa_user_sgpr_kernarg_segment_ptr 1
		.amdhsa_user_sgpr_dispatch_id 0
		.amdhsa_user_sgpr_kernarg_preload_length 0
		.amdhsa_user_sgpr_kernarg_preload_offset 0
		.amdhsa_user_sgpr_private_segment_size 0
		.amdhsa_uses_dynamic_stack 0
		.amdhsa_enable_private_segment 0
		.amdhsa_system_sgpr_workgroup_id_x 1
		.amdhsa_system_sgpr_workgroup_id_y 1
		.amdhsa_system_sgpr_workgroup_id_z 1
		.amdhsa_system_sgpr_workgroup_info 0
		.amdhsa_system_vgpr_workitem_id 1
		.amdhsa_next_free_vgpr 68
		.amdhsa_next_free_sgpr 52
		.amdhsa_accum_offset 68
		.amdhsa_reserve_vcc 1
		.amdhsa_float_round_mode_32 0
		.amdhsa_float_round_mode_16_64 0
		.amdhsa_float_denorm_mode_32 3
		.amdhsa_float_denorm_mode_16_64 3
		.amdhsa_dx10_clamp 1
		.amdhsa_ieee_mode 1
		.amdhsa_fp16_overflow 0
		.amdhsa_tg_split 0
		.amdhsa_exception_fp_ieee_invalid_op 0
		.amdhsa_exception_fp_denorm_src 0
		.amdhsa_exception_fp_ieee_div_zero 0
		.amdhsa_exception_fp_ieee_overflow 0
		.amdhsa_exception_fp_ieee_underflow 0
		.amdhsa_exception_fp_ieee_inexact 0
		.amdhsa_exception_int_div_zero 0
	.end_amdhsa_kernel
	.section	.text._ZN12_GLOBAL__N_135rocblas_gemm_batched_general_kernelI19rocblas_complex_numIdELi16ELi16ELi32ELi32ELi8ELi32ELi8ELi8ELi32ELc78ELc84EKS2_S3_S2_EEvlllT_PT11_llS6_llS4_PT12_llPT13_lli,"axG",@progbits,_ZN12_GLOBAL__N_135rocblas_gemm_batched_general_kernelI19rocblas_complex_numIdELi16ELi16ELi32ELi32ELi8ELi32ELi8ELi8ELi32ELc78ELc84EKS2_S3_S2_EEvlllT_PT11_llS6_llS4_PT12_llPT13_lli,comdat
.Lfunc_end138:
	.size	_ZN12_GLOBAL__N_135rocblas_gemm_batched_general_kernelI19rocblas_complex_numIdELi16ELi16ELi32ELi32ELi8ELi32ELi8ELi8ELi32ELc78ELc84EKS2_S3_S2_EEvlllT_PT11_llS6_llS4_PT12_llPT13_lli, .Lfunc_end138-_ZN12_GLOBAL__N_135rocblas_gemm_batched_general_kernelI19rocblas_complex_numIdELi16ELi16ELi32ELi32ELi8ELi32ELi8ELi8ELi32ELc78ELc84EKS2_S3_S2_EEvlllT_PT11_llS6_llS4_PT12_llPT13_lli
                                        ; -- End function
	.set _ZN12_GLOBAL__N_135rocblas_gemm_batched_general_kernelI19rocblas_complex_numIdELi16ELi16ELi32ELi32ELi8ELi32ELi8ELi8ELi32ELc78ELc84EKS2_S3_S2_EEvlllT_PT11_llS6_llS4_PT12_llPT13_lli.num_vgpr, 68
	.set _ZN12_GLOBAL__N_135rocblas_gemm_batched_general_kernelI19rocblas_complex_numIdELi16ELi16ELi32ELi32ELi8ELi32ELi8ELi8ELi32ELc78ELc84EKS2_S3_S2_EEvlllT_PT11_llS6_llS4_PT12_llPT13_lli.num_agpr, 0
	.set _ZN12_GLOBAL__N_135rocblas_gemm_batched_general_kernelI19rocblas_complex_numIdELi16ELi16ELi32ELi32ELi8ELi32ELi8ELi8ELi32ELc78ELc84EKS2_S3_S2_EEvlllT_PT11_llS6_llS4_PT12_llPT13_lli.numbered_sgpr, 52
	.set _ZN12_GLOBAL__N_135rocblas_gemm_batched_general_kernelI19rocblas_complex_numIdELi16ELi16ELi32ELi32ELi8ELi32ELi8ELi8ELi32ELc78ELc84EKS2_S3_S2_EEvlllT_PT11_llS6_llS4_PT12_llPT13_lli.num_named_barrier, 0
	.set _ZN12_GLOBAL__N_135rocblas_gemm_batched_general_kernelI19rocblas_complex_numIdELi16ELi16ELi32ELi32ELi8ELi32ELi8ELi8ELi32ELc78ELc84EKS2_S3_S2_EEvlllT_PT11_llS6_llS4_PT12_llPT13_lli.private_seg_size, 0
	.set _ZN12_GLOBAL__N_135rocblas_gemm_batched_general_kernelI19rocblas_complex_numIdELi16ELi16ELi32ELi32ELi8ELi32ELi8ELi8ELi32ELc78ELc84EKS2_S3_S2_EEvlllT_PT11_llS6_llS4_PT12_llPT13_lli.uses_vcc, 1
	.set _ZN12_GLOBAL__N_135rocblas_gemm_batched_general_kernelI19rocblas_complex_numIdELi16ELi16ELi32ELi32ELi8ELi32ELi8ELi8ELi32ELc78ELc84EKS2_S3_S2_EEvlllT_PT11_llS6_llS4_PT12_llPT13_lli.uses_flat_scratch, 0
	.set _ZN12_GLOBAL__N_135rocblas_gemm_batched_general_kernelI19rocblas_complex_numIdELi16ELi16ELi32ELi32ELi8ELi32ELi8ELi8ELi32ELc78ELc84EKS2_S3_S2_EEvlllT_PT11_llS6_llS4_PT12_llPT13_lli.has_dyn_sized_stack, 0
	.set _ZN12_GLOBAL__N_135rocblas_gemm_batched_general_kernelI19rocblas_complex_numIdELi16ELi16ELi32ELi32ELi8ELi32ELi8ELi8ELi32ELc78ELc84EKS2_S3_S2_EEvlllT_PT11_llS6_llS4_PT12_llPT13_lli.has_recursion, 0
	.set _ZN12_GLOBAL__N_135rocblas_gemm_batched_general_kernelI19rocblas_complex_numIdELi16ELi16ELi32ELi32ELi8ELi32ELi8ELi8ELi32ELc78ELc84EKS2_S3_S2_EEvlllT_PT11_llS6_llS4_PT12_llPT13_lli.has_indirect_call, 0
	.section	.AMDGPU.csdata,"",@progbits
; Kernel info:
; codeLenInByte = 3492
; TotalNumSgprs: 58
; NumVgprs: 68
; NumAgprs: 0
; TotalNumVgprs: 68
; ScratchSize: 0
; MemoryBound: 0
; FloatMode: 240
; IeeeMode: 1
; LDSByteSize: 8192 bytes/workgroup (compile time only)
; SGPRBlocks: 7
; VGPRBlocks: 8
; NumSGPRsForWavesPerEU: 58
; NumVGPRsForWavesPerEU: 68
; AccumOffset: 68
; Occupancy: 7
; WaveLimiterHint : 0
; COMPUTE_PGM_RSRC2:SCRATCH_EN: 0
; COMPUTE_PGM_RSRC2:USER_SGPR: 2
; COMPUTE_PGM_RSRC2:TRAP_HANDLER: 0
; COMPUTE_PGM_RSRC2:TGID_X_EN: 1
; COMPUTE_PGM_RSRC2:TGID_Y_EN: 1
; COMPUTE_PGM_RSRC2:TGID_Z_EN: 1
; COMPUTE_PGM_RSRC2:TIDIG_COMP_CNT: 1
; COMPUTE_PGM_RSRC3_GFX90A:ACCUM_OFFSET: 16
; COMPUTE_PGM_RSRC3_GFX90A:TG_SPLIT: 0
	.section	.text._ZN12_GLOBAL__N_135rocblas_gemm_batched_general_kernelI19rocblas_complex_numIdELi16ELi16ELi32ELi32ELi8ELi32ELi8ELi8ELi32ELc84ELc84EKS2_S3_S2_EEvlllT_PT11_llS6_llS4_PT12_llPT13_lli,"axG",@progbits,_ZN12_GLOBAL__N_135rocblas_gemm_batched_general_kernelI19rocblas_complex_numIdELi16ELi16ELi32ELi32ELi8ELi32ELi8ELi8ELi32ELc84ELc84EKS2_S3_S2_EEvlllT_PT11_llS6_llS4_PT12_llPT13_lli,comdat
	.globl	_ZN12_GLOBAL__N_135rocblas_gemm_batched_general_kernelI19rocblas_complex_numIdELi16ELi16ELi32ELi32ELi8ELi32ELi8ELi8ELi32ELc84ELc84EKS2_S3_S2_EEvlllT_PT11_llS6_llS4_PT12_llPT13_lli ; -- Begin function _ZN12_GLOBAL__N_135rocblas_gemm_batched_general_kernelI19rocblas_complex_numIdELi16ELi16ELi32ELi32ELi8ELi32ELi8ELi8ELi32ELc84ELc84EKS2_S3_S2_EEvlllT_PT11_llS6_llS4_PT12_llPT13_lli
	.p2align	8
	.type	_ZN12_GLOBAL__N_135rocblas_gemm_batched_general_kernelI19rocblas_complex_numIdELi16ELi16ELi32ELi32ELi8ELi32ELi8ELi8ELi32ELc84ELc84EKS2_S3_S2_EEvlllT_PT11_llS6_llS4_PT12_llPT13_lli,@function
_ZN12_GLOBAL__N_135rocblas_gemm_batched_general_kernelI19rocblas_complex_numIdELi16ELi16ELi32ELi32ELi8ELi32ELi8ELi8ELi32ELc84ELc84EKS2_S3_S2_EEvlllT_PT11_llS6_llS4_PT12_llPT13_lli: ; @_ZN12_GLOBAL__N_135rocblas_gemm_batched_general_kernelI19rocblas_complex_numIdELi16ELi16ELi32ELi32ELi8ELi32ELi8ELi8ELi32ELc84ELc84EKS2_S3_S2_EEvlllT_PT11_llS6_llS4_PT12_llPT13_lli
; %bb.0:
	s_load_dwordx16 s[36:51], s[0:1], 0x0
	s_load_dwordx16 s[8:23], s[0:1], 0x40
	s_mov_b32 s26, s3
	s_ashr_i32 s3, s2, 31
	v_mov_b32_e32 v1, 0
	s_lshl_b64 s[24:25], s[2:3], 5
	s_ashr_i32 s27, s26, 31
	s_waitcnt lgkmcnt(0)
	v_cmp_lt_i64_e64 s[2:3], s[40:41], 1
	v_and_b32_e32 v2, 0x3ff, v0
	v_bfe_u32 v0, v0, 10, 10
	v_mov_b32_e32 v3, v1
	s_lshl_b64 s[6:7], s[26:27], 5
	s_and_b64 vcc, exec, s[2:3]
	s_cbranch_vccnz .LBB139_11
; %bb.1:
	v_lshl_add_u32 v12, v0, 4, v2
	v_lshrrev_b32_e32 v8, 3, v12
	v_mov_b32_e32 v9, v1
	v_lshrrev_b32_e32 v4, 5, v12
	v_and_b32_e32 v6, 7, v2
	v_lshl_add_u64 v[10:11], v[8:9], 0, s[6:7]
	v_and_b32_e32 v12, 31, v12
	s_mul_i32 s5, s13, s4
	s_mul_hi_u32 s13, s12, s4
	v_or_b32_e32 v14, s24, v12
	v_mov_b32_e32 v15, s25
	v_lshlrev_b32_e32 v9, 4, v12
	v_cmp_gt_i64_e64 s[2:3], s[38:39], v[10:11]
	s_add_i32 s13, s13, s5
	s_mul_i32 s12, s12, s4
	v_mad_u64_u32 v[10:11], s[28:29], s10, v6, 0
	v_cmp_gt_i64_e32 vcc, s[36:37], v[14:15]
	v_lshl_or_b32 v30, v4, 9, v9
	v_lshlrev_b32_e32 v9, 4, v6
	s_lshl_b64 s[12:13], s[12:13], 4
	v_mov_b32_e32 v14, v11
	s_lshl_b64 s[26:27], s[26:27], 9
	v_lshl_or_b32 v9, v8, 7, v9
	v_mad_u64_u32 v[14:15], s[28:29], s11, v6, v[14:15]
	s_add_u32 s12, s26, s12
	v_add_u32_e32 v31, 0x1000, v9
	v_mov_b32_e32 v9, 0x1000
	v_mov_b32_e32 v11, v14
	s_addc_u32 s13, s27, s13
	v_mov_b32_e32 v13, v1
	v_lshl_add_u32 v33, v0, 7, v9
	v_lshl_add_u64 v[10:11], v[10:11], 4, s[12:13]
	v_lshlrev_b32_e32 v8, 4, v8
	v_mov_b32_e32 v9, v1
	v_lshl_add_u64 v[8:9], v[10:11], 0, v[8:9]
	v_lshl_add_u64 v[10:11], s[24:25], 0, v[12:13]
	;; [unrolled: 1-line block ×3, first 2 shown]
	s_lshl_b64 s[8:9], s[10:11], 7
	v_mul_lo_u32 v12, s49, v10
	v_mul_lo_u32 v13, s48, v11
	v_mad_u64_u32 v[10:11], s[10:11], s48, v10, 0
	s_mul_i32 s5, s51, s4
	s_mul_hi_u32 s10, s50, s4
	s_add_i32 s11, s10, s5
	s_mul_i32 s10, s50, s4
	v_add3_u32 v11, v11, v13, v12
	s_lshl_b64 s[10:11], s[10:11], 4
	v_lshl_add_u64 v[10:11], v[10:11], 4, s[10:11]
	v_lshlrev_b32_e32 v12, 4, v4
	v_mov_b32_e32 v13, v1
	v_lshl_add_u64 v[10:11], v[10:11], 0, v[12:13]
	v_mov_b32_e32 v5, v1
	v_mov_b32_e32 v7, v1
	v_lshlrev_b32_e32 v32, 4, v2
	v_lshl_add_u64 v[10:11], s[46:47], 0, v[10:11]
	s_mov_b64 s[10:11], 0
	v_mov_b64_e32 v[14:15], 0
	s_xor_b64 s[12:13], vcc, -1
	s_xor_b64 s[2:3], s[2:3], -1
	s_mov_b64 s[26:27], 0x80
	v_mov_b64_e32 v[12:13], s[40:41]
	v_mov_b32_e32 v34, v1
	v_mov_b32_e32 v35, v1
	;; [unrolled: 1-line block ×4, first 2 shown]
	v_mov_b64_e32 v[16:17], 0
	v_mov_b64_e32 v[20:21], 0
	v_mov_b64_e32 v[18:19], 0
	v_mov_b64_e32 v[24:25], 0
	v_mov_b64_e32 v[22:23], 0
	v_mov_b64_e32 v[28:29], 0
	v_mov_b64_e32 v[26:27], 0
	s_branch .LBB139_3
.LBB139_2:                              ;   in Loop: Header=BB139_3 Depth=1
	s_or_b64 exec, exec, s[28:29]
	s_waitcnt lgkmcnt(0)
	s_barrier
	ds_read_b128 v[38:41], v32
	ds_read_b128 v[42:45], v33
	ds_read_b128 v[46:49], v33 offset:16
	ds_read_b128 v[50:53], v33 offset:32
	;; [unrolled: 1-line block ×4, first 2 shown]
	s_waitcnt lgkmcnt(4)
	v_mul_f64 v[62:63], v[44:45], v[40:41]
	v_fma_f64 v[62:63], v[42:43], v[38:39], -v[62:63]
	v_mul_f64 v[64:65], v[42:43], v[40:41]
	v_fmac_f64_e32 v[64:65], v[44:45], v[38:39]
	v_add_f64 v[62:63], v[26:27], v[62:63]
	s_waitcnt lgkmcnt(0)
	v_mul_f64 v[26:27], v[44:45], v[60:61]
	v_add_f64 v[64:65], v[64:65], v[28:29]
	v_fma_f64 v[66:67], v[42:43], v[58:59], -v[26:27]
	ds_read_b128 v[26:29], v33 offset:2048
	v_mul_f64 v[42:43], v[42:43], v[60:61]
	v_fmac_f64_e32 v[42:43], v[44:45], v[58:59]
	v_add_f64 v[44:45], v[22:23], v[66:67]
	v_add_f64 v[42:43], v[42:43], v[24:25]
	ds_read_b128 v[22:25], v33 offset:2064
	s_waitcnt lgkmcnt(1)
	v_mul_f64 v[66:67], v[28:29], v[40:41]
	v_fma_f64 v[66:67], v[26:27], v[38:39], -v[66:67]
	v_mul_f64 v[40:41], v[26:27], v[40:41]
	v_fmac_f64_e32 v[40:41], v[28:29], v[38:39]
	v_add_f64 v[38:39], v[18:19], v[66:67]
	v_mul_f64 v[18:19], v[28:29], v[60:61]
	v_add_f64 v[40:41], v[40:41], v[20:21]
	v_fma_f64 v[66:67], v[26:27], v[58:59], -v[18:19]
	v_mul_f64 v[26:27], v[26:27], v[60:61]
	ds_read_b128 v[18:21], v32 offset:512
	v_fmac_f64_e32 v[26:27], v[28:29], v[58:59]
	v_add_f64 v[28:29], v[16:17], v[66:67]
	v_add_f64 v[26:27], v[26:27], v[14:15]
	ds_read_b128 v[14:17], v32 offset:768
	s_waitcnt lgkmcnt(1)
	v_mul_f64 v[58:59], v[48:49], v[20:21]
	v_fma_f64 v[58:59], v[46:47], v[18:19], -v[58:59]
	v_add_f64 v[58:59], v[62:63], v[58:59]
	v_mul_f64 v[60:61], v[46:47], v[20:21]
	s_waitcnt lgkmcnt(0)
	v_mul_f64 v[62:63], v[48:49], v[16:17]
	v_fma_f64 v[62:63], v[46:47], v[14:15], -v[62:63]
	v_mul_f64 v[46:47], v[46:47], v[16:17]
	v_fmac_f64_e32 v[46:47], v[48:49], v[14:15]
	v_add_f64 v[42:43], v[46:47], v[42:43]
	v_mul_f64 v[46:47], v[24:25], v[20:21]
	v_mul_f64 v[20:21], v[22:23], v[20:21]
	v_fmac_f64_e32 v[60:61], v[48:49], v[18:19]
	v_fma_f64 v[46:47], v[22:23], v[18:19], -v[46:47]
	v_fmac_f64_e32 v[20:21], v[24:25], v[18:19]
	v_mul_f64 v[18:19], v[24:25], v[16:17]
	v_add_f64 v[48:49], v[20:21], v[40:41]
	v_fma_f64 v[20:21], v[22:23], v[14:15], -v[18:19]
	v_mul_f64 v[22:23], v[22:23], v[16:17]
	ds_read_b128 v[16:19], v32 offset:1024
	v_fmac_f64_e32 v[22:23], v[24:25], v[14:15]
	v_add_f64 v[44:45], v[44:45], v[62:63]
	v_add_f64 v[28:29], v[28:29], v[20:21]
	;; [unrolled: 1-line block ×3, first 2 shown]
	ds_read_b128 v[20:23], v32 offset:1280
	s_waitcnt lgkmcnt(1)
	v_mul_f64 v[24:25], v[50:51], v[18:19]
	v_add_f64 v[60:61], v[60:61], v[64:65]
	v_fmac_f64_e32 v[24:25], v[52:53], v[16:17]
	v_add_f64 v[60:61], v[24:25], v[60:61]
	ds_read_b128 v[24:27], v33 offset:2080
	v_mul_f64 v[14:15], v[52:53], v[18:19]
	v_fma_f64 v[14:15], v[50:51], v[16:17], -v[14:15]
	v_add_f64 v[46:47], v[38:39], v[46:47]
	v_add_f64 v[58:59], v[58:59], v[14:15]
	s_waitcnt lgkmcnt(1)
	v_mul_f64 v[14:15], v[52:53], v[22:23]
	v_mul_f64 v[38:39], v[50:51], v[22:23]
	v_fma_f64 v[14:15], v[50:51], v[20:21], -v[14:15]
	v_fmac_f64_e32 v[38:39], v[52:53], v[20:21]
	v_add_f64 v[44:45], v[44:45], v[14:15]
	v_add_f64 v[42:43], v[38:39], v[42:43]
	ds_read_b128 v[38:41], v33 offset:2096
	s_waitcnt lgkmcnt(1)
	v_mul_f64 v[14:15], v[26:27], v[18:19]
	v_fma_f64 v[14:15], v[24:25], v[16:17], -v[14:15]
	v_mul_f64 v[18:19], v[24:25], v[18:19]
	v_fmac_f64_e32 v[18:19], v[26:27], v[16:17]
	v_add_f64 v[46:47], v[46:47], v[14:15]
	v_mul_f64 v[14:15], v[26:27], v[22:23]
	v_add_f64 v[48:49], v[18:19], v[48:49]
	v_fma_f64 v[18:19], v[24:25], v[20:21], -v[14:15]
	ds_read_b128 v[14:17], v32 offset:1536
	v_mul_f64 v[22:23], v[24:25], v[22:23]
	v_fmac_f64_e32 v[22:23], v[26:27], v[20:21]
	v_add_f64 v[24:25], v[28:29], v[18:19]
	ds_read_b128 v[18:21], v32 offset:1792
	s_waitcnt lgkmcnt(1)
	v_mul_f64 v[26:27], v[56:57], v[16:17]
	v_fma_f64 v[26:27], v[54:55], v[14:15], -v[26:27]
	v_mul_f64 v[28:29], v[54:55], v[16:17]
	v_fmac_f64_e32 v[28:29], v[56:57], v[14:15]
	v_add_f64 v[50:51], v[58:59], v[26:27]
	s_waitcnt lgkmcnt(0)
	v_mul_f64 v[26:27], v[56:57], v[20:21]
	v_add_f64 v[52:53], v[28:29], v[60:61]
	v_fma_f64 v[26:27], v[54:55], v[18:19], -v[26:27]
	v_mul_f64 v[28:29], v[54:55], v[20:21]
	v_fmac_f64_e32 v[28:29], v[56:57], v[18:19]
	v_add_f64 v[44:45], v[44:45], v[26:27]
	v_mul_f64 v[26:27], v[40:41], v[16:17]
	v_mul_f64 v[16:17], v[38:39], v[16:17]
	v_add_f64 v[42:43], v[28:29], v[42:43]
	v_fma_f64 v[26:27], v[38:39], v[14:15], -v[26:27]
	v_fmac_f64_e32 v[16:17], v[40:41], v[14:15]
	v_mul_f64 v[14:15], v[40:41], v[20:21]
	v_mul_f64 v[28:29], v[38:39], v[20:21]
	v_add_f64 v[46:47], v[46:47], v[26:27]
	v_add_f64 v[48:49], v[16:17], v[48:49]
	v_fma_f64 v[26:27], v[38:39], v[18:19], -v[14:15]
	v_fmac_f64_e32 v[28:29], v[40:41], v[18:19]
	ds_read_b128 v[14:17], v33 offset:64
	ds_read_b128 v[18:21], v32 offset:2048
	v_add_f64 v[22:23], v[22:23], v[62:63]
	v_add_f64 v[54:55], v[24:25], v[26:27]
	;; [unrolled: 1-line block ×3, first 2 shown]
	ds_read_b128 v[22:25], v32 offset:2304
	ds_read_b128 v[26:29], v33 offset:80
	s_waitcnt lgkmcnt(2)
	v_mul_f64 v[38:39], v[16:17], v[20:21]
	v_fma_f64 v[38:39], v[14:15], v[18:19], -v[38:39]
	v_mul_f64 v[40:41], v[14:15], v[20:21]
	v_fmac_f64_e32 v[40:41], v[16:17], v[18:19]
	v_add_f64 v[50:51], v[50:51], v[38:39]
	s_waitcnt lgkmcnt(1)
	v_mul_f64 v[38:39], v[16:17], v[24:25]
	v_add_f64 v[52:53], v[40:41], v[52:53]
	v_fma_f64 v[58:59], v[14:15], v[22:23], -v[38:39]
	ds_read_b128 v[38:41], v33 offset:2112
	v_mul_f64 v[14:15], v[14:15], v[24:25]
	v_fmac_f64_e32 v[14:15], v[16:17], v[22:23]
	v_add_f64 v[44:45], v[44:45], v[58:59]
	v_add_f64 v[42:43], v[14:15], v[42:43]
	ds_read_b128 v[14:17], v33 offset:2128
	s_waitcnt lgkmcnt(1)
	v_mul_f64 v[58:59], v[40:41], v[20:21]
	v_mul_f64 v[20:21], v[38:39], v[20:21]
	v_fma_f64 v[58:59], v[38:39], v[18:19], -v[58:59]
	v_fmac_f64_e32 v[20:21], v[40:41], v[18:19]
	v_mul_f64 v[18:19], v[40:41], v[24:25]
	v_add_f64 v[46:47], v[46:47], v[58:59]
	v_add_f64 v[48:49], v[20:21], v[48:49]
	v_fma_f64 v[58:59], v[38:39], v[22:23], -v[18:19]
	v_mul_f64 v[24:25], v[38:39], v[24:25]
	ds_read_b128 v[18:21], v32 offset:2560
	v_fmac_f64_e32 v[24:25], v[40:41], v[22:23]
	v_add_f64 v[40:41], v[24:25], v[56:57]
	ds_read_b128 v[22:25], v32 offset:2816
	v_add_f64 v[38:39], v[54:55], v[58:59]
	s_waitcnt lgkmcnt(1)
	v_mul_f64 v[54:55], v[28:29], v[20:21]
	v_fma_f64 v[54:55], v[26:27], v[18:19], -v[54:55]
	v_add_f64 v[50:51], v[50:51], v[54:55]
	s_waitcnt lgkmcnt(0)
	v_mul_f64 v[54:55], v[28:29], v[24:25]
	v_mul_f64 v[56:57], v[26:27], v[20:21]
	v_fma_f64 v[54:55], v[26:27], v[22:23], -v[54:55]
	v_mul_f64 v[26:27], v[26:27], v[24:25]
	v_fmac_f64_e32 v[26:27], v[28:29], v[22:23]
	v_add_f64 v[42:43], v[26:27], v[42:43]
	v_mul_f64 v[26:27], v[16:17], v[20:21]
	v_mul_f64 v[20:21], v[14:15], v[20:21]
	v_fmac_f64_e32 v[56:57], v[28:29], v[18:19]
	v_fma_f64 v[26:27], v[14:15], v[18:19], -v[26:27]
	v_fmac_f64_e32 v[20:21], v[16:17], v[18:19]
	v_mul_f64 v[18:19], v[16:17], v[24:25]
	v_mul_f64 v[24:25], v[14:15], v[24:25]
	v_add_f64 v[46:47], v[46:47], v[26:27]
	v_add_f64 v[48:49], v[20:21], v[48:49]
	v_fma_f64 v[26:27], v[14:15], v[22:23], -v[18:19]
	v_fmac_f64_e32 v[24:25], v[16:17], v[22:23]
	ds_read_b128 v[14:17], v33 offset:96
	ds_read_b128 v[18:21], v32 offset:3072
	v_add_f64 v[52:53], v[56:57], v[52:53]
	v_add_f64 v[44:45], v[44:45], v[54:55]
	;; [unrolled: 1-line block ×4, first 2 shown]
	ds_read_b128 v[22:25], v32 offset:3328
	ds_read_b128 v[38:41], v33 offset:112
	s_waitcnt lgkmcnt(2)
	v_mul_f64 v[26:27], v[16:17], v[20:21]
	v_fma_f64 v[26:27], v[14:15], v[18:19], -v[26:27]
	v_mul_f64 v[28:29], v[14:15], v[20:21]
	v_fmac_f64_e32 v[28:29], v[16:17], v[18:19]
	v_add_f64 v[50:51], v[50:51], v[26:27]
	s_waitcnt lgkmcnt(1)
	v_mul_f64 v[26:27], v[16:17], v[24:25]
	v_add_f64 v[52:53], v[28:29], v[52:53]
	v_fma_f64 v[58:59], v[14:15], v[22:23], -v[26:27]
	ds_read_b128 v[26:29], v33 offset:2144
	v_mul_f64 v[14:15], v[14:15], v[24:25]
	v_fmac_f64_e32 v[14:15], v[16:17], v[22:23]
	v_add_f64 v[60:61], v[14:15], v[42:43]
	ds_read_b128 v[14:17], v33 offset:2160
	s_waitcnt lgkmcnt(1)
	v_mul_f64 v[42:43], v[28:29], v[20:21]
	v_mul_f64 v[20:21], v[26:27], v[20:21]
	v_fma_f64 v[42:43], v[26:27], v[18:19], -v[42:43]
	v_fmac_f64_e32 v[20:21], v[28:29], v[18:19]
	v_mul_f64 v[18:19], v[28:29], v[24:25]
	v_add_f64 v[46:47], v[46:47], v[42:43]
	v_add_f64 v[48:49], v[20:21], v[48:49]
	v_fma_f64 v[42:43], v[26:27], v[22:23], -v[18:19]
	ds_read_b128 v[18:21], v32 offset:3584
	v_add_f64 v[58:59], v[44:45], v[58:59]
	v_add_f64 v[54:55], v[54:55], v[42:43]
	ds_read_b128 v[42:45], v32 offset:3840
	v_mul_f64 v[24:25], v[26:27], v[24:25]
	v_fmac_f64_e32 v[24:25], v[28:29], v[22:23]
	s_waitcnt lgkmcnt(1)
	v_mul_f64 v[22:23], v[40:41], v[20:21]
	v_add_f64 v[56:57], v[24:25], v[56:57]
	v_fma_f64 v[22:23], v[38:39], v[18:19], -v[22:23]
	v_mul_f64 v[24:25], v[38:39], v[20:21]
	v_fmac_f64_e32 v[24:25], v[40:41], v[18:19]
	v_add_f64 v[26:27], v[50:51], v[22:23]
	s_waitcnt lgkmcnt(0)
	v_mul_f64 v[22:23], v[40:41], v[44:45]
	v_add_f64 v[28:29], v[24:25], v[52:53]
	v_fma_f64 v[22:23], v[38:39], v[42:43], -v[22:23]
	v_mul_f64 v[24:25], v[38:39], v[44:45]
	v_mul_f64 v[38:39], v[16:17], v[20:21]
	v_fma_f64 v[38:39], v[14:15], v[18:19], -v[38:39]
	v_mul_f64 v[20:21], v[14:15], v[20:21]
	v_fmac_f64_e32 v[20:21], v[16:17], v[18:19]
	v_add_f64 v[18:19], v[46:47], v[38:39]
	v_mul_f64 v[38:39], v[16:17], v[44:45]
	s_add_u32 s10, s10, 8
	v_fma_f64 v[38:39], v[14:15], v[42:43], -v[38:39]
	v_mul_f64 v[14:15], v[14:15], v[44:45]
	s_addc_u32 s11, s11, 0
	v_fmac_f64_e32 v[24:25], v[40:41], v[42:43]
	v_fmac_f64_e32 v[14:15], v[16:17], v[42:43]
	v_cmp_lt_i64_e32 vcc, s[10:11], v[12:13]
	v_add_f64 v[22:23], v[58:59], v[22:23]
	v_add_f64 v[24:25], v[24:25], v[60:61]
	;; [unrolled: 1-line block ×5, first 2 shown]
	v_lshl_add_u64 v[8:9], v[8:9], 0, s[8:9]
	v_lshl_add_u64 v[10:11], v[10:11], 0, s[26:27]
	s_barrier
	s_cbranch_vccz .LBB139_12
.LBB139_3:                              ; =>This Inner Loop Header: Depth=1
	v_lshl_add_u64 v[38:39], v[4:5], 0, s[10:11]
	v_cmp_le_i64_e32 vcc, s[40:41], v[38:39]
	s_or_b64 s[28:29], s[12:13], vcc
	s_and_saveexec_b64 s[30:31], s[28:29]
	s_xor_b64 s[28:29], exec, s[30:31]
; %bb.4:                                ;   in Loop: Header=BB139_3 Depth=1
	ds_write_b128 v30, v[34:37]
; %bb.5:                                ;   in Loop: Header=BB139_3 Depth=1
	s_andn2_saveexec_b64 s[28:29], s[28:29]
	s_cbranch_execz .LBB139_7
; %bb.6:                                ;   in Loop: Header=BB139_3 Depth=1
	global_load_dwordx4 v[38:41], v[10:11], off
	s_waitcnt vmcnt(0)
	ds_write2_b64 v30, v[38:39], v[40:41] offset1:1
.LBB139_7:                              ;   in Loop: Header=BB139_3 Depth=1
	s_or_b64 exec, exec, s[28:29]
	v_lshl_add_u64 v[38:39], v[6:7], 0, s[10:11]
	v_cmp_le_i64_e32 vcc, s[40:41], v[38:39]
	s_or_b64 s[28:29], vcc, s[2:3]
	s_and_saveexec_b64 s[30:31], s[28:29]
	s_xor_b64 s[28:29], exec, s[30:31]
; %bb.8:                                ;   in Loop: Header=BB139_3 Depth=1
	ds_write_b128 v31, v[34:37]
; %bb.9:                                ;   in Loop: Header=BB139_3 Depth=1
	s_andn2_saveexec_b64 s[28:29], s[28:29]
	s_cbranch_execz .LBB139_2
; %bb.10:                               ;   in Loop: Header=BB139_3 Depth=1
	global_load_dwordx4 v[38:41], v[8:9], off
	s_waitcnt vmcnt(0)
	ds_write2_b64 v31, v[38:39], v[40:41] offset1:1
	s_branch .LBB139_2
.LBB139_11:
	v_mov_b64_e32 v[26:27], 0
	v_mov_b64_e32 v[28:29], 0
	;; [unrolled: 1-line block ×8, first 2 shown]
.LBB139_12:
	s_load_dwordx2 s[2:3], s[0:1], 0x90
	s_load_dwordx4 s[8:11], s[0:1], 0x80
	v_lshl_add_u64 v[0:1], s[6:7], 0, v[0:1]
	s_waitcnt lgkmcnt(0)
	s_mul_i32 s1, s3, s4
	s_mul_hi_u32 s3, s2, s4
	s_mul_i32 s0, s2, s4
	s_add_i32 s1, s3, s1
	s_lshl_b64 s[0:1], s[0:1], 4
	s_add_u32 s8, s8, s0
	s_addc_u32 s9, s9, s1
	v_cmp_neq_f64_e64 s[0:1], s[14:15], 0
	v_cmp_neq_f64_e64 s[2:3], s[16:17], 0
	s_or_b64 s[6:7], s[0:1], s[2:3]
	v_cmp_gt_i64_e64 s[0:1], s[38:39], v[0:1]
	s_mov_b64 s[2:3], -1
	s_and_b64 vcc, exec, s[6:7]
	s_cbranch_vccnz .LBB139_24
; %bb.13:
	s_and_saveexec_b64 s[12:13], s[0:1]
	s_cbranch_execz .LBB139_23
; %bb.14:
	v_mul_lo_u32 v8, v1, s10
	v_mul_lo_u32 v9, v0, s11
	v_mad_u64_u32 v[6:7], s[2:3], v0, s10, 0
	v_add3_u32 v7, v7, v9, v8
	v_lshl_add_u64 v[4:5], s[24:25], 0, v[2:3]
	v_lshl_add_u64 v[6:7], v[6:7], 4, s[8:9]
	v_cmp_gt_i64_e32 vcc, s[36:37], v[4:5]
	v_lshl_add_u64 v[8:9], v[4:5], 4, v[6:7]
	s_and_saveexec_b64 s[2:3], vcc
	s_cbranch_execz .LBB139_16
; %bb.15:
	v_mul_f64 v[10:11], s[44:45], v[28:29]
	v_mul_f64 v[12:13], s[42:43], v[28:29]
	v_fma_f64 v[10:11], s[42:43], v[26:27], -v[10:11]
	v_fmac_f64_e32 v[12:13], s[44:45], v[26:27]
	global_store_dwordx4 v[8:9], v[10:13], off
.LBB139_16:
	s_or_b64 exec, exec, s[2:3]
	s_nop 0
	v_lshl_add_u64 v[10:11], v[4:5], 0, 16
	v_cmp_gt_i64_e64 s[2:3], s[36:37], v[10:11]
	s_and_saveexec_b64 s[6:7], s[2:3]
	s_cbranch_execz .LBB139_18
; %bb.17:
	v_mul_f64 v[10:11], s[44:45], v[24:25]
	v_mul_f64 v[12:13], s[42:43], v[24:25]
	v_fma_f64 v[10:11], s[42:43], v[22:23], -v[10:11]
	v_fmac_f64_e32 v[12:13], s[44:45], v[22:23]
	global_store_dwordx4 v[8:9], v[10:13], off offset:256
.LBB139_18:
	s_or_b64 exec, exec, s[6:7]
	v_lshl_add_u64 v[8:9], v[0:1], 0, 16
	v_cmp_gt_i64_e64 s[6:7], s[38:39], v[8:9]
	s_and_b64 exec, exec, s[6:7]
	s_cbranch_execz .LBB139_23
; %bb.19:
	s_lshl_b64 s[6:7], s[10:11], 8
	v_lshl_add_u64 v[6:7], v[6:7], 0, s[6:7]
	v_lshl_add_u64 v[4:5], v[4:5], 4, v[6:7]
	s_and_saveexec_b64 s[6:7], vcc
	s_cbranch_execz .LBB139_21
; %bb.20:
	v_mul_f64 v[6:7], s[44:45], v[20:21]
	v_mul_f64 v[8:9], s[42:43], v[20:21]
	v_fma_f64 v[6:7], s[42:43], v[18:19], -v[6:7]
	v_fmac_f64_e32 v[8:9], s[44:45], v[18:19]
	global_store_dwordx4 v[4:5], v[6:9], off
.LBB139_21:
	s_or_b64 exec, exec, s[6:7]
	s_and_b64 exec, exec, s[2:3]
	s_cbranch_execz .LBB139_23
; %bb.22:
	v_mul_f64 v[6:7], s[44:45], v[14:15]
	v_mul_f64 v[8:9], s[42:43], v[14:15]
	v_fma_f64 v[6:7], s[42:43], v[16:17], -v[6:7]
	v_fmac_f64_e32 v[8:9], s[44:45], v[16:17]
	global_store_dwordx4 v[4:5], v[6:9], off offset:256
.LBB139_23:
	s_or_b64 exec, exec, s[12:13]
	s_mov_b64 s[2:3], 0
.LBB139_24:
	s_andn2_b64 vcc, exec, s[2:3]
	s_cbranch_vccnz .LBB139_35
; %bb.25:
	s_and_saveexec_b64 s[2:3], s[0:1]
	s_cbranch_execz .LBB139_35
; %bb.26:
	s_mul_i32 s0, s23, s4
	s_mul_hi_u32 s1, s22, s4
	s_add_i32 s1, s1, s0
	s_mul_i32 s0, s22, s4
	s_lshl_b64 s[0:1], s[0:1], 4
	v_lshl_add_u64 v[8:9], s[24:25], 0, v[2:3]
	v_mul_lo_u32 v4, v1, s20
	v_mul_lo_u32 v5, v0, s21
	v_mad_u64_u32 v[2:3], s[2:3], v0, s20, 0
	s_add_u32 s0, s18, s0
	v_add3_u32 v3, v3, v5, v4
	v_mul_lo_u32 v6, v1, s10
	v_mul_lo_u32 v7, v0, s11
	v_mad_u64_u32 v[4:5], s[2:3], v0, s10, 0
	s_addc_u32 s1, s19, s1
	v_add3_u32 v5, v5, v7, v6
	v_cmp_gt_i64_e32 vcc, s[36:37], v[8:9]
	v_lshl_add_u64 v[6:7], v[2:3], 4, s[0:1]
	v_lshl_add_u64 v[4:5], v[4:5], 4, s[8:9]
	v_lshlrev_b64 v[2:3], 4, v[8:9]
	s_and_saveexec_b64 s[0:1], vcc
	s_cbranch_execz .LBB139_28
; %bb.27:
	v_lshl_add_u64 v[10:11], v[6:7], 0, v[2:3]
	global_load_dwordx4 v[10:13], v[10:11], off
	v_mul_f64 v[30:31], s[44:45], v[28:29]
	v_mul_f64 v[28:29], s[42:43], v[28:29]
	v_fma_f64 v[30:31], s[42:43], v[26:27], -v[30:31]
	v_fmac_f64_e32 v[28:29], s[44:45], v[26:27]
	s_waitcnt vmcnt(0)
	v_mul_f64 v[26:27], s[16:17], v[12:13]
	v_mul_f64 v[12:13], s[14:15], v[12:13]
	v_fma_f64 v[26:27], s[14:15], v[10:11], -v[26:27]
	v_fmac_f64_e32 v[12:13], s[16:17], v[10:11]
	v_add_f64 v[10:11], v[30:31], v[26:27]
	v_add_f64 v[12:13], v[28:29], v[12:13]
	v_lshl_add_u64 v[26:27], v[4:5], 0, v[2:3]
	global_store_dwordx4 v[26:27], v[10:13], off
.LBB139_28:
	s_or_b64 exec, exec, s[0:1]
	v_lshl_add_u64 v[8:9], v[8:9], 0, 16
	v_cmp_gt_i64_e64 s[0:1], s[36:37], v[8:9]
	s_and_saveexec_b64 s[2:3], s[0:1]
	s_cbranch_execz .LBB139_30
; %bb.29:
	v_lshl_add_u64 v[8:9], v[6:7], 0, v[2:3]
	global_load_dwordx4 v[8:11], v[8:9], off offset:256
	v_mul_f64 v[12:13], s[44:45], v[24:25]
	v_mul_f64 v[24:25], s[42:43], v[24:25]
	v_fma_f64 v[12:13], s[42:43], v[22:23], -v[12:13]
	v_fmac_f64_e32 v[24:25], s[44:45], v[22:23]
	s_waitcnt vmcnt(0)
	v_mul_f64 v[22:23], s[16:17], v[10:11]
	v_mul_f64 v[10:11], s[14:15], v[10:11]
	v_fma_f64 v[22:23], s[14:15], v[8:9], -v[22:23]
	v_fmac_f64_e32 v[10:11], s[16:17], v[8:9]
	v_add_f64 v[8:9], v[12:13], v[22:23]
	v_add_f64 v[10:11], v[24:25], v[10:11]
	v_lshl_add_u64 v[12:13], v[4:5], 0, v[2:3]
	global_store_dwordx4 v[12:13], v[8:11], off offset:256
.LBB139_30:
	s_or_b64 exec, exec, s[2:3]
	v_lshl_add_u64 v[0:1], v[0:1], 0, 16
	v_cmp_gt_i64_e64 s[2:3], s[38:39], v[0:1]
	s_and_b64 exec, exec, s[2:3]
	s_cbranch_execz .LBB139_35
; %bb.31:
	s_lshl_b64 s[2:3], s[20:21], 8
	v_lshl_add_u64 v[0:1], v[6:7], 0, s[2:3]
	s_lshl_b64 s[2:3], s[10:11], 8
	v_lshl_add_u64 v[6:7], v[4:5], 0, s[2:3]
	v_lshl_add_u64 v[4:5], v[0:1], 0, v[2:3]
	;; [unrolled: 1-line block ×3, first 2 shown]
	s_and_saveexec_b64 s[2:3], vcc
	s_cbranch_execz .LBB139_33
; %bb.32:
	global_load_dwordx4 v[6:9], v[4:5], off
	v_mul_f64 v[2:3], s[44:45], v[20:21]
	v_mul_f64 v[10:11], s[42:43], v[20:21]
	v_fma_f64 v[2:3], s[42:43], v[18:19], -v[2:3]
	v_fmac_f64_e32 v[10:11], s[44:45], v[18:19]
	s_waitcnt vmcnt(0)
	v_mul_f64 v[12:13], s[16:17], v[8:9]
	v_mul_f64 v[8:9], s[14:15], v[8:9]
	v_fma_f64 v[12:13], s[14:15], v[6:7], -v[12:13]
	v_fmac_f64_e32 v[8:9], s[16:17], v[6:7]
	v_add_f64 v[6:7], v[2:3], v[12:13]
	v_add_f64 v[8:9], v[10:11], v[8:9]
	global_store_dwordx4 v[0:1], v[6:9], off
.LBB139_33:
	s_or_b64 exec, exec, s[2:3]
	s_and_b64 exec, exec, s[0:1]
	s_cbranch_execz .LBB139_35
; %bb.34:
	global_load_dwordx4 v[2:5], v[4:5], off offset:256
	v_mul_f64 v[6:7], s[44:45], v[14:15]
	v_mul_f64 v[8:9], s[42:43], v[14:15]
	v_fma_f64 v[6:7], s[42:43], v[16:17], -v[6:7]
	v_fmac_f64_e32 v[8:9], s[44:45], v[16:17]
	s_waitcnt vmcnt(0)
	v_mul_f64 v[10:11], s[16:17], v[4:5]
	v_mul_f64 v[4:5], s[14:15], v[4:5]
	v_fma_f64 v[10:11], s[14:15], v[2:3], -v[10:11]
	v_fmac_f64_e32 v[4:5], s[16:17], v[2:3]
	v_add_f64 v[2:3], v[6:7], v[10:11]
	v_add_f64 v[4:5], v[8:9], v[4:5]
	global_store_dwordx4 v[0:1], v[2:5], off offset:256
.LBB139_35:
	s_endpgm
	.section	.rodata,"a",@progbits
	.p2align	6, 0x0
	.amdhsa_kernel _ZN12_GLOBAL__N_135rocblas_gemm_batched_general_kernelI19rocblas_complex_numIdELi16ELi16ELi32ELi32ELi8ELi32ELi8ELi8ELi32ELc84ELc84EKS2_S3_S2_EEvlllT_PT11_llS6_llS4_PT12_llPT13_lli
		.amdhsa_group_segment_fixed_size 8192
		.amdhsa_private_segment_fixed_size 0
		.amdhsa_kernarg_size 156
		.amdhsa_user_sgpr_count 2
		.amdhsa_user_sgpr_dispatch_ptr 0
		.amdhsa_user_sgpr_queue_ptr 0
		.amdhsa_user_sgpr_kernarg_segment_ptr 1
		.amdhsa_user_sgpr_dispatch_id 0
		.amdhsa_user_sgpr_kernarg_preload_length 0
		.amdhsa_user_sgpr_kernarg_preload_offset 0
		.amdhsa_user_sgpr_private_segment_size 0
		.amdhsa_uses_dynamic_stack 0
		.amdhsa_enable_private_segment 0
		.amdhsa_system_sgpr_workgroup_id_x 1
		.amdhsa_system_sgpr_workgroup_id_y 1
		.amdhsa_system_sgpr_workgroup_id_z 1
		.amdhsa_system_sgpr_workgroup_info 0
		.amdhsa_system_vgpr_workitem_id 1
		.amdhsa_next_free_vgpr 68
		.amdhsa_next_free_sgpr 52
		.amdhsa_accum_offset 68
		.amdhsa_reserve_vcc 1
		.amdhsa_float_round_mode_32 0
		.amdhsa_float_round_mode_16_64 0
		.amdhsa_float_denorm_mode_32 3
		.amdhsa_float_denorm_mode_16_64 3
		.amdhsa_dx10_clamp 1
		.amdhsa_ieee_mode 1
		.amdhsa_fp16_overflow 0
		.amdhsa_tg_split 0
		.amdhsa_exception_fp_ieee_invalid_op 0
		.amdhsa_exception_fp_denorm_src 0
		.amdhsa_exception_fp_ieee_div_zero 0
		.amdhsa_exception_fp_ieee_overflow 0
		.amdhsa_exception_fp_ieee_underflow 0
		.amdhsa_exception_fp_ieee_inexact 0
		.amdhsa_exception_int_div_zero 0
	.end_amdhsa_kernel
	.section	.text._ZN12_GLOBAL__N_135rocblas_gemm_batched_general_kernelI19rocblas_complex_numIdELi16ELi16ELi32ELi32ELi8ELi32ELi8ELi8ELi32ELc84ELc84EKS2_S3_S2_EEvlllT_PT11_llS6_llS4_PT12_llPT13_lli,"axG",@progbits,_ZN12_GLOBAL__N_135rocblas_gemm_batched_general_kernelI19rocblas_complex_numIdELi16ELi16ELi32ELi32ELi8ELi32ELi8ELi8ELi32ELc84ELc84EKS2_S3_S2_EEvlllT_PT11_llS6_llS4_PT12_llPT13_lli,comdat
.Lfunc_end139:
	.size	_ZN12_GLOBAL__N_135rocblas_gemm_batched_general_kernelI19rocblas_complex_numIdELi16ELi16ELi32ELi32ELi8ELi32ELi8ELi8ELi32ELc84ELc84EKS2_S3_S2_EEvlllT_PT11_llS6_llS4_PT12_llPT13_lli, .Lfunc_end139-_ZN12_GLOBAL__N_135rocblas_gemm_batched_general_kernelI19rocblas_complex_numIdELi16ELi16ELi32ELi32ELi8ELi32ELi8ELi8ELi32ELc84ELc84EKS2_S3_S2_EEvlllT_PT11_llS6_llS4_PT12_llPT13_lli
                                        ; -- End function
	.set _ZN12_GLOBAL__N_135rocblas_gemm_batched_general_kernelI19rocblas_complex_numIdELi16ELi16ELi32ELi32ELi8ELi32ELi8ELi8ELi32ELc84ELc84EKS2_S3_S2_EEvlllT_PT11_llS6_llS4_PT12_llPT13_lli.num_vgpr, 68
	.set _ZN12_GLOBAL__N_135rocblas_gemm_batched_general_kernelI19rocblas_complex_numIdELi16ELi16ELi32ELi32ELi8ELi32ELi8ELi8ELi32ELc84ELc84EKS2_S3_S2_EEvlllT_PT11_llS6_llS4_PT12_llPT13_lli.num_agpr, 0
	.set _ZN12_GLOBAL__N_135rocblas_gemm_batched_general_kernelI19rocblas_complex_numIdELi16ELi16ELi32ELi32ELi8ELi32ELi8ELi8ELi32ELc84ELc84EKS2_S3_S2_EEvlllT_PT11_llS6_llS4_PT12_llPT13_lli.numbered_sgpr, 52
	.set _ZN12_GLOBAL__N_135rocblas_gemm_batched_general_kernelI19rocblas_complex_numIdELi16ELi16ELi32ELi32ELi8ELi32ELi8ELi8ELi32ELc84ELc84EKS2_S3_S2_EEvlllT_PT11_llS6_llS4_PT12_llPT13_lli.num_named_barrier, 0
	.set _ZN12_GLOBAL__N_135rocblas_gemm_batched_general_kernelI19rocblas_complex_numIdELi16ELi16ELi32ELi32ELi8ELi32ELi8ELi8ELi32ELc84ELc84EKS2_S3_S2_EEvlllT_PT11_llS6_llS4_PT12_llPT13_lli.private_seg_size, 0
	.set _ZN12_GLOBAL__N_135rocblas_gemm_batched_general_kernelI19rocblas_complex_numIdELi16ELi16ELi32ELi32ELi8ELi32ELi8ELi8ELi32ELc84ELc84EKS2_S3_S2_EEvlllT_PT11_llS6_llS4_PT12_llPT13_lli.uses_vcc, 1
	.set _ZN12_GLOBAL__N_135rocblas_gemm_batched_general_kernelI19rocblas_complex_numIdELi16ELi16ELi32ELi32ELi8ELi32ELi8ELi8ELi32ELc84ELc84EKS2_S3_S2_EEvlllT_PT11_llS6_llS4_PT12_llPT13_lli.uses_flat_scratch, 0
	.set _ZN12_GLOBAL__N_135rocblas_gemm_batched_general_kernelI19rocblas_complex_numIdELi16ELi16ELi32ELi32ELi8ELi32ELi8ELi8ELi32ELc84ELc84EKS2_S3_S2_EEvlllT_PT11_llS6_llS4_PT12_llPT13_lli.has_dyn_sized_stack, 0
	.set _ZN12_GLOBAL__N_135rocblas_gemm_batched_general_kernelI19rocblas_complex_numIdELi16ELi16ELi32ELi32ELi8ELi32ELi8ELi8ELi32ELc84ELc84EKS2_S3_S2_EEvlllT_PT11_llS6_llS4_PT12_llPT13_lli.has_recursion, 0
	.set _ZN12_GLOBAL__N_135rocblas_gemm_batched_general_kernelI19rocblas_complex_numIdELi16ELi16ELi32ELi32ELi8ELi32ELi8ELi8ELi32ELc84ELc84EKS2_S3_S2_EEvlllT_PT11_llS6_llS4_PT12_llPT13_lli.has_indirect_call, 0
	.section	.AMDGPU.csdata,"",@progbits
; Kernel info:
; codeLenInByte = 3508
; TotalNumSgprs: 58
; NumVgprs: 68
; NumAgprs: 0
; TotalNumVgprs: 68
; ScratchSize: 0
; MemoryBound: 0
; FloatMode: 240
; IeeeMode: 1
; LDSByteSize: 8192 bytes/workgroup (compile time only)
; SGPRBlocks: 7
; VGPRBlocks: 8
; NumSGPRsForWavesPerEU: 58
; NumVGPRsForWavesPerEU: 68
; AccumOffset: 68
; Occupancy: 7
; WaveLimiterHint : 0
; COMPUTE_PGM_RSRC2:SCRATCH_EN: 0
; COMPUTE_PGM_RSRC2:USER_SGPR: 2
; COMPUTE_PGM_RSRC2:TRAP_HANDLER: 0
; COMPUTE_PGM_RSRC2:TGID_X_EN: 1
; COMPUTE_PGM_RSRC2:TGID_Y_EN: 1
; COMPUTE_PGM_RSRC2:TGID_Z_EN: 1
; COMPUTE_PGM_RSRC2:TIDIG_COMP_CNT: 1
; COMPUTE_PGM_RSRC3_GFX90A:ACCUM_OFFSET: 16
; COMPUTE_PGM_RSRC3_GFX90A:TG_SPLIT: 0
	.section	.text._ZN12_GLOBAL__N_135rocblas_gemm_batched_general_kernelI19rocblas_complex_numIdELi16ELi16ELi32ELi32ELi8ELi32ELi8ELi8ELi32ELc67ELc67EKS2_S3_S2_EEvlllT_PT11_llS6_llS4_PT12_llPT13_lli,"axG",@progbits,_ZN12_GLOBAL__N_135rocblas_gemm_batched_general_kernelI19rocblas_complex_numIdELi16ELi16ELi32ELi32ELi8ELi32ELi8ELi8ELi32ELc67ELc67EKS2_S3_S2_EEvlllT_PT11_llS6_llS4_PT12_llPT13_lli,comdat
	.globl	_ZN12_GLOBAL__N_135rocblas_gemm_batched_general_kernelI19rocblas_complex_numIdELi16ELi16ELi32ELi32ELi8ELi32ELi8ELi8ELi32ELc67ELc67EKS2_S3_S2_EEvlllT_PT11_llS6_llS4_PT12_llPT13_lli ; -- Begin function _ZN12_GLOBAL__N_135rocblas_gemm_batched_general_kernelI19rocblas_complex_numIdELi16ELi16ELi32ELi32ELi8ELi32ELi8ELi8ELi32ELc67ELc67EKS2_S3_S2_EEvlllT_PT11_llS6_llS4_PT12_llPT13_lli
	.p2align	8
	.type	_ZN12_GLOBAL__N_135rocblas_gemm_batched_general_kernelI19rocblas_complex_numIdELi16ELi16ELi32ELi32ELi8ELi32ELi8ELi8ELi32ELc67ELc67EKS2_S3_S2_EEvlllT_PT11_llS6_llS4_PT12_llPT13_lli,@function
_ZN12_GLOBAL__N_135rocblas_gemm_batched_general_kernelI19rocblas_complex_numIdELi16ELi16ELi32ELi32ELi8ELi32ELi8ELi8ELi32ELc67ELc67EKS2_S3_S2_EEvlllT_PT11_llS6_llS4_PT12_llPT13_lli: ; @_ZN12_GLOBAL__N_135rocblas_gemm_batched_general_kernelI19rocblas_complex_numIdELi16ELi16ELi32ELi32ELi8ELi32ELi8ELi8ELi32ELc67ELc67EKS2_S3_S2_EEvlllT_PT11_llS6_llS4_PT12_llPT13_lli
; %bb.0:
	s_load_dwordx16 s[36:51], s[0:1], 0x0
	s_load_dwordx16 s[8:23], s[0:1], 0x40
	s_mov_b32 s28, s3
	s_ashr_i32 s3, s2, 31
	v_mov_b32_e32 v7, 0
	s_lshl_b64 s[24:25], s[2:3], 5
	s_ashr_i32 s29, s28, 31
	s_waitcnt lgkmcnt(0)
	v_cmp_lt_i64_e64 s[2:3], s[40:41], 1
	v_and_b32_e32 v4, 0x3ff, v0
	v_bfe_u32 v6, v0, 10, 10
	v_mov_b32_e32 v5, v7
	s_lshl_b64 s[26:27], s[28:29], 5
	s_and_b64 vcc, exec, s[2:3]
	s_cbranch_vccnz .LBB140_7
; %bb.1:
	v_lshl_add_u32 v12, v6, 4, v4
	v_lshrrev_b32_e32 v0, 3, v12
	v_mov_b32_e32 v1, v7
	v_and_b32_e32 v10, 7, v4
	v_lshl_add_u64 v[2:3], v[0:1], 0, s[26:27]
	v_and_b32_e32 v14, 31, v12
	s_mul_i32 s5, s13, s4
	s_mul_hi_u32 s13, s12, s4
	v_lshrrev_b32_e32 v8, 5, v12
	v_or_b32_e32 v12, s24, v14
	v_mov_b32_e32 v13, s25
	v_lshlrev_b32_e32 v1, 4, v14
	v_cmp_gt_i64_e64 s[6:7], s[38:39], v[2:3]
	s_add_i32 s13, s13, s5
	s_mul_i32 s12, s12, s4
	v_mad_u64_u32 v[2:3], s[30:31], s10, v10, 0
	v_cmp_gt_i64_e64 s[2:3], s[36:37], v[12:13]
	v_lshl_or_b32 v34, v8, 9, v1
	v_lshlrev_b32_e32 v1, 4, v10
	s_lshl_b64 s[12:13], s[12:13], 4
	v_mov_b32_e32 v12, v3
	s_lshl_b64 s[28:29], s[28:29], 9
	v_lshl_or_b32 v1, v0, 7, v1
	v_mad_u64_u32 v[12:13], s[30:31], s11, v10, v[12:13]
	s_add_u32 s12, s28, s12
	v_add_u32_e32 v35, 0x1000, v1
	v_mov_b32_e32 v1, 0x1000
	v_mov_b32_e32 v3, v12
	s_addc_u32 s13, s29, s13
	v_lshl_add_u32 v37, v6, 7, v1
	v_lshl_add_u64 v[2:3], v[2:3], 4, s[12:13]
	v_lshlrev_b32_e32 v0, 4, v0
	v_mov_b32_e32 v1, v7
	v_lshl_add_u64 v[0:1], v[2:3], 0, v[0:1]
	v_mov_b32_e32 v15, v7
	v_lshl_add_u64 v[0:1], s[8:9], 0, v[0:1]
	v_lshl_add_u64 v[12:13], v[0:1], 0, 8
	;; [unrolled: 1-line block ×3, first 2 shown]
	s_lshl_b64 s[8:9], s[10:11], 7
	v_mul_lo_u32 v2, s49, v0
	v_mul_lo_u32 v3, s48, v1
	v_mad_u64_u32 v[0:1], s[10:11], s48, v0, 0
	s_mul_i32 s5, s51, s4
	s_mul_hi_u32 s10, s50, s4
	s_add_i32 s11, s10, s5
	s_mul_i32 s10, s50, s4
	v_add3_u32 v1, v1, v3, v2
	s_lshl_b64 s[10:11], s[10:11], 4
	v_lshl_add_u64 v[0:1], v[0:1], 4, s[10:11]
	v_lshlrev_b32_e32 v2, 4, v8
	v_mov_b32_e32 v3, v7
	v_lshl_add_u64 v[0:1], v[0:1], 0, v[2:3]
	v_lshl_add_u64 v[0:1], s[46:47], 0, v[0:1]
	v_mov_b32_e32 v9, v7
	v_mov_b32_e32 v11, v7
	v_lshlrev_b32_e32 v36, 4, v4
	v_lshl_add_u64 v[14:15], v[0:1], 0, 8
	s_mov_b64 s[10:11], 0
	v_mov_b64_e32 v[18:19], 0
	s_mov_b64 s[12:13], 0x80
	v_mov_b64_e32 v[16:17], s[40:41]
	v_mov_b64_e32 v[20:21], 0
	;; [unrolled: 1-line block ×8, first 2 shown]
	s_branch .LBB140_3
.LBB140_2:                              ;   in Loop: Header=BB140_3 Depth=1
	s_or_b64 exec, exec, s[28:29]
	ds_write_b128 v35, v[0:3]
	s_waitcnt lgkmcnt(0)
	s_barrier
	ds_read_b128 v[0:3], v36
	ds_read_b128 v[38:41], v37
	ds_read_b128 v[42:45], v37 offset:16
	ds_read_b128 v[46:49], v37 offset:32
	;; [unrolled: 1-line block ×4, first 2 shown]
	s_waitcnt lgkmcnt(4)
	v_mul_f64 v[58:59], v[40:41], v[2:3]
	v_fma_f64 v[58:59], v[38:39], v[0:1], -v[58:59]
	v_mul_f64 v[60:61], v[38:39], v[2:3]
	v_fmac_f64_e32 v[60:61], v[40:41], v[0:1]
	v_add_f64 v[58:59], v[30:31], v[58:59]
	s_waitcnt lgkmcnt(0)
	v_mul_f64 v[30:31], v[40:41], v[56:57]
	v_add_f64 v[60:61], v[60:61], v[32:33]
	v_fma_f64 v[62:63], v[38:39], v[54:55], -v[30:31]
	ds_read_b128 v[30:33], v37 offset:2048
	v_mul_f64 v[38:39], v[38:39], v[56:57]
	v_fmac_f64_e32 v[38:39], v[40:41], v[54:55]
	v_add_f64 v[40:41], v[26:27], v[62:63]
	v_add_f64 v[38:39], v[38:39], v[28:29]
	ds_read_b128 v[26:29], v37 offset:2064
	s_waitcnt lgkmcnt(1)
	v_mul_f64 v[62:63], v[32:33], v[2:3]
	v_mul_f64 v[2:3], v[30:31], v[2:3]
	v_fma_f64 v[62:63], v[30:31], v[0:1], -v[62:63]
	v_fmac_f64_e32 v[2:3], v[32:33], v[0:1]
	v_mul_f64 v[0:1], v[32:33], v[56:57]
	v_add_f64 v[22:23], v[22:23], v[62:63]
	v_add_f64 v[24:25], v[2:3], v[24:25]
	v_fma_f64 v[62:63], v[30:31], v[54:55], -v[0:1]
	v_mul_f64 v[30:31], v[30:31], v[56:57]
	ds_read_b128 v[0:3], v36 offset:512
	v_fmac_f64_e32 v[30:31], v[32:33], v[54:55]
	v_add_f64 v[32:33], v[20:21], v[62:63]
	v_add_f64 v[30:31], v[30:31], v[18:19]
	ds_read_b128 v[18:21], v36 offset:768
	s_waitcnt lgkmcnt(1)
	v_mul_f64 v[54:55], v[44:45], v[2:3]
	v_fma_f64 v[54:55], v[42:43], v[0:1], -v[54:55]
	v_add_f64 v[54:55], v[58:59], v[54:55]
	v_mul_f64 v[56:57], v[42:43], v[2:3]
	s_waitcnt lgkmcnt(0)
	v_mul_f64 v[58:59], v[44:45], v[20:21]
	v_fma_f64 v[58:59], v[42:43], v[18:19], -v[58:59]
	v_mul_f64 v[42:43], v[42:43], v[20:21]
	v_fmac_f64_e32 v[42:43], v[44:45], v[18:19]
	v_add_f64 v[38:39], v[42:43], v[38:39]
	v_mul_f64 v[42:43], v[28:29], v[2:3]
	v_mul_f64 v[2:3], v[26:27], v[2:3]
	v_fmac_f64_e32 v[56:57], v[44:45], v[0:1]
	v_fma_f64 v[42:43], v[26:27], v[0:1], -v[42:43]
	v_fmac_f64_e32 v[2:3], v[28:29], v[0:1]
	v_mul_f64 v[0:1], v[28:29], v[20:21]
	v_add_f64 v[42:43], v[22:23], v[42:43]
	v_add_f64 v[44:45], v[2:3], v[24:25]
	v_fma_f64 v[22:23], v[26:27], v[18:19], -v[0:1]
	v_mul_f64 v[20:21], v[26:27], v[20:21]
	ds_read_b128 v[0:3], v36 offset:1024
	v_fmac_f64_e32 v[20:21], v[28:29], v[18:19]
	v_add_f64 v[30:31], v[20:21], v[30:31]
	ds_read_b128 v[18:21], v36 offset:1280
	v_add_f64 v[32:33], v[32:33], v[22:23]
	s_waitcnt lgkmcnt(1)
	v_mul_f64 v[22:23], v[48:49], v[2:3]
	v_fma_f64 v[22:23], v[46:47], v[0:1], -v[22:23]
	v_mul_f64 v[24:25], v[46:47], v[2:3]
	v_add_f64 v[56:57], v[56:57], v[60:61]
	v_fmac_f64_e32 v[24:25], v[48:49], v[0:1]
	v_add_f64 v[54:55], v[54:55], v[22:23]
	s_waitcnt lgkmcnt(0)
	v_mul_f64 v[22:23], v[48:49], v[20:21]
	v_add_f64 v[56:57], v[24:25], v[56:57]
	v_fma_f64 v[26:27], v[46:47], v[18:19], -v[22:23]
	ds_read_b128 v[22:25], v37 offset:2080
	v_mul_f64 v[28:29], v[46:47], v[20:21]
	v_add_f64 v[40:41], v[40:41], v[58:59]
	v_fmac_f64_e32 v[28:29], v[48:49], v[18:19]
	v_add_f64 v[40:41], v[40:41], v[26:27]
	v_add_f64 v[38:39], v[28:29], v[38:39]
	ds_read_b128 v[26:29], v37 offset:2096
	s_waitcnt lgkmcnt(1)
	v_mul_f64 v[46:47], v[24:25], v[2:3]
	v_mul_f64 v[2:3], v[22:23], v[2:3]
	v_fma_f64 v[46:47], v[22:23], v[0:1], -v[46:47]
	v_fmac_f64_e32 v[2:3], v[24:25], v[0:1]
	v_mul_f64 v[0:1], v[24:25], v[20:21]
	v_mul_f64 v[20:21], v[22:23], v[20:21]
	v_fmac_f64_e32 v[20:21], v[24:25], v[18:19]
	v_add_f64 v[42:43], v[42:43], v[46:47]
	v_add_f64 v[44:45], v[2:3], v[44:45]
	v_fma_f64 v[46:47], v[22:23], v[18:19], -v[0:1]
	ds_read_b128 v[0:3], v36 offset:1536
	v_add_f64 v[24:25], v[20:21], v[30:31]
	ds_read_b128 v[18:21], v36 offset:1792
	v_add_f64 v[22:23], v[32:33], v[46:47]
	s_add_u32 s10, s10, 8
	s_waitcnt lgkmcnt(1)
	v_mul_f64 v[30:31], v[52:53], v[2:3]
	v_mul_f64 v[32:33], v[50:51], v[2:3]
	s_waitcnt lgkmcnt(0)
	v_mul_f64 v[46:47], v[52:53], v[20:21]
	v_fma_f64 v[46:47], v[50:51], v[18:19], -v[46:47]
	v_add_f64 v[40:41], v[40:41], v[46:47]
	v_mul_f64 v[46:47], v[28:29], v[2:3]
	v_mul_f64 v[2:3], v[26:27], v[2:3]
	v_fma_f64 v[30:31], v[50:51], v[0:1], -v[30:31]
	v_fmac_f64_e32 v[32:33], v[52:53], v[0:1]
	v_fma_f64 v[46:47], v[26:27], v[0:1], -v[46:47]
	v_fmac_f64_e32 v[2:3], v[28:29], v[0:1]
	v_mul_f64 v[0:1], v[28:29], v[20:21]
	v_mul_f64 v[48:49], v[50:51], v[20:21]
	v_add_f64 v[42:43], v[42:43], v[46:47]
	v_fma_f64 v[46:47], v[26:27], v[18:19], -v[0:1]
	v_mul_f64 v[26:27], v[26:27], v[20:21]
	v_fmac_f64_e32 v[48:49], v[52:53], v[18:19]
	v_add_f64 v[44:45], v[2:3], v[44:45]
	v_fmac_f64_e32 v[26:27], v[28:29], v[18:19]
	ds_read_b128 v[0:3], v37 offset:64
	ds_read_b128 v[18:21], v36 offset:2048
	v_add_f64 v[38:39], v[48:49], v[38:39]
	v_add_f64 v[46:47], v[22:23], v[46:47]
	;; [unrolled: 1-line block ×3, first 2 shown]
	ds_read_b128 v[22:25], v36 offset:2304
	ds_read_b128 v[26:29], v37 offset:80
	s_waitcnt lgkmcnt(2)
	v_mul_f64 v[50:51], v[2:3], v[20:21]
	v_add_f64 v[30:31], v[54:55], v[30:31]
	v_fma_f64 v[50:51], v[0:1], v[18:19], -v[50:51]
	v_mul_f64 v[52:53], v[0:1], v[20:21]
	v_add_f64 v[32:33], v[32:33], v[56:57]
	v_fmac_f64_e32 v[52:53], v[2:3], v[18:19]
	v_add_f64 v[50:51], v[30:31], v[50:51]
	s_waitcnt lgkmcnt(1)
	v_mul_f64 v[30:31], v[2:3], v[24:25]
	v_add_f64 v[52:53], v[52:53], v[32:33]
	v_fma_f64 v[54:55], v[0:1], v[22:23], -v[30:31]
	ds_read_b128 v[30:33], v37 offset:2112
	v_mul_f64 v[0:1], v[0:1], v[24:25]
	v_fmac_f64_e32 v[0:1], v[2:3], v[22:23]
	v_add_f64 v[40:41], v[40:41], v[54:55]
	v_add_f64 v[38:39], v[0:1], v[38:39]
	ds_read_b128 v[0:3], v37 offset:2128
	s_waitcnt lgkmcnt(1)
	v_mul_f64 v[54:55], v[32:33], v[20:21]
	v_mul_f64 v[20:21], v[30:31], v[20:21]
	v_fma_f64 v[54:55], v[30:31], v[18:19], -v[54:55]
	v_fmac_f64_e32 v[20:21], v[32:33], v[18:19]
	v_mul_f64 v[18:19], v[32:33], v[24:25]
	v_add_f64 v[42:43], v[42:43], v[54:55]
	v_add_f64 v[44:45], v[20:21], v[44:45]
	v_fma_f64 v[54:55], v[30:31], v[22:23], -v[18:19]
	v_mul_f64 v[24:25], v[30:31], v[24:25]
	ds_read_b128 v[18:21], v36 offset:2560
	v_fmac_f64_e32 v[24:25], v[32:33], v[22:23]
	v_add_f64 v[32:33], v[24:25], v[48:49]
	ds_read_b128 v[22:25], v36 offset:2816
	v_add_f64 v[30:31], v[46:47], v[54:55]
	s_waitcnt lgkmcnt(1)
	v_mul_f64 v[46:47], v[28:29], v[20:21]
	v_fma_f64 v[46:47], v[26:27], v[18:19], -v[46:47]
	v_add_f64 v[46:47], v[50:51], v[46:47]
	s_waitcnt lgkmcnt(0)
	v_mul_f64 v[50:51], v[28:29], v[24:25]
	v_mul_f64 v[48:49], v[26:27], v[20:21]
	v_fma_f64 v[50:51], v[26:27], v[22:23], -v[50:51]
	v_mul_f64 v[26:27], v[26:27], v[24:25]
	v_fmac_f64_e32 v[26:27], v[28:29], v[22:23]
	v_add_f64 v[38:39], v[26:27], v[38:39]
	v_mul_f64 v[26:27], v[2:3], v[20:21]
	v_mul_f64 v[20:21], v[0:1], v[20:21]
	v_fmac_f64_e32 v[48:49], v[28:29], v[18:19]
	v_fma_f64 v[26:27], v[0:1], v[18:19], -v[26:27]
	v_fmac_f64_e32 v[20:21], v[2:3], v[18:19]
	v_mul_f64 v[18:19], v[2:3], v[24:25]
	v_mul_f64 v[24:25], v[0:1], v[24:25]
	v_add_f64 v[42:43], v[42:43], v[26:27]
	v_add_f64 v[44:45], v[20:21], v[44:45]
	v_fma_f64 v[26:27], v[0:1], v[22:23], -v[18:19]
	v_fmac_f64_e32 v[24:25], v[2:3], v[22:23]
	ds_read_b128 v[0:3], v37 offset:96
	ds_read_b128 v[18:21], v36 offset:3072
	v_add_f64 v[48:49], v[48:49], v[52:53]
	v_add_f64 v[40:41], v[40:41], v[50:51]
	;; [unrolled: 1-line block ×4, first 2 shown]
	ds_read_b128 v[22:25], v36 offset:3328
	ds_read_b128 v[26:29], v37 offset:112
	s_waitcnt lgkmcnt(2)
	v_mul_f64 v[30:31], v[2:3], v[20:21]
	v_fma_f64 v[30:31], v[0:1], v[18:19], -v[30:31]
	v_mul_f64 v[32:33], v[0:1], v[20:21]
	v_fmac_f64_e32 v[32:33], v[2:3], v[18:19]
	v_add_f64 v[46:47], v[46:47], v[30:31]
	s_waitcnt lgkmcnt(1)
	v_mul_f64 v[30:31], v[2:3], v[24:25]
	v_add_f64 v[48:49], v[32:33], v[48:49]
	v_fma_f64 v[54:55], v[0:1], v[22:23], -v[30:31]
	ds_read_b128 v[30:33], v37 offset:2144
	v_mul_f64 v[0:1], v[0:1], v[24:25]
	v_fmac_f64_e32 v[0:1], v[2:3], v[22:23]
	v_add_f64 v[56:57], v[0:1], v[38:39]
	ds_read_b128 v[0:3], v37 offset:2160
	s_waitcnt lgkmcnt(1)
	v_mul_f64 v[38:39], v[32:33], v[20:21]
	v_mul_f64 v[20:21], v[30:31], v[20:21]
	v_fma_f64 v[38:39], v[30:31], v[18:19], -v[38:39]
	v_fmac_f64_e32 v[20:21], v[32:33], v[18:19]
	v_mul_f64 v[18:19], v[32:33], v[24:25]
	v_add_f64 v[42:43], v[42:43], v[38:39]
	v_add_f64 v[44:45], v[20:21], v[44:45]
	v_fma_f64 v[38:39], v[30:31], v[22:23], -v[18:19]
	ds_read_b128 v[18:21], v36 offset:3584
	v_add_f64 v[54:55], v[40:41], v[54:55]
	v_add_f64 v[50:51], v[50:51], v[38:39]
	ds_read_b128 v[38:41], v36 offset:3840
	v_mul_f64 v[24:25], v[30:31], v[24:25]
	v_fmac_f64_e32 v[24:25], v[32:33], v[22:23]
	s_waitcnt lgkmcnt(1)
	v_mul_f64 v[22:23], v[28:29], v[20:21]
	v_fma_f64 v[22:23], v[26:27], v[18:19], -v[22:23]
	v_add_f64 v[52:53], v[24:25], v[52:53]
	v_mul_f64 v[24:25], v[26:27], v[20:21]
	v_add_f64 v[30:31], v[46:47], v[22:23]
	s_waitcnt lgkmcnt(0)
	v_mul_f64 v[22:23], v[28:29], v[40:41]
	v_fmac_f64_e32 v[24:25], v[28:29], v[18:19]
	v_fma_f64 v[22:23], v[26:27], v[38:39], -v[22:23]
	v_add_f64 v[32:33], v[24:25], v[48:49]
	v_mul_f64 v[24:25], v[26:27], v[40:41]
	v_add_f64 v[26:27], v[54:55], v[22:23]
	v_mul_f64 v[22:23], v[2:3], v[20:21]
	v_mul_f64 v[20:21], v[0:1], v[20:21]
	v_fma_f64 v[22:23], v[0:1], v[18:19], -v[22:23]
	v_fmac_f64_e32 v[20:21], v[2:3], v[18:19]
	v_mul_f64 v[18:19], v[2:3], v[40:41]
	v_fma_f64 v[18:19], v[0:1], v[38:39], -v[18:19]
	v_mul_f64 v[0:1], v[0:1], v[40:41]
	s_addc_u32 s11, s11, 0
	v_fmac_f64_e32 v[24:25], v[28:29], v[38:39]
	v_fmac_f64_e32 v[0:1], v[2:3], v[38:39]
	v_cmp_lt_i64_e32 vcc, s[10:11], v[16:17]
	v_add_f64 v[28:29], v[24:25], v[56:57]
	v_add_f64 v[22:23], v[42:43], v[22:23]
	;; [unrolled: 1-line block ×5, first 2 shown]
	v_lshl_add_u64 v[12:13], v[12:13], 0, s[8:9]
	v_lshl_add_u64 v[14:15], v[14:15], 0, s[12:13]
	s_barrier
	s_cbranch_vccz .LBB140_8
.LBB140_3:                              ; =>This Inner Loop Header: Depth=1
	v_lshl_add_u64 v[0:1], v[8:9], 0, s[10:11]
	v_cmp_gt_i64_e32 vcc, s[40:41], v[0:1]
	s_and_b64 s[30:31], s[2:3], vcc
	v_mov_b64_e32 v[0:1], 0
	v_mov_b64_e32 v[2:3], 0
	s_and_saveexec_b64 s[28:29], s[30:31]
	s_cbranch_execz .LBB140_5
; %bb.4:                                ;   in Loop: Header=BB140_3 Depth=1
	global_load_dwordx4 v[0:3], v[14:15], off offset:-8
	s_waitcnt vmcnt(0)
	v_xor_b32_e32 v3, 0x80000000, v3
.LBB140_5:                              ;   in Loop: Header=BB140_3 Depth=1
	s_or_b64 exec, exec, s[28:29]
	ds_write_b128 v34, v[0:3]
	v_lshl_add_u64 v[0:1], v[10:11], 0, s[10:11]
	v_cmp_gt_i64_e32 vcc, s[40:41], v[0:1]
	s_and_b64 s[30:31], vcc, s[6:7]
	v_mov_b64_e32 v[0:1], 0
	v_mov_b64_e32 v[2:3], 0
	s_and_saveexec_b64 s[28:29], s[30:31]
	s_cbranch_execz .LBB140_2
; %bb.6:                                ;   in Loop: Header=BB140_3 Depth=1
	global_load_dwordx4 v[0:3], v[12:13], off offset:-8
	s_waitcnt vmcnt(0)
	v_xor_b32_e32 v3, 0x80000000, v3
	s_branch .LBB140_2
.LBB140_7:
	v_mov_b64_e32 v[30:31], 0
	v_mov_b64_e32 v[32:33], 0
	;; [unrolled: 1-line block ×8, first 2 shown]
.LBB140_8:
	s_load_dwordx2 s[2:3], s[0:1], 0x90
	s_load_dwordx4 s[8:11], s[0:1], 0x80
	v_lshl_add_u64 v[0:1], s[26:27], 0, v[6:7]
	s_waitcnt lgkmcnt(0)
	s_mul_i32 s1, s3, s4
	s_mul_hi_u32 s3, s2, s4
	s_mul_i32 s0, s2, s4
	s_add_i32 s1, s3, s1
	s_lshl_b64 s[0:1], s[0:1], 4
	s_add_u32 s8, s8, s0
	s_addc_u32 s9, s9, s1
	v_cmp_neq_f64_e64 s[0:1], s[14:15], 0
	v_cmp_neq_f64_e64 s[2:3], s[16:17], 0
	s_or_b64 s[6:7], s[0:1], s[2:3]
	v_cmp_gt_i64_e64 s[0:1], s[38:39], v[0:1]
	s_mov_b64 s[2:3], -1
	s_and_b64 vcc, exec, s[6:7]
	s_cbranch_vccnz .LBB140_20
; %bb.9:
	s_and_saveexec_b64 s[12:13], s[0:1]
	s_cbranch_execz .LBB140_19
; %bb.10:
	v_mul_lo_u32 v8, v1, s10
	v_mul_lo_u32 v9, v0, s11
	v_mad_u64_u32 v[6:7], s[2:3], v0, s10, 0
	v_add3_u32 v7, v7, v9, v8
	v_lshl_add_u64 v[2:3], s[24:25], 0, v[4:5]
	v_lshl_add_u64 v[6:7], v[6:7], 4, s[8:9]
	v_cmp_gt_i64_e32 vcc, s[36:37], v[2:3]
	v_lshl_add_u64 v[8:9], v[2:3], 4, v[6:7]
	s_and_saveexec_b64 s[2:3], vcc
	s_cbranch_execz .LBB140_12
; %bb.11:
	v_mul_f64 v[10:11], s[44:45], v[32:33]
	v_mul_f64 v[12:13], s[42:43], v[32:33]
	v_fma_f64 v[10:11], s[42:43], v[30:31], -v[10:11]
	v_fmac_f64_e32 v[12:13], s[44:45], v[30:31]
	global_store_dwordx4 v[8:9], v[10:13], off
.LBB140_12:
	s_or_b64 exec, exec, s[2:3]
	s_nop 0
	v_lshl_add_u64 v[10:11], v[2:3], 0, 16
	v_cmp_gt_i64_e64 s[2:3], s[36:37], v[10:11]
	s_and_saveexec_b64 s[6:7], s[2:3]
	s_cbranch_execz .LBB140_14
; %bb.13:
	v_mul_f64 v[10:11], s[44:45], v[28:29]
	v_mul_f64 v[12:13], s[42:43], v[28:29]
	v_fma_f64 v[10:11], s[42:43], v[26:27], -v[10:11]
	v_fmac_f64_e32 v[12:13], s[44:45], v[26:27]
	global_store_dwordx4 v[8:9], v[10:13], off offset:256
.LBB140_14:
	s_or_b64 exec, exec, s[6:7]
	v_lshl_add_u64 v[8:9], v[0:1], 0, 16
	v_cmp_gt_i64_e64 s[6:7], s[38:39], v[8:9]
	s_and_b64 exec, exec, s[6:7]
	s_cbranch_execz .LBB140_19
; %bb.15:
	s_lshl_b64 s[6:7], s[10:11], 8
	v_lshl_add_u64 v[6:7], v[6:7], 0, s[6:7]
	v_lshl_add_u64 v[2:3], v[2:3], 4, v[6:7]
	s_and_saveexec_b64 s[6:7], vcc
	s_cbranch_execz .LBB140_17
; %bb.16:
	v_mul_f64 v[6:7], s[44:45], v[24:25]
	v_mul_f64 v[8:9], s[42:43], v[24:25]
	v_fma_f64 v[6:7], s[42:43], v[22:23], -v[6:7]
	v_fmac_f64_e32 v[8:9], s[44:45], v[22:23]
	global_store_dwordx4 v[2:3], v[6:9], off
.LBB140_17:
	s_or_b64 exec, exec, s[6:7]
	s_and_b64 exec, exec, s[2:3]
	s_cbranch_execz .LBB140_19
; %bb.18:
	v_mul_f64 v[6:7], s[44:45], v[18:19]
	v_mul_f64 v[8:9], s[42:43], v[18:19]
	v_fma_f64 v[6:7], s[42:43], v[20:21], -v[6:7]
	v_fmac_f64_e32 v[8:9], s[44:45], v[20:21]
	global_store_dwordx4 v[2:3], v[6:9], off offset:256
.LBB140_19:
	s_or_b64 exec, exec, s[12:13]
	s_mov_b64 s[2:3], 0
.LBB140_20:
	s_andn2_b64 vcc, exec, s[2:3]
	s_cbranch_vccnz .LBB140_31
; %bb.21:
	s_and_saveexec_b64 s[2:3], s[0:1]
	s_cbranch_execz .LBB140_31
; %bb.22:
	s_mul_i32 s0, s23, s4
	s_mul_hi_u32 s1, s22, s4
	s_add_i32 s1, s1, s0
	s_mul_i32 s0, s22, s4
	s_lshl_b64 s[0:1], s[0:1], 4
	v_lshl_add_u64 v[8:9], s[24:25], 0, v[4:5]
	v_mul_lo_u32 v4, v1, s20
	v_mul_lo_u32 v5, v0, s21
	v_mad_u64_u32 v[2:3], s[2:3], v0, s20, 0
	s_add_u32 s0, s18, s0
	v_add3_u32 v3, v3, v5, v4
	v_mul_lo_u32 v6, v1, s10
	v_mul_lo_u32 v7, v0, s11
	v_mad_u64_u32 v[4:5], s[2:3], v0, s10, 0
	s_addc_u32 s1, s19, s1
	v_add3_u32 v5, v5, v7, v6
	v_cmp_gt_i64_e32 vcc, s[36:37], v[8:9]
	v_lshl_add_u64 v[6:7], v[2:3], 4, s[0:1]
	v_lshl_add_u64 v[4:5], v[4:5], 4, s[8:9]
	v_lshlrev_b64 v[2:3], 4, v[8:9]
	s_and_saveexec_b64 s[0:1], vcc
	s_cbranch_execz .LBB140_24
; %bb.23:
	v_lshl_add_u64 v[10:11], v[6:7], 0, v[2:3]
	global_load_dwordx4 v[10:13], v[10:11], off
	v_mul_f64 v[14:15], s[44:45], v[32:33]
	v_mul_f64 v[16:17], s[42:43], v[32:33]
	v_fma_f64 v[14:15], s[42:43], v[30:31], -v[14:15]
	v_fmac_f64_e32 v[16:17], s[44:45], v[30:31]
	s_waitcnt vmcnt(0)
	v_mul_f64 v[30:31], s[16:17], v[12:13]
	v_mul_f64 v[12:13], s[14:15], v[12:13]
	v_fma_f64 v[30:31], s[14:15], v[10:11], -v[30:31]
	v_fmac_f64_e32 v[12:13], s[16:17], v[10:11]
	v_add_f64 v[10:11], v[14:15], v[30:31]
	v_add_f64 v[12:13], v[16:17], v[12:13]
	v_lshl_add_u64 v[14:15], v[4:5], 0, v[2:3]
	global_store_dwordx4 v[14:15], v[10:13], off
.LBB140_24:
	s_or_b64 exec, exec, s[0:1]
	v_lshl_add_u64 v[8:9], v[8:9], 0, 16
	v_cmp_gt_i64_e64 s[0:1], s[36:37], v[8:9]
	s_and_saveexec_b64 s[2:3], s[0:1]
	s_cbranch_execz .LBB140_26
; %bb.25:
	v_lshl_add_u64 v[8:9], v[6:7], 0, v[2:3]
	global_load_dwordx4 v[8:11], v[8:9], off offset:256
	v_mul_f64 v[12:13], s[44:45], v[28:29]
	v_mul_f64 v[14:15], s[42:43], v[28:29]
	v_fma_f64 v[12:13], s[42:43], v[26:27], -v[12:13]
	v_fmac_f64_e32 v[14:15], s[44:45], v[26:27]
	s_waitcnt vmcnt(0)
	v_mul_f64 v[16:17], s[16:17], v[10:11]
	v_mul_f64 v[10:11], s[14:15], v[10:11]
	v_fma_f64 v[16:17], s[14:15], v[8:9], -v[16:17]
	v_fmac_f64_e32 v[10:11], s[16:17], v[8:9]
	v_add_f64 v[8:9], v[12:13], v[16:17]
	v_add_f64 v[10:11], v[14:15], v[10:11]
	v_lshl_add_u64 v[12:13], v[4:5], 0, v[2:3]
	global_store_dwordx4 v[12:13], v[8:11], off offset:256
.LBB140_26:
	s_or_b64 exec, exec, s[2:3]
	v_lshl_add_u64 v[0:1], v[0:1], 0, 16
	v_cmp_gt_i64_e64 s[2:3], s[38:39], v[0:1]
	s_and_b64 exec, exec, s[2:3]
	s_cbranch_execz .LBB140_31
; %bb.27:
	s_lshl_b64 s[2:3], s[20:21], 8
	v_lshl_add_u64 v[0:1], v[6:7], 0, s[2:3]
	s_lshl_b64 s[2:3], s[10:11], 8
	v_lshl_add_u64 v[6:7], v[4:5], 0, s[2:3]
	v_lshl_add_u64 v[4:5], v[0:1], 0, v[2:3]
	;; [unrolled: 1-line block ×3, first 2 shown]
	s_and_saveexec_b64 s[2:3], vcc
	s_cbranch_execz .LBB140_29
; %bb.28:
	global_load_dwordx4 v[6:9], v[4:5], off
	v_mul_f64 v[2:3], s[44:45], v[24:25]
	v_mul_f64 v[10:11], s[42:43], v[24:25]
	v_fma_f64 v[2:3], s[42:43], v[22:23], -v[2:3]
	v_fmac_f64_e32 v[10:11], s[44:45], v[22:23]
	s_waitcnt vmcnt(0)
	v_mul_f64 v[12:13], s[16:17], v[8:9]
	v_mul_f64 v[8:9], s[14:15], v[8:9]
	v_fma_f64 v[12:13], s[14:15], v[6:7], -v[12:13]
	v_fmac_f64_e32 v[8:9], s[16:17], v[6:7]
	v_add_f64 v[6:7], v[2:3], v[12:13]
	v_add_f64 v[8:9], v[10:11], v[8:9]
	global_store_dwordx4 v[0:1], v[6:9], off
.LBB140_29:
	s_or_b64 exec, exec, s[2:3]
	s_and_b64 exec, exec, s[0:1]
	s_cbranch_execz .LBB140_31
; %bb.30:
	global_load_dwordx4 v[2:5], v[4:5], off offset:256
	v_mul_f64 v[6:7], s[44:45], v[18:19]
	v_mul_f64 v[8:9], s[42:43], v[18:19]
	v_fma_f64 v[6:7], s[42:43], v[20:21], -v[6:7]
	v_fmac_f64_e32 v[8:9], s[44:45], v[20:21]
	s_waitcnt vmcnt(0)
	v_mul_f64 v[10:11], s[16:17], v[4:5]
	v_mul_f64 v[4:5], s[14:15], v[4:5]
	v_fma_f64 v[10:11], s[14:15], v[2:3], -v[10:11]
	v_fmac_f64_e32 v[4:5], s[16:17], v[2:3]
	v_add_f64 v[2:3], v[6:7], v[10:11]
	v_add_f64 v[4:5], v[8:9], v[4:5]
	global_store_dwordx4 v[0:1], v[2:5], off offset:256
.LBB140_31:
	s_endpgm
	.section	.rodata,"a",@progbits
	.p2align	6, 0x0
	.amdhsa_kernel _ZN12_GLOBAL__N_135rocblas_gemm_batched_general_kernelI19rocblas_complex_numIdELi16ELi16ELi32ELi32ELi8ELi32ELi8ELi8ELi32ELc67ELc67EKS2_S3_S2_EEvlllT_PT11_llS6_llS4_PT12_llPT13_lli
		.amdhsa_group_segment_fixed_size 8192
		.amdhsa_private_segment_fixed_size 0
		.amdhsa_kernarg_size 156
		.amdhsa_user_sgpr_count 2
		.amdhsa_user_sgpr_dispatch_ptr 0
		.amdhsa_user_sgpr_queue_ptr 0
		.amdhsa_user_sgpr_kernarg_segment_ptr 1
		.amdhsa_user_sgpr_dispatch_id 0
		.amdhsa_user_sgpr_kernarg_preload_length 0
		.amdhsa_user_sgpr_kernarg_preload_offset 0
		.amdhsa_user_sgpr_private_segment_size 0
		.amdhsa_uses_dynamic_stack 0
		.amdhsa_enable_private_segment 0
		.amdhsa_system_sgpr_workgroup_id_x 1
		.amdhsa_system_sgpr_workgroup_id_y 1
		.amdhsa_system_sgpr_workgroup_id_z 1
		.amdhsa_system_sgpr_workgroup_info 0
		.amdhsa_system_vgpr_workitem_id 1
		.amdhsa_next_free_vgpr 64
		.amdhsa_next_free_sgpr 52
		.amdhsa_accum_offset 64
		.amdhsa_reserve_vcc 1
		.amdhsa_float_round_mode_32 0
		.amdhsa_float_round_mode_16_64 0
		.amdhsa_float_denorm_mode_32 3
		.amdhsa_float_denorm_mode_16_64 3
		.amdhsa_dx10_clamp 1
		.amdhsa_ieee_mode 1
		.amdhsa_fp16_overflow 0
		.amdhsa_tg_split 0
		.amdhsa_exception_fp_ieee_invalid_op 0
		.amdhsa_exception_fp_denorm_src 0
		.amdhsa_exception_fp_ieee_div_zero 0
		.amdhsa_exception_fp_ieee_overflow 0
		.amdhsa_exception_fp_ieee_underflow 0
		.amdhsa_exception_fp_ieee_inexact 0
		.amdhsa_exception_int_div_zero 0
	.end_amdhsa_kernel
	.section	.text._ZN12_GLOBAL__N_135rocblas_gemm_batched_general_kernelI19rocblas_complex_numIdELi16ELi16ELi32ELi32ELi8ELi32ELi8ELi8ELi32ELc67ELc67EKS2_S3_S2_EEvlllT_PT11_llS6_llS4_PT12_llPT13_lli,"axG",@progbits,_ZN12_GLOBAL__N_135rocblas_gemm_batched_general_kernelI19rocblas_complex_numIdELi16ELi16ELi32ELi32ELi8ELi32ELi8ELi8ELi32ELc67ELc67EKS2_S3_S2_EEvlllT_PT11_llS6_llS4_PT12_llPT13_lli,comdat
.Lfunc_end140:
	.size	_ZN12_GLOBAL__N_135rocblas_gemm_batched_general_kernelI19rocblas_complex_numIdELi16ELi16ELi32ELi32ELi8ELi32ELi8ELi8ELi32ELc67ELc67EKS2_S3_S2_EEvlllT_PT11_llS6_llS4_PT12_llPT13_lli, .Lfunc_end140-_ZN12_GLOBAL__N_135rocblas_gemm_batched_general_kernelI19rocblas_complex_numIdELi16ELi16ELi32ELi32ELi8ELi32ELi8ELi8ELi32ELc67ELc67EKS2_S3_S2_EEvlllT_PT11_llS6_llS4_PT12_llPT13_lli
                                        ; -- End function
	.set _ZN12_GLOBAL__N_135rocblas_gemm_batched_general_kernelI19rocblas_complex_numIdELi16ELi16ELi32ELi32ELi8ELi32ELi8ELi8ELi32ELc67ELc67EKS2_S3_S2_EEvlllT_PT11_llS6_llS4_PT12_llPT13_lli.num_vgpr, 64
	.set _ZN12_GLOBAL__N_135rocblas_gemm_batched_general_kernelI19rocblas_complex_numIdELi16ELi16ELi32ELi32ELi8ELi32ELi8ELi8ELi32ELc67ELc67EKS2_S3_S2_EEvlllT_PT11_llS6_llS4_PT12_llPT13_lli.num_agpr, 0
	.set _ZN12_GLOBAL__N_135rocblas_gemm_batched_general_kernelI19rocblas_complex_numIdELi16ELi16ELi32ELi32ELi8ELi32ELi8ELi8ELi32ELc67ELc67EKS2_S3_S2_EEvlllT_PT11_llS6_llS4_PT12_llPT13_lli.numbered_sgpr, 52
	.set _ZN12_GLOBAL__N_135rocblas_gemm_batched_general_kernelI19rocblas_complex_numIdELi16ELi16ELi32ELi32ELi8ELi32ELi8ELi8ELi32ELc67ELc67EKS2_S3_S2_EEvlllT_PT11_llS6_llS4_PT12_llPT13_lli.num_named_barrier, 0
	.set _ZN12_GLOBAL__N_135rocblas_gemm_batched_general_kernelI19rocblas_complex_numIdELi16ELi16ELi32ELi32ELi8ELi32ELi8ELi8ELi32ELc67ELc67EKS2_S3_S2_EEvlllT_PT11_llS6_llS4_PT12_llPT13_lli.private_seg_size, 0
	.set _ZN12_GLOBAL__N_135rocblas_gemm_batched_general_kernelI19rocblas_complex_numIdELi16ELi16ELi32ELi32ELi8ELi32ELi8ELi8ELi32ELc67ELc67EKS2_S3_S2_EEvlllT_PT11_llS6_llS4_PT12_llPT13_lli.uses_vcc, 1
	.set _ZN12_GLOBAL__N_135rocblas_gemm_batched_general_kernelI19rocblas_complex_numIdELi16ELi16ELi32ELi32ELi8ELi32ELi8ELi8ELi32ELc67ELc67EKS2_S3_S2_EEvlllT_PT11_llS6_llS4_PT12_llPT13_lli.uses_flat_scratch, 0
	.set _ZN12_GLOBAL__N_135rocblas_gemm_batched_general_kernelI19rocblas_complex_numIdELi16ELi16ELi32ELi32ELi8ELi32ELi8ELi8ELi32ELc67ELc67EKS2_S3_S2_EEvlllT_PT11_llS6_llS4_PT12_llPT13_lli.has_dyn_sized_stack, 0
	.set _ZN12_GLOBAL__N_135rocblas_gemm_batched_general_kernelI19rocblas_complex_numIdELi16ELi16ELi32ELi32ELi8ELi32ELi8ELi8ELi32ELc67ELc67EKS2_S3_S2_EEvlllT_PT11_llS6_llS4_PT12_llPT13_lli.has_recursion, 0
	.set _ZN12_GLOBAL__N_135rocblas_gemm_batched_general_kernelI19rocblas_complex_numIdELi16ELi16ELi32ELi32ELi8ELi32ELi8ELi8ELi32ELc67ELc67EKS2_S3_S2_EEvlllT_PT11_llS6_llS4_PT12_llPT13_lli.has_indirect_call, 0
	.section	.AMDGPU.csdata,"",@progbits
; Kernel info:
; codeLenInByte = 3504
; TotalNumSgprs: 58
; NumVgprs: 64
; NumAgprs: 0
; TotalNumVgprs: 64
; ScratchSize: 0
; MemoryBound: 1
; FloatMode: 240
; IeeeMode: 1
; LDSByteSize: 8192 bytes/workgroup (compile time only)
; SGPRBlocks: 7
; VGPRBlocks: 7
; NumSGPRsForWavesPerEU: 58
; NumVGPRsForWavesPerEU: 64
; AccumOffset: 64
; Occupancy: 8
; WaveLimiterHint : 0
; COMPUTE_PGM_RSRC2:SCRATCH_EN: 0
; COMPUTE_PGM_RSRC2:USER_SGPR: 2
; COMPUTE_PGM_RSRC2:TRAP_HANDLER: 0
; COMPUTE_PGM_RSRC2:TGID_X_EN: 1
; COMPUTE_PGM_RSRC2:TGID_Y_EN: 1
; COMPUTE_PGM_RSRC2:TGID_Z_EN: 1
; COMPUTE_PGM_RSRC2:TIDIG_COMP_CNT: 1
; COMPUTE_PGM_RSRC3_GFX90A:ACCUM_OFFSET: 15
; COMPUTE_PGM_RSRC3_GFX90A:TG_SPLIT: 0
	.section	.text._ZN12_GLOBAL__N_135rocblas_gemm_batched_general_kernelI19rocblas_complex_numIdELi16ELi16ELi32ELi32ELi8ELi32ELi8ELi8ELi32ELc67ELc78EKS2_S3_S2_EEvlllT_PT11_llS6_llS4_PT12_llPT13_lli,"axG",@progbits,_ZN12_GLOBAL__N_135rocblas_gemm_batched_general_kernelI19rocblas_complex_numIdELi16ELi16ELi32ELi32ELi8ELi32ELi8ELi8ELi32ELc67ELc78EKS2_S3_S2_EEvlllT_PT11_llS6_llS4_PT12_llPT13_lli,comdat
	.globl	_ZN12_GLOBAL__N_135rocblas_gemm_batched_general_kernelI19rocblas_complex_numIdELi16ELi16ELi32ELi32ELi8ELi32ELi8ELi8ELi32ELc67ELc78EKS2_S3_S2_EEvlllT_PT11_llS6_llS4_PT12_llPT13_lli ; -- Begin function _ZN12_GLOBAL__N_135rocblas_gemm_batched_general_kernelI19rocblas_complex_numIdELi16ELi16ELi32ELi32ELi8ELi32ELi8ELi8ELi32ELc67ELc78EKS2_S3_S2_EEvlllT_PT11_llS6_llS4_PT12_llPT13_lli
	.p2align	8
	.type	_ZN12_GLOBAL__N_135rocblas_gemm_batched_general_kernelI19rocblas_complex_numIdELi16ELi16ELi32ELi32ELi8ELi32ELi8ELi8ELi32ELc67ELc78EKS2_S3_S2_EEvlllT_PT11_llS6_llS4_PT12_llPT13_lli,@function
_ZN12_GLOBAL__N_135rocblas_gemm_batched_general_kernelI19rocblas_complex_numIdELi16ELi16ELi32ELi32ELi8ELi32ELi8ELi8ELi32ELc67ELc78EKS2_S3_S2_EEvlllT_PT11_llS6_llS4_PT12_llPT13_lli: ; @_ZN12_GLOBAL__N_135rocblas_gemm_batched_general_kernelI19rocblas_complex_numIdELi16ELi16ELi32ELi32ELi8ELi32ELi8ELi8ELi32ELc67ELc78EKS2_S3_S2_EEvlllT_PT11_llS6_llS4_PT12_llPT13_lli
; %bb.0:
	s_load_dwordx16 s[36:51], s[0:1], 0x0
	s_load_dwordx16 s[8:23], s[0:1], 0x40
	s_mov_b32 s6, s3
	s_ashr_i32 s3, s2, 31
	v_mov_b32_e32 v7, 0
	s_lshl_b64 s[24:25], s[2:3], 5
	s_ashr_i32 s7, s6, 31
	s_waitcnt lgkmcnt(0)
	v_cmp_lt_i64_e64 s[2:3], s[40:41], 1
	v_and_b32_e32 v4, 0x3ff, v0
	v_bfe_u32 v6, v0, 10, 10
	v_mov_b32_e32 v5, v7
	s_lshl_b64 s[6:7], s[6:7], 5
	s_and_b64 vcc, exec, s[2:3]
	s_cbranch_vccnz .LBB141_9
; %bb.1:
	v_lshl_add_u32 v12, v6, 4, v4
	v_and_b32_e32 v14, 31, v12
	v_lshrrev_b32_e32 v8, 5, v12
	v_and_b32_e32 v10, 7, v4
	v_lshrrev_b32_e32 v0, 3, v12
	v_or_b32_e32 v12, s24, v14
	v_mov_b32_e32 v13, s25
	v_mov_b32_e32 v1, v7
	v_cmp_gt_i64_e64 s[2:3], s[36:37], v[12:13]
	v_lshlrev_b32_e32 v12, 4, v10
	v_lshl_add_u64 v[2:3], v[0:1], 0, s[6:7]
	v_lshl_or_b32 v0, v0, 7, v12
	v_lshlrev_b32_e32 v1, 4, v14
	v_add_u32_e32 v35, 0x1000, v0
	v_mov_b32_e32 v0, 0x1000
	v_lshl_or_b32 v34, v8, 9, v1
	v_cmp_gt_i64_e32 vcc, s[38:39], v[2:3]
	v_lshl_add_u32 v37, v6, 7, v0
	v_mul_lo_u32 v13, s11, v2
	v_mul_lo_u32 v3, s10, v3
	v_mad_u64_u32 v[0:1], s[10:11], s10, v2, 0
	s_mul_i32 s5, s13, s4
	s_mul_hi_u32 s10, s12, s4
	s_add_i32 s11, s10, s5
	s_mul_i32 s10, s12, s4
	v_add3_u32 v1, v1, v3, v13
	s_lshl_b64 s[10:11], s[10:11], 4
	v_lshl_add_u64 v[0:1], v[0:1], 4, s[10:11]
	v_mov_b32_e32 v13, v7
	v_mov_b32_e32 v15, v7
	v_lshl_add_u64 v[0:1], v[0:1], 0, v[12:13]
	v_lshl_add_u64 v[12:13], s[8:9], 0, v[0:1]
	;; [unrolled: 1-line block ×3, first 2 shown]
	v_mul_lo_u32 v2, s49, v0
	v_mul_lo_u32 v3, s48, v1
	v_mad_u64_u32 v[0:1], s[8:9], s48, v0, 0
	s_mul_i32 s5, s51, s4
	s_mul_hi_u32 s8, s50, s4
	s_add_i32 s9, s8, s5
	s_mul_i32 s8, s50, s4
	v_add3_u32 v1, v1, v3, v2
	s_lshl_b64 s[8:9], s[8:9], 4
	v_lshl_add_u64 v[0:1], v[0:1], 4, s[8:9]
	v_lshlrev_b32_e32 v2, 4, v8
	v_mov_b32_e32 v3, v7
	v_lshl_add_u64 v[0:1], v[0:1], 0, v[2:3]
	v_lshl_add_u64 v[0:1], s[46:47], 0, v[0:1]
	v_mov_b32_e32 v9, v7
	v_mov_b32_e32 v11, v7
	v_lshlrev_b32_e32 v36, 4, v4
	v_lshl_add_u64 v[14:15], v[0:1], 0, 8
	s_mov_b64 s[8:9], 0
	v_mov_b64_e32 v[18:19], 0
	s_xor_b64 s[10:11], vcc, -1
	s_mov_b64 s[12:13], 0x80
	v_mov_b32_e32 v38, v7
	v_mov_b32_e32 v39, v7
	;; [unrolled: 1-line block ×4, first 2 shown]
	v_mov_b64_e32 v[16:17], s[40:41]
	v_mov_b64_e32 v[20:21], 0
	;; [unrolled: 1-line block ×8, first 2 shown]
	s_branch .LBB141_3
.LBB141_2:                              ;   in Loop: Header=BB141_3 Depth=1
	s_or_b64 exec, exec, s[26:27]
	s_waitcnt lgkmcnt(0)
	s_barrier
	ds_read_b128 v[0:3], v36
	ds_read_b128 v[42:45], v37
	ds_read_b128 v[46:49], v37 offset:16
	ds_read_b128 v[50:53], v37 offset:32
	ds_read_b128 v[54:57], v37 offset:48
	ds_read_b128 v[58:61], v36 offset:256
	s_waitcnt lgkmcnt(4)
	v_mul_f64 v[62:63], v[44:45], v[2:3]
	v_fma_f64 v[62:63], v[42:43], v[0:1], -v[62:63]
	v_mul_f64 v[64:65], v[42:43], v[2:3]
	v_fmac_f64_e32 v[64:65], v[44:45], v[0:1]
	v_add_f64 v[62:63], v[30:31], v[62:63]
	s_waitcnt lgkmcnt(0)
	v_mul_f64 v[30:31], v[44:45], v[60:61]
	v_add_f64 v[64:65], v[64:65], v[32:33]
	v_fma_f64 v[66:67], v[42:43], v[58:59], -v[30:31]
	ds_read_b128 v[30:33], v37 offset:2048
	v_mul_f64 v[42:43], v[42:43], v[60:61]
	v_fmac_f64_e32 v[42:43], v[44:45], v[58:59]
	v_add_f64 v[44:45], v[26:27], v[66:67]
	v_add_f64 v[42:43], v[42:43], v[28:29]
	ds_read_b128 v[26:29], v37 offset:2064
	s_waitcnt lgkmcnt(1)
	v_mul_f64 v[66:67], v[32:33], v[2:3]
	v_mul_f64 v[2:3], v[30:31], v[2:3]
	v_fma_f64 v[66:67], v[30:31], v[0:1], -v[66:67]
	v_fmac_f64_e32 v[2:3], v[32:33], v[0:1]
	v_mul_f64 v[0:1], v[32:33], v[60:61]
	v_add_f64 v[22:23], v[22:23], v[66:67]
	v_add_f64 v[24:25], v[2:3], v[24:25]
	v_fma_f64 v[66:67], v[30:31], v[58:59], -v[0:1]
	v_mul_f64 v[30:31], v[30:31], v[60:61]
	ds_read_b128 v[0:3], v36 offset:512
	v_fmac_f64_e32 v[30:31], v[32:33], v[58:59]
	v_add_f64 v[32:33], v[20:21], v[66:67]
	v_add_f64 v[30:31], v[30:31], v[18:19]
	ds_read_b128 v[18:21], v36 offset:768
	s_waitcnt lgkmcnt(1)
	v_mul_f64 v[58:59], v[48:49], v[2:3]
	v_fma_f64 v[58:59], v[46:47], v[0:1], -v[58:59]
	v_add_f64 v[58:59], v[62:63], v[58:59]
	v_mul_f64 v[60:61], v[46:47], v[2:3]
	s_waitcnt lgkmcnt(0)
	v_mul_f64 v[62:63], v[48:49], v[20:21]
	v_fma_f64 v[62:63], v[46:47], v[18:19], -v[62:63]
	v_mul_f64 v[46:47], v[46:47], v[20:21]
	v_fmac_f64_e32 v[46:47], v[48:49], v[18:19]
	v_add_f64 v[42:43], v[46:47], v[42:43]
	v_mul_f64 v[46:47], v[28:29], v[2:3]
	v_mul_f64 v[2:3], v[26:27], v[2:3]
	v_fmac_f64_e32 v[60:61], v[48:49], v[0:1]
	v_fma_f64 v[46:47], v[26:27], v[0:1], -v[46:47]
	v_fmac_f64_e32 v[2:3], v[28:29], v[0:1]
	v_mul_f64 v[0:1], v[28:29], v[20:21]
	v_add_f64 v[46:47], v[22:23], v[46:47]
	v_add_f64 v[48:49], v[2:3], v[24:25]
	v_fma_f64 v[22:23], v[26:27], v[18:19], -v[0:1]
	v_mul_f64 v[20:21], v[26:27], v[20:21]
	ds_read_b128 v[0:3], v36 offset:1024
	v_fmac_f64_e32 v[20:21], v[28:29], v[18:19]
	v_add_f64 v[30:31], v[20:21], v[30:31]
	ds_read_b128 v[18:21], v36 offset:1280
	v_add_f64 v[32:33], v[32:33], v[22:23]
	s_waitcnt lgkmcnt(1)
	v_mul_f64 v[22:23], v[52:53], v[2:3]
	v_fma_f64 v[22:23], v[50:51], v[0:1], -v[22:23]
	v_mul_f64 v[24:25], v[50:51], v[2:3]
	v_add_f64 v[60:61], v[60:61], v[64:65]
	v_fmac_f64_e32 v[24:25], v[52:53], v[0:1]
	v_add_f64 v[58:59], v[58:59], v[22:23]
	s_waitcnt lgkmcnt(0)
	v_mul_f64 v[22:23], v[52:53], v[20:21]
	v_add_f64 v[60:61], v[24:25], v[60:61]
	v_fma_f64 v[26:27], v[50:51], v[18:19], -v[22:23]
	ds_read_b128 v[22:25], v37 offset:2080
	v_mul_f64 v[28:29], v[50:51], v[20:21]
	v_add_f64 v[44:45], v[44:45], v[62:63]
	v_fmac_f64_e32 v[28:29], v[52:53], v[18:19]
	v_add_f64 v[44:45], v[44:45], v[26:27]
	v_add_f64 v[42:43], v[28:29], v[42:43]
	ds_read_b128 v[26:29], v37 offset:2096
	s_waitcnt lgkmcnt(1)
	v_mul_f64 v[50:51], v[24:25], v[2:3]
	v_mul_f64 v[2:3], v[22:23], v[2:3]
	v_fma_f64 v[50:51], v[22:23], v[0:1], -v[50:51]
	v_fmac_f64_e32 v[2:3], v[24:25], v[0:1]
	v_mul_f64 v[0:1], v[24:25], v[20:21]
	v_mul_f64 v[20:21], v[22:23], v[20:21]
	v_fmac_f64_e32 v[20:21], v[24:25], v[18:19]
	v_add_f64 v[46:47], v[46:47], v[50:51]
	v_add_f64 v[48:49], v[2:3], v[48:49]
	v_fma_f64 v[50:51], v[22:23], v[18:19], -v[0:1]
	ds_read_b128 v[0:3], v36 offset:1536
	v_add_f64 v[24:25], v[20:21], v[30:31]
	ds_read_b128 v[18:21], v36 offset:1792
	v_add_f64 v[22:23], v[32:33], v[50:51]
	s_add_u32 s8, s8, 8
	s_waitcnt lgkmcnt(1)
	v_mul_f64 v[30:31], v[56:57], v[2:3]
	v_mul_f64 v[32:33], v[54:55], v[2:3]
	s_waitcnt lgkmcnt(0)
	v_mul_f64 v[50:51], v[56:57], v[20:21]
	v_fma_f64 v[50:51], v[54:55], v[18:19], -v[50:51]
	v_add_f64 v[44:45], v[44:45], v[50:51]
	v_mul_f64 v[50:51], v[28:29], v[2:3]
	v_mul_f64 v[2:3], v[26:27], v[2:3]
	v_fma_f64 v[30:31], v[54:55], v[0:1], -v[30:31]
	v_fmac_f64_e32 v[32:33], v[56:57], v[0:1]
	v_fma_f64 v[50:51], v[26:27], v[0:1], -v[50:51]
	v_fmac_f64_e32 v[2:3], v[28:29], v[0:1]
	v_mul_f64 v[0:1], v[28:29], v[20:21]
	v_mul_f64 v[52:53], v[54:55], v[20:21]
	v_add_f64 v[46:47], v[46:47], v[50:51]
	v_fma_f64 v[50:51], v[26:27], v[18:19], -v[0:1]
	v_mul_f64 v[26:27], v[26:27], v[20:21]
	v_fmac_f64_e32 v[52:53], v[56:57], v[18:19]
	v_add_f64 v[48:49], v[2:3], v[48:49]
	v_fmac_f64_e32 v[26:27], v[28:29], v[18:19]
	ds_read_b128 v[0:3], v37 offset:64
	ds_read_b128 v[18:21], v36 offset:2048
	v_add_f64 v[42:43], v[52:53], v[42:43]
	v_add_f64 v[50:51], v[22:23], v[50:51]
	;; [unrolled: 1-line block ×3, first 2 shown]
	ds_read_b128 v[22:25], v36 offset:2304
	ds_read_b128 v[26:29], v37 offset:80
	s_waitcnt lgkmcnt(2)
	v_mul_f64 v[54:55], v[2:3], v[20:21]
	v_add_f64 v[30:31], v[58:59], v[30:31]
	v_fma_f64 v[54:55], v[0:1], v[18:19], -v[54:55]
	v_mul_f64 v[56:57], v[0:1], v[20:21]
	v_add_f64 v[32:33], v[32:33], v[60:61]
	v_fmac_f64_e32 v[56:57], v[2:3], v[18:19]
	v_add_f64 v[54:55], v[30:31], v[54:55]
	s_waitcnt lgkmcnt(1)
	v_mul_f64 v[30:31], v[2:3], v[24:25]
	v_add_f64 v[56:57], v[56:57], v[32:33]
	v_fma_f64 v[58:59], v[0:1], v[22:23], -v[30:31]
	ds_read_b128 v[30:33], v37 offset:2112
	v_mul_f64 v[0:1], v[0:1], v[24:25]
	v_fmac_f64_e32 v[0:1], v[2:3], v[22:23]
	v_add_f64 v[44:45], v[44:45], v[58:59]
	v_add_f64 v[42:43], v[0:1], v[42:43]
	ds_read_b128 v[0:3], v37 offset:2128
	s_waitcnt lgkmcnt(1)
	v_mul_f64 v[58:59], v[32:33], v[20:21]
	v_mul_f64 v[20:21], v[30:31], v[20:21]
	v_fma_f64 v[58:59], v[30:31], v[18:19], -v[58:59]
	v_fmac_f64_e32 v[20:21], v[32:33], v[18:19]
	v_mul_f64 v[18:19], v[32:33], v[24:25]
	v_add_f64 v[46:47], v[46:47], v[58:59]
	v_add_f64 v[48:49], v[20:21], v[48:49]
	v_fma_f64 v[58:59], v[30:31], v[22:23], -v[18:19]
	v_mul_f64 v[24:25], v[30:31], v[24:25]
	ds_read_b128 v[18:21], v36 offset:2560
	v_fmac_f64_e32 v[24:25], v[32:33], v[22:23]
	v_add_f64 v[32:33], v[24:25], v[52:53]
	ds_read_b128 v[22:25], v36 offset:2816
	v_add_f64 v[30:31], v[50:51], v[58:59]
	s_waitcnt lgkmcnt(1)
	v_mul_f64 v[50:51], v[28:29], v[20:21]
	v_fma_f64 v[50:51], v[26:27], v[18:19], -v[50:51]
	v_add_f64 v[50:51], v[54:55], v[50:51]
	s_waitcnt lgkmcnt(0)
	v_mul_f64 v[54:55], v[28:29], v[24:25]
	v_mul_f64 v[52:53], v[26:27], v[20:21]
	v_fma_f64 v[54:55], v[26:27], v[22:23], -v[54:55]
	v_mul_f64 v[26:27], v[26:27], v[24:25]
	v_fmac_f64_e32 v[26:27], v[28:29], v[22:23]
	v_add_f64 v[42:43], v[26:27], v[42:43]
	v_mul_f64 v[26:27], v[2:3], v[20:21]
	v_mul_f64 v[20:21], v[0:1], v[20:21]
	v_fmac_f64_e32 v[52:53], v[28:29], v[18:19]
	v_fma_f64 v[26:27], v[0:1], v[18:19], -v[26:27]
	v_fmac_f64_e32 v[20:21], v[2:3], v[18:19]
	v_mul_f64 v[18:19], v[2:3], v[24:25]
	v_mul_f64 v[24:25], v[0:1], v[24:25]
	v_add_f64 v[46:47], v[46:47], v[26:27]
	v_add_f64 v[48:49], v[20:21], v[48:49]
	v_fma_f64 v[26:27], v[0:1], v[22:23], -v[18:19]
	v_fmac_f64_e32 v[24:25], v[2:3], v[22:23]
	ds_read_b128 v[0:3], v37 offset:96
	ds_read_b128 v[18:21], v36 offset:3072
	v_add_f64 v[52:53], v[52:53], v[56:57]
	v_add_f64 v[44:45], v[44:45], v[54:55]
	;; [unrolled: 1-line block ×4, first 2 shown]
	ds_read_b128 v[22:25], v36 offset:3328
	ds_read_b128 v[26:29], v37 offset:112
	s_waitcnt lgkmcnt(2)
	v_mul_f64 v[30:31], v[2:3], v[20:21]
	v_fma_f64 v[30:31], v[0:1], v[18:19], -v[30:31]
	v_mul_f64 v[32:33], v[0:1], v[20:21]
	v_fmac_f64_e32 v[32:33], v[2:3], v[18:19]
	v_add_f64 v[50:51], v[50:51], v[30:31]
	s_waitcnt lgkmcnt(1)
	v_mul_f64 v[30:31], v[2:3], v[24:25]
	v_add_f64 v[52:53], v[32:33], v[52:53]
	v_fma_f64 v[58:59], v[0:1], v[22:23], -v[30:31]
	ds_read_b128 v[30:33], v37 offset:2144
	v_mul_f64 v[0:1], v[0:1], v[24:25]
	v_fmac_f64_e32 v[0:1], v[2:3], v[22:23]
	v_add_f64 v[60:61], v[0:1], v[42:43]
	ds_read_b128 v[0:3], v37 offset:2160
	s_waitcnt lgkmcnt(1)
	v_mul_f64 v[42:43], v[32:33], v[20:21]
	v_mul_f64 v[20:21], v[30:31], v[20:21]
	v_fma_f64 v[42:43], v[30:31], v[18:19], -v[42:43]
	v_fmac_f64_e32 v[20:21], v[32:33], v[18:19]
	v_mul_f64 v[18:19], v[32:33], v[24:25]
	v_add_f64 v[46:47], v[46:47], v[42:43]
	v_add_f64 v[48:49], v[20:21], v[48:49]
	v_fma_f64 v[42:43], v[30:31], v[22:23], -v[18:19]
	ds_read_b128 v[18:21], v36 offset:3584
	v_add_f64 v[58:59], v[44:45], v[58:59]
	v_add_f64 v[54:55], v[54:55], v[42:43]
	ds_read_b128 v[42:45], v36 offset:3840
	v_mul_f64 v[24:25], v[30:31], v[24:25]
	v_fmac_f64_e32 v[24:25], v[32:33], v[22:23]
	s_waitcnt lgkmcnt(1)
	v_mul_f64 v[22:23], v[28:29], v[20:21]
	v_fma_f64 v[22:23], v[26:27], v[18:19], -v[22:23]
	v_add_f64 v[56:57], v[24:25], v[56:57]
	v_mul_f64 v[24:25], v[26:27], v[20:21]
	v_add_f64 v[30:31], v[50:51], v[22:23]
	s_waitcnt lgkmcnt(0)
	v_mul_f64 v[22:23], v[28:29], v[44:45]
	v_fmac_f64_e32 v[24:25], v[28:29], v[18:19]
	v_fma_f64 v[22:23], v[26:27], v[42:43], -v[22:23]
	v_add_f64 v[32:33], v[24:25], v[52:53]
	v_mul_f64 v[24:25], v[26:27], v[44:45]
	v_add_f64 v[26:27], v[58:59], v[22:23]
	v_mul_f64 v[22:23], v[2:3], v[20:21]
	v_mul_f64 v[20:21], v[0:1], v[20:21]
	v_fma_f64 v[22:23], v[0:1], v[18:19], -v[22:23]
	v_fmac_f64_e32 v[20:21], v[2:3], v[18:19]
	v_mul_f64 v[18:19], v[2:3], v[44:45]
	v_fma_f64 v[18:19], v[0:1], v[42:43], -v[18:19]
	v_mul_f64 v[0:1], v[0:1], v[44:45]
	s_addc_u32 s9, s9, 0
	v_fmac_f64_e32 v[24:25], v[28:29], v[42:43]
	v_fmac_f64_e32 v[0:1], v[2:3], v[42:43]
	v_cmp_lt_i64_e32 vcc, s[8:9], v[16:17]
	v_add_f64 v[28:29], v[24:25], v[60:61]
	v_add_f64 v[22:23], v[46:47], v[22:23]
	;; [unrolled: 1-line block ×5, first 2 shown]
	v_lshl_add_u64 v[12:13], v[12:13], 0, s[12:13]
	v_lshl_add_u64 v[14:15], v[14:15], 0, s[12:13]
	s_barrier
	s_cbranch_vccz .LBB141_10
.LBB141_3:                              ; =>This Inner Loop Header: Depth=1
	v_lshl_add_u64 v[0:1], v[8:9], 0, s[8:9]
	v_cmp_gt_i64_e32 vcc, s[40:41], v[0:1]
	s_and_b64 s[28:29], s[2:3], vcc
	v_mov_b64_e32 v[0:1], 0
	v_mov_b64_e32 v[2:3], 0
	s_and_saveexec_b64 s[26:27], s[28:29]
	s_cbranch_execz .LBB141_5
; %bb.4:                                ;   in Loop: Header=BB141_3 Depth=1
	global_load_dwordx4 v[0:3], v[14:15], off offset:-8
	s_waitcnt vmcnt(0)
	v_xor_b32_e32 v3, 0x80000000, v3
.LBB141_5:                              ;   in Loop: Header=BB141_3 Depth=1
	s_or_b64 exec, exec, s[26:27]
	ds_write_b128 v34, v[0:3]
	v_lshl_add_u64 v[0:1], v[10:11], 0, s[8:9]
	v_cmp_le_i64_e32 vcc, s[40:41], v[0:1]
	s_or_b64 s[26:27], vcc, s[10:11]
	s_and_saveexec_b64 s[28:29], s[26:27]
	s_xor_b64 s[26:27], exec, s[28:29]
; %bb.6:                                ;   in Loop: Header=BB141_3 Depth=1
	ds_write_b128 v35, v[38:41]
; %bb.7:                                ;   in Loop: Header=BB141_3 Depth=1
	s_andn2_saveexec_b64 s[26:27], s[26:27]
	s_cbranch_execz .LBB141_2
; %bb.8:                                ;   in Loop: Header=BB141_3 Depth=1
	global_load_dwordx4 v[0:3], v[12:13], off
	s_waitcnt vmcnt(0)
	ds_write2_b64 v35, v[0:1], v[2:3] offset1:1
	s_branch .LBB141_2
.LBB141_9:
	v_mov_b64_e32 v[30:31], 0
	v_mov_b64_e32 v[32:33], 0
	;; [unrolled: 1-line block ×8, first 2 shown]
.LBB141_10:
	s_load_dwordx2 s[2:3], s[0:1], 0x90
	s_load_dwordx4 s[8:11], s[0:1], 0x80
	v_lshl_add_u64 v[0:1], s[6:7], 0, v[6:7]
	s_waitcnt lgkmcnt(0)
	s_mul_i32 s1, s3, s4
	s_mul_hi_u32 s3, s2, s4
	s_mul_i32 s0, s2, s4
	s_add_i32 s1, s3, s1
	s_lshl_b64 s[0:1], s[0:1], 4
	s_add_u32 s8, s8, s0
	s_addc_u32 s9, s9, s1
	v_cmp_neq_f64_e64 s[0:1], s[14:15], 0
	v_cmp_neq_f64_e64 s[2:3], s[16:17], 0
	s_or_b64 s[6:7], s[0:1], s[2:3]
	v_cmp_gt_i64_e64 s[0:1], s[38:39], v[0:1]
	s_mov_b64 s[2:3], -1
	s_and_b64 vcc, exec, s[6:7]
	s_cbranch_vccnz .LBB141_22
; %bb.11:
	s_and_saveexec_b64 s[12:13], s[0:1]
	s_cbranch_execz .LBB141_21
; %bb.12:
	v_mul_lo_u32 v8, v1, s10
	v_mul_lo_u32 v9, v0, s11
	v_mad_u64_u32 v[6:7], s[2:3], v0, s10, 0
	v_add3_u32 v7, v7, v9, v8
	v_lshl_add_u64 v[2:3], s[24:25], 0, v[4:5]
	v_lshl_add_u64 v[6:7], v[6:7], 4, s[8:9]
	v_cmp_gt_i64_e32 vcc, s[36:37], v[2:3]
	v_lshl_add_u64 v[8:9], v[2:3], 4, v[6:7]
	s_and_saveexec_b64 s[2:3], vcc
	s_cbranch_execz .LBB141_14
; %bb.13:
	v_mul_f64 v[10:11], s[44:45], v[32:33]
	v_mul_f64 v[12:13], s[42:43], v[32:33]
	v_fma_f64 v[10:11], s[42:43], v[30:31], -v[10:11]
	v_fmac_f64_e32 v[12:13], s[44:45], v[30:31]
	global_store_dwordx4 v[8:9], v[10:13], off
.LBB141_14:
	s_or_b64 exec, exec, s[2:3]
	s_nop 0
	v_lshl_add_u64 v[10:11], v[2:3], 0, 16
	v_cmp_gt_i64_e64 s[2:3], s[36:37], v[10:11]
	s_and_saveexec_b64 s[6:7], s[2:3]
	s_cbranch_execz .LBB141_16
; %bb.15:
	v_mul_f64 v[10:11], s[44:45], v[28:29]
	v_mul_f64 v[12:13], s[42:43], v[28:29]
	v_fma_f64 v[10:11], s[42:43], v[26:27], -v[10:11]
	v_fmac_f64_e32 v[12:13], s[44:45], v[26:27]
	global_store_dwordx4 v[8:9], v[10:13], off offset:256
.LBB141_16:
	s_or_b64 exec, exec, s[6:7]
	v_lshl_add_u64 v[8:9], v[0:1], 0, 16
	v_cmp_gt_i64_e64 s[6:7], s[38:39], v[8:9]
	s_and_b64 exec, exec, s[6:7]
	s_cbranch_execz .LBB141_21
; %bb.17:
	s_lshl_b64 s[6:7], s[10:11], 8
	v_lshl_add_u64 v[6:7], v[6:7], 0, s[6:7]
	v_lshl_add_u64 v[2:3], v[2:3], 4, v[6:7]
	s_and_saveexec_b64 s[6:7], vcc
	s_cbranch_execz .LBB141_19
; %bb.18:
	v_mul_f64 v[6:7], s[44:45], v[24:25]
	v_mul_f64 v[8:9], s[42:43], v[24:25]
	v_fma_f64 v[6:7], s[42:43], v[22:23], -v[6:7]
	v_fmac_f64_e32 v[8:9], s[44:45], v[22:23]
	global_store_dwordx4 v[2:3], v[6:9], off
.LBB141_19:
	s_or_b64 exec, exec, s[6:7]
	s_and_b64 exec, exec, s[2:3]
	s_cbranch_execz .LBB141_21
; %bb.20:
	v_mul_f64 v[6:7], s[44:45], v[18:19]
	v_mul_f64 v[8:9], s[42:43], v[18:19]
	v_fma_f64 v[6:7], s[42:43], v[20:21], -v[6:7]
	v_fmac_f64_e32 v[8:9], s[44:45], v[20:21]
	global_store_dwordx4 v[2:3], v[6:9], off offset:256
.LBB141_21:
	s_or_b64 exec, exec, s[12:13]
	s_mov_b64 s[2:3], 0
.LBB141_22:
	s_andn2_b64 vcc, exec, s[2:3]
	s_cbranch_vccnz .LBB141_33
; %bb.23:
	s_and_saveexec_b64 s[2:3], s[0:1]
	s_cbranch_execz .LBB141_33
; %bb.24:
	s_mul_i32 s0, s23, s4
	s_mul_hi_u32 s1, s22, s4
	s_add_i32 s1, s1, s0
	s_mul_i32 s0, s22, s4
	s_lshl_b64 s[0:1], s[0:1], 4
	v_lshl_add_u64 v[8:9], s[24:25], 0, v[4:5]
	v_mul_lo_u32 v4, v1, s20
	v_mul_lo_u32 v5, v0, s21
	v_mad_u64_u32 v[2:3], s[2:3], v0, s20, 0
	s_add_u32 s0, s18, s0
	v_add3_u32 v3, v3, v5, v4
	v_mul_lo_u32 v6, v1, s10
	v_mul_lo_u32 v7, v0, s11
	v_mad_u64_u32 v[4:5], s[2:3], v0, s10, 0
	s_addc_u32 s1, s19, s1
	v_add3_u32 v5, v5, v7, v6
	v_cmp_gt_i64_e32 vcc, s[36:37], v[8:9]
	v_lshl_add_u64 v[6:7], v[2:3], 4, s[0:1]
	v_lshl_add_u64 v[4:5], v[4:5], 4, s[8:9]
	v_lshlrev_b64 v[2:3], 4, v[8:9]
	s_and_saveexec_b64 s[0:1], vcc
	s_cbranch_execz .LBB141_26
; %bb.25:
	v_lshl_add_u64 v[10:11], v[6:7], 0, v[2:3]
	global_load_dwordx4 v[10:13], v[10:11], off
	v_mul_f64 v[14:15], s[44:45], v[32:33]
	v_mul_f64 v[16:17], s[42:43], v[32:33]
	v_fma_f64 v[14:15], s[42:43], v[30:31], -v[14:15]
	v_fmac_f64_e32 v[16:17], s[44:45], v[30:31]
	s_waitcnt vmcnt(0)
	v_mul_f64 v[30:31], s[16:17], v[12:13]
	v_mul_f64 v[12:13], s[14:15], v[12:13]
	v_fma_f64 v[30:31], s[14:15], v[10:11], -v[30:31]
	v_fmac_f64_e32 v[12:13], s[16:17], v[10:11]
	v_add_f64 v[10:11], v[14:15], v[30:31]
	v_add_f64 v[12:13], v[16:17], v[12:13]
	v_lshl_add_u64 v[14:15], v[4:5], 0, v[2:3]
	global_store_dwordx4 v[14:15], v[10:13], off
.LBB141_26:
	s_or_b64 exec, exec, s[0:1]
	v_lshl_add_u64 v[8:9], v[8:9], 0, 16
	v_cmp_gt_i64_e64 s[0:1], s[36:37], v[8:9]
	s_and_saveexec_b64 s[2:3], s[0:1]
	s_cbranch_execz .LBB141_28
; %bb.27:
	v_lshl_add_u64 v[8:9], v[6:7], 0, v[2:3]
	global_load_dwordx4 v[8:11], v[8:9], off offset:256
	v_mul_f64 v[12:13], s[44:45], v[28:29]
	v_mul_f64 v[14:15], s[42:43], v[28:29]
	v_fma_f64 v[12:13], s[42:43], v[26:27], -v[12:13]
	v_fmac_f64_e32 v[14:15], s[44:45], v[26:27]
	s_waitcnt vmcnt(0)
	v_mul_f64 v[16:17], s[16:17], v[10:11]
	v_mul_f64 v[10:11], s[14:15], v[10:11]
	v_fma_f64 v[16:17], s[14:15], v[8:9], -v[16:17]
	v_fmac_f64_e32 v[10:11], s[16:17], v[8:9]
	v_add_f64 v[8:9], v[12:13], v[16:17]
	v_add_f64 v[10:11], v[14:15], v[10:11]
	v_lshl_add_u64 v[12:13], v[4:5], 0, v[2:3]
	global_store_dwordx4 v[12:13], v[8:11], off offset:256
.LBB141_28:
	s_or_b64 exec, exec, s[2:3]
	v_lshl_add_u64 v[0:1], v[0:1], 0, 16
	v_cmp_gt_i64_e64 s[2:3], s[38:39], v[0:1]
	s_and_b64 exec, exec, s[2:3]
	s_cbranch_execz .LBB141_33
; %bb.29:
	s_lshl_b64 s[2:3], s[20:21], 8
	v_lshl_add_u64 v[0:1], v[6:7], 0, s[2:3]
	s_lshl_b64 s[2:3], s[10:11], 8
	v_lshl_add_u64 v[6:7], v[4:5], 0, s[2:3]
	v_lshl_add_u64 v[4:5], v[0:1], 0, v[2:3]
	v_lshl_add_u64 v[0:1], v[6:7], 0, v[2:3]
	s_and_saveexec_b64 s[2:3], vcc
	s_cbranch_execz .LBB141_31
; %bb.30:
	global_load_dwordx4 v[6:9], v[4:5], off
	v_mul_f64 v[2:3], s[44:45], v[24:25]
	v_mul_f64 v[10:11], s[42:43], v[24:25]
	v_fma_f64 v[2:3], s[42:43], v[22:23], -v[2:3]
	v_fmac_f64_e32 v[10:11], s[44:45], v[22:23]
	s_waitcnt vmcnt(0)
	v_mul_f64 v[12:13], s[16:17], v[8:9]
	v_mul_f64 v[8:9], s[14:15], v[8:9]
	v_fma_f64 v[12:13], s[14:15], v[6:7], -v[12:13]
	v_fmac_f64_e32 v[8:9], s[16:17], v[6:7]
	v_add_f64 v[6:7], v[2:3], v[12:13]
	v_add_f64 v[8:9], v[10:11], v[8:9]
	global_store_dwordx4 v[0:1], v[6:9], off
.LBB141_31:
	s_or_b64 exec, exec, s[2:3]
	s_and_b64 exec, exec, s[0:1]
	s_cbranch_execz .LBB141_33
; %bb.32:
	global_load_dwordx4 v[2:5], v[4:5], off offset:256
	v_mul_f64 v[6:7], s[44:45], v[18:19]
	v_mul_f64 v[8:9], s[42:43], v[18:19]
	v_fma_f64 v[6:7], s[42:43], v[20:21], -v[6:7]
	v_fmac_f64_e32 v[8:9], s[44:45], v[20:21]
	s_waitcnt vmcnt(0)
	v_mul_f64 v[10:11], s[16:17], v[4:5]
	v_mul_f64 v[4:5], s[14:15], v[4:5]
	v_fma_f64 v[10:11], s[14:15], v[2:3], -v[10:11]
	v_fmac_f64_e32 v[4:5], s[16:17], v[2:3]
	v_add_f64 v[2:3], v[6:7], v[10:11]
	v_add_f64 v[4:5], v[8:9], v[4:5]
	global_store_dwordx4 v[0:1], v[2:5], off offset:256
.LBB141_33:
	s_endpgm
	.section	.rodata,"a",@progbits
	.p2align	6, 0x0
	.amdhsa_kernel _ZN12_GLOBAL__N_135rocblas_gemm_batched_general_kernelI19rocblas_complex_numIdELi16ELi16ELi32ELi32ELi8ELi32ELi8ELi8ELi32ELc67ELc78EKS2_S3_S2_EEvlllT_PT11_llS6_llS4_PT12_llPT13_lli
		.amdhsa_group_segment_fixed_size 8192
		.amdhsa_private_segment_fixed_size 0
		.amdhsa_kernarg_size 156
		.amdhsa_user_sgpr_count 2
		.amdhsa_user_sgpr_dispatch_ptr 0
		.amdhsa_user_sgpr_queue_ptr 0
		.amdhsa_user_sgpr_kernarg_segment_ptr 1
		.amdhsa_user_sgpr_dispatch_id 0
		.amdhsa_user_sgpr_kernarg_preload_length 0
		.amdhsa_user_sgpr_kernarg_preload_offset 0
		.amdhsa_user_sgpr_private_segment_size 0
		.amdhsa_uses_dynamic_stack 0
		.amdhsa_enable_private_segment 0
		.amdhsa_system_sgpr_workgroup_id_x 1
		.amdhsa_system_sgpr_workgroup_id_y 1
		.amdhsa_system_sgpr_workgroup_id_z 1
		.amdhsa_system_sgpr_workgroup_info 0
		.amdhsa_system_vgpr_workitem_id 1
		.amdhsa_next_free_vgpr 68
		.amdhsa_next_free_sgpr 52
		.amdhsa_accum_offset 68
		.amdhsa_reserve_vcc 1
		.amdhsa_float_round_mode_32 0
		.amdhsa_float_round_mode_16_64 0
		.amdhsa_float_denorm_mode_32 3
		.amdhsa_float_denorm_mode_16_64 3
		.amdhsa_dx10_clamp 1
		.amdhsa_ieee_mode 1
		.amdhsa_fp16_overflow 0
		.amdhsa_tg_split 0
		.amdhsa_exception_fp_ieee_invalid_op 0
		.amdhsa_exception_fp_denorm_src 0
		.amdhsa_exception_fp_ieee_div_zero 0
		.amdhsa_exception_fp_ieee_overflow 0
		.amdhsa_exception_fp_ieee_underflow 0
		.amdhsa_exception_fp_ieee_inexact 0
		.amdhsa_exception_int_div_zero 0
	.end_amdhsa_kernel
	.section	.text._ZN12_GLOBAL__N_135rocblas_gemm_batched_general_kernelI19rocblas_complex_numIdELi16ELi16ELi32ELi32ELi8ELi32ELi8ELi8ELi32ELc67ELc78EKS2_S3_S2_EEvlllT_PT11_llS6_llS4_PT12_llPT13_lli,"axG",@progbits,_ZN12_GLOBAL__N_135rocblas_gemm_batched_general_kernelI19rocblas_complex_numIdELi16ELi16ELi32ELi32ELi8ELi32ELi8ELi8ELi32ELc67ELc78EKS2_S3_S2_EEvlllT_PT11_llS6_llS4_PT12_llPT13_lli,comdat
.Lfunc_end141:
	.size	_ZN12_GLOBAL__N_135rocblas_gemm_batched_general_kernelI19rocblas_complex_numIdELi16ELi16ELi32ELi32ELi8ELi32ELi8ELi8ELi32ELc67ELc78EKS2_S3_S2_EEvlllT_PT11_llS6_llS4_PT12_llPT13_lli, .Lfunc_end141-_ZN12_GLOBAL__N_135rocblas_gemm_batched_general_kernelI19rocblas_complex_numIdELi16ELi16ELi32ELi32ELi8ELi32ELi8ELi8ELi32ELc67ELc78EKS2_S3_S2_EEvlllT_PT11_llS6_llS4_PT12_llPT13_lli
                                        ; -- End function
	.set _ZN12_GLOBAL__N_135rocblas_gemm_batched_general_kernelI19rocblas_complex_numIdELi16ELi16ELi32ELi32ELi8ELi32ELi8ELi8ELi32ELc67ELc78EKS2_S3_S2_EEvlllT_PT11_llS6_llS4_PT12_llPT13_lli.num_vgpr, 68
	.set _ZN12_GLOBAL__N_135rocblas_gemm_batched_general_kernelI19rocblas_complex_numIdELi16ELi16ELi32ELi32ELi8ELi32ELi8ELi8ELi32ELc67ELc78EKS2_S3_S2_EEvlllT_PT11_llS6_llS4_PT12_llPT13_lli.num_agpr, 0
	.set _ZN12_GLOBAL__N_135rocblas_gemm_batched_general_kernelI19rocblas_complex_numIdELi16ELi16ELi32ELi32ELi8ELi32ELi8ELi8ELi32ELc67ELc78EKS2_S3_S2_EEvlllT_PT11_llS6_llS4_PT12_llPT13_lli.numbered_sgpr, 52
	.set _ZN12_GLOBAL__N_135rocblas_gemm_batched_general_kernelI19rocblas_complex_numIdELi16ELi16ELi32ELi32ELi8ELi32ELi8ELi8ELi32ELc67ELc78EKS2_S3_S2_EEvlllT_PT11_llS6_llS4_PT12_llPT13_lli.num_named_barrier, 0
	.set _ZN12_GLOBAL__N_135rocblas_gemm_batched_general_kernelI19rocblas_complex_numIdELi16ELi16ELi32ELi32ELi8ELi32ELi8ELi8ELi32ELc67ELc78EKS2_S3_S2_EEvlllT_PT11_llS6_llS4_PT12_llPT13_lli.private_seg_size, 0
	.set _ZN12_GLOBAL__N_135rocblas_gemm_batched_general_kernelI19rocblas_complex_numIdELi16ELi16ELi32ELi32ELi8ELi32ELi8ELi8ELi32ELc67ELc78EKS2_S3_S2_EEvlllT_PT11_llS6_llS4_PT12_llPT13_lli.uses_vcc, 1
	.set _ZN12_GLOBAL__N_135rocblas_gemm_batched_general_kernelI19rocblas_complex_numIdELi16ELi16ELi32ELi32ELi8ELi32ELi8ELi8ELi32ELc67ELc78EKS2_S3_S2_EEvlllT_PT11_llS6_llS4_PT12_llPT13_lli.uses_flat_scratch, 0
	.set _ZN12_GLOBAL__N_135rocblas_gemm_batched_general_kernelI19rocblas_complex_numIdELi16ELi16ELi32ELi32ELi8ELi32ELi8ELi8ELi32ELc67ELc78EKS2_S3_S2_EEvlllT_PT11_llS6_llS4_PT12_llPT13_lli.has_dyn_sized_stack, 0
	.set _ZN12_GLOBAL__N_135rocblas_gemm_batched_general_kernelI19rocblas_complex_numIdELi16ELi16ELi32ELi32ELi8ELi32ELi8ELi8ELi32ELc67ELc78EKS2_S3_S2_EEvlllT_PT11_llS6_llS4_PT12_llPT13_lli.has_recursion, 0
	.set _ZN12_GLOBAL__N_135rocblas_gemm_batched_general_kernelI19rocblas_complex_numIdELi16ELi16ELi32ELi32ELi8ELi32ELi8ELi8ELi32ELc67ELc78EKS2_S3_S2_EEvlllT_PT11_llS6_llS4_PT12_llPT13_lli.has_indirect_call, 0
	.section	.AMDGPU.csdata,"",@progbits
; Kernel info:
; codeLenInByte = 3500
; TotalNumSgprs: 58
; NumVgprs: 68
; NumAgprs: 0
; TotalNumVgprs: 68
; ScratchSize: 0
; MemoryBound: 1
; FloatMode: 240
; IeeeMode: 1
; LDSByteSize: 8192 bytes/workgroup (compile time only)
; SGPRBlocks: 7
; VGPRBlocks: 8
; NumSGPRsForWavesPerEU: 58
; NumVGPRsForWavesPerEU: 68
; AccumOffset: 68
; Occupancy: 7
; WaveLimiterHint : 0
; COMPUTE_PGM_RSRC2:SCRATCH_EN: 0
; COMPUTE_PGM_RSRC2:USER_SGPR: 2
; COMPUTE_PGM_RSRC2:TRAP_HANDLER: 0
; COMPUTE_PGM_RSRC2:TGID_X_EN: 1
; COMPUTE_PGM_RSRC2:TGID_Y_EN: 1
; COMPUTE_PGM_RSRC2:TGID_Z_EN: 1
; COMPUTE_PGM_RSRC2:TIDIG_COMP_CNT: 1
; COMPUTE_PGM_RSRC3_GFX90A:ACCUM_OFFSET: 16
; COMPUTE_PGM_RSRC3_GFX90A:TG_SPLIT: 0
	.section	.text._ZN12_GLOBAL__N_135rocblas_gemm_batched_general_kernelI19rocblas_complex_numIdELi16ELi16ELi32ELi32ELi8ELi32ELi8ELi8ELi32ELc67ELc84EKS2_S3_S2_EEvlllT_PT11_llS6_llS4_PT12_llPT13_lli,"axG",@progbits,_ZN12_GLOBAL__N_135rocblas_gemm_batched_general_kernelI19rocblas_complex_numIdELi16ELi16ELi32ELi32ELi8ELi32ELi8ELi8ELi32ELc67ELc84EKS2_S3_S2_EEvlllT_PT11_llS6_llS4_PT12_llPT13_lli,comdat
	.globl	_ZN12_GLOBAL__N_135rocblas_gemm_batched_general_kernelI19rocblas_complex_numIdELi16ELi16ELi32ELi32ELi8ELi32ELi8ELi8ELi32ELc67ELc84EKS2_S3_S2_EEvlllT_PT11_llS6_llS4_PT12_llPT13_lli ; -- Begin function _ZN12_GLOBAL__N_135rocblas_gemm_batched_general_kernelI19rocblas_complex_numIdELi16ELi16ELi32ELi32ELi8ELi32ELi8ELi8ELi32ELc67ELc84EKS2_S3_S2_EEvlllT_PT11_llS6_llS4_PT12_llPT13_lli
	.p2align	8
	.type	_ZN12_GLOBAL__N_135rocblas_gemm_batched_general_kernelI19rocblas_complex_numIdELi16ELi16ELi32ELi32ELi8ELi32ELi8ELi8ELi32ELc67ELc84EKS2_S3_S2_EEvlllT_PT11_llS6_llS4_PT12_llPT13_lli,@function
_ZN12_GLOBAL__N_135rocblas_gemm_batched_general_kernelI19rocblas_complex_numIdELi16ELi16ELi32ELi32ELi8ELi32ELi8ELi8ELi32ELc67ELc84EKS2_S3_S2_EEvlllT_PT11_llS6_llS4_PT12_llPT13_lli: ; @_ZN12_GLOBAL__N_135rocblas_gemm_batched_general_kernelI19rocblas_complex_numIdELi16ELi16ELi32ELi32ELi8ELi32ELi8ELi8ELi32ELc67ELc84EKS2_S3_S2_EEvlllT_PT11_llS6_llS4_PT12_llPT13_lli
; %bb.0:
	s_load_dwordx16 s[36:51], s[0:1], 0x0
	s_load_dwordx16 s[8:23], s[0:1], 0x40
	s_mov_b32 s26, s3
	s_ashr_i32 s3, s2, 31
	v_mov_b32_e32 v7, 0
	s_lshl_b64 s[24:25], s[2:3], 5
	s_ashr_i32 s27, s26, 31
	s_waitcnt lgkmcnt(0)
	v_cmp_lt_i64_e64 s[2:3], s[40:41], 1
	v_and_b32_e32 v4, 0x3ff, v0
	v_bfe_u32 v6, v0, 10, 10
	v_mov_b32_e32 v5, v7
	s_lshl_b64 s[6:7], s[26:27], 5
	s_and_b64 vcc, exec, s[2:3]
	s_cbranch_vccnz .LBB142_9
; %bb.1:
	v_lshl_add_u32 v12, v6, 4, v4
	v_lshrrev_b32_e32 v0, 3, v12
	v_mov_b32_e32 v1, v7
	v_and_b32_e32 v10, 7, v4
	v_lshl_add_u64 v[2:3], v[0:1], 0, s[6:7]
	v_and_b32_e32 v14, 31, v12
	s_mul_i32 s5, s13, s4
	s_mul_hi_u32 s13, s12, s4
	v_lshrrev_b32_e32 v8, 5, v12
	v_or_b32_e32 v12, s24, v14
	v_mov_b32_e32 v13, s25
	v_lshlrev_b32_e32 v1, 4, v14
	v_cmp_gt_i64_e32 vcc, s[38:39], v[2:3]
	s_add_i32 s13, s13, s5
	s_mul_i32 s12, s12, s4
	v_mad_u64_u32 v[2:3], s[28:29], s10, v10, 0
	v_cmp_gt_i64_e64 s[2:3], s[36:37], v[12:13]
	v_lshl_or_b32 v34, v8, 9, v1
	v_lshlrev_b32_e32 v1, 4, v10
	s_lshl_b64 s[12:13], s[12:13], 4
	v_mov_b32_e32 v12, v3
	s_lshl_b64 s[26:27], s[26:27], 9
	v_lshl_or_b32 v1, v0, 7, v1
	v_mad_u64_u32 v[12:13], s[28:29], s11, v10, v[12:13]
	s_add_u32 s12, s26, s12
	v_add_u32_e32 v35, 0x1000, v1
	v_mov_b32_e32 v1, 0x1000
	v_mov_b32_e32 v3, v12
	s_addc_u32 s13, s27, s13
	v_lshl_add_u32 v37, v6, 7, v1
	v_lshl_add_u64 v[2:3], v[2:3], 4, s[12:13]
	v_lshlrev_b32_e32 v0, 4, v0
	v_mov_b32_e32 v1, v7
	v_mov_b32_e32 v15, v7
	v_lshl_add_u64 v[0:1], v[2:3], 0, v[0:1]
	v_lshl_add_u64 v[12:13], s[8:9], 0, v[0:1]
	;; [unrolled: 1-line block ×3, first 2 shown]
	s_lshl_b64 s[8:9], s[10:11], 7
	v_mul_lo_u32 v2, s49, v0
	v_mul_lo_u32 v3, s48, v1
	v_mad_u64_u32 v[0:1], s[10:11], s48, v0, 0
	s_mul_i32 s5, s51, s4
	s_mul_hi_u32 s10, s50, s4
	s_add_i32 s11, s10, s5
	s_mul_i32 s10, s50, s4
	v_add3_u32 v1, v1, v3, v2
	s_lshl_b64 s[10:11], s[10:11], 4
	v_lshl_add_u64 v[0:1], v[0:1], 4, s[10:11]
	v_lshlrev_b32_e32 v2, 4, v8
	v_mov_b32_e32 v3, v7
	v_lshl_add_u64 v[0:1], v[0:1], 0, v[2:3]
	v_lshl_add_u64 v[0:1], s[46:47], 0, v[0:1]
	v_mov_b32_e32 v9, v7
	v_mov_b32_e32 v11, v7
	v_lshlrev_b32_e32 v36, 4, v4
	v_lshl_add_u64 v[14:15], v[0:1], 0, 8
	s_mov_b64 s[10:11], 0
	v_mov_b64_e32 v[18:19], 0
	s_xor_b64 s[12:13], vcc, -1
	s_mov_b64 s[26:27], 0x80
	v_mov_b64_e32 v[16:17], s[40:41]
	v_mov_b32_e32 v38, v7
	v_mov_b32_e32 v39, v7
	;; [unrolled: 1-line block ×4, first 2 shown]
	v_mov_b64_e32 v[20:21], 0
	v_mov_b64_e32 v[24:25], 0
	;; [unrolled: 1-line block ×7, first 2 shown]
	s_branch .LBB142_3
.LBB142_2:                              ;   in Loop: Header=BB142_3 Depth=1
	s_or_b64 exec, exec, s[28:29]
	s_waitcnt lgkmcnt(0)
	s_barrier
	ds_read_b128 v[0:3], v36
	ds_read_b128 v[42:45], v37
	ds_read_b128 v[46:49], v37 offset:16
	ds_read_b128 v[50:53], v37 offset:32
	;; [unrolled: 1-line block ×4, first 2 shown]
	s_waitcnt lgkmcnt(4)
	v_mul_f64 v[62:63], v[44:45], v[2:3]
	v_fma_f64 v[62:63], v[42:43], v[0:1], -v[62:63]
	v_mul_f64 v[64:65], v[42:43], v[2:3]
	v_fmac_f64_e32 v[64:65], v[44:45], v[0:1]
	v_add_f64 v[62:63], v[30:31], v[62:63]
	s_waitcnt lgkmcnt(0)
	v_mul_f64 v[30:31], v[44:45], v[60:61]
	v_add_f64 v[64:65], v[64:65], v[32:33]
	v_fma_f64 v[66:67], v[42:43], v[58:59], -v[30:31]
	ds_read_b128 v[30:33], v37 offset:2048
	v_mul_f64 v[42:43], v[42:43], v[60:61]
	v_fmac_f64_e32 v[42:43], v[44:45], v[58:59]
	v_add_f64 v[44:45], v[26:27], v[66:67]
	v_add_f64 v[42:43], v[42:43], v[28:29]
	ds_read_b128 v[26:29], v37 offset:2064
	s_waitcnt lgkmcnt(1)
	v_mul_f64 v[66:67], v[32:33], v[2:3]
	v_mul_f64 v[2:3], v[30:31], v[2:3]
	v_fma_f64 v[66:67], v[30:31], v[0:1], -v[66:67]
	v_fmac_f64_e32 v[2:3], v[32:33], v[0:1]
	v_mul_f64 v[0:1], v[32:33], v[60:61]
	v_add_f64 v[22:23], v[22:23], v[66:67]
	v_add_f64 v[24:25], v[2:3], v[24:25]
	v_fma_f64 v[66:67], v[30:31], v[58:59], -v[0:1]
	v_mul_f64 v[30:31], v[30:31], v[60:61]
	ds_read_b128 v[0:3], v36 offset:512
	v_fmac_f64_e32 v[30:31], v[32:33], v[58:59]
	v_add_f64 v[32:33], v[20:21], v[66:67]
	v_add_f64 v[30:31], v[30:31], v[18:19]
	ds_read_b128 v[18:21], v36 offset:768
	s_waitcnt lgkmcnt(1)
	v_mul_f64 v[58:59], v[48:49], v[2:3]
	v_fma_f64 v[58:59], v[46:47], v[0:1], -v[58:59]
	v_add_f64 v[58:59], v[62:63], v[58:59]
	v_mul_f64 v[60:61], v[46:47], v[2:3]
	s_waitcnt lgkmcnt(0)
	v_mul_f64 v[62:63], v[48:49], v[20:21]
	v_fma_f64 v[62:63], v[46:47], v[18:19], -v[62:63]
	v_mul_f64 v[46:47], v[46:47], v[20:21]
	v_fmac_f64_e32 v[46:47], v[48:49], v[18:19]
	v_add_f64 v[42:43], v[46:47], v[42:43]
	v_mul_f64 v[46:47], v[28:29], v[2:3]
	v_mul_f64 v[2:3], v[26:27], v[2:3]
	v_fmac_f64_e32 v[60:61], v[48:49], v[0:1]
	v_fma_f64 v[46:47], v[26:27], v[0:1], -v[46:47]
	v_fmac_f64_e32 v[2:3], v[28:29], v[0:1]
	v_mul_f64 v[0:1], v[28:29], v[20:21]
	v_add_f64 v[46:47], v[22:23], v[46:47]
	v_add_f64 v[48:49], v[2:3], v[24:25]
	v_fma_f64 v[22:23], v[26:27], v[18:19], -v[0:1]
	v_mul_f64 v[20:21], v[26:27], v[20:21]
	ds_read_b128 v[0:3], v36 offset:1024
	v_fmac_f64_e32 v[20:21], v[28:29], v[18:19]
	v_add_f64 v[30:31], v[20:21], v[30:31]
	ds_read_b128 v[18:21], v36 offset:1280
	v_add_f64 v[32:33], v[32:33], v[22:23]
	s_waitcnt lgkmcnt(1)
	v_mul_f64 v[22:23], v[52:53], v[2:3]
	v_fma_f64 v[22:23], v[50:51], v[0:1], -v[22:23]
	v_mul_f64 v[24:25], v[50:51], v[2:3]
	v_add_f64 v[60:61], v[60:61], v[64:65]
	v_fmac_f64_e32 v[24:25], v[52:53], v[0:1]
	v_add_f64 v[58:59], v[58:59], v[22:23]
	s_waitcnt lgkmcnt(0)
	v_mul_f64 v[22:23], v[52:53], v[20:21]
	v_add_f64 v[60:61], v[24:25], v[60:61]
	v_fma_f64 v[26:27], v[50:51], v[18:19], -v[22:23]
	ds_read_b128 v[22:25], v37 offset:2080
	v_mul_f64 v[28:29], v[50:51], v[20:21]
	v_add_f64 v[44:45], v[44:45], v[62:63]
	v_fmac_f64_e32 v[28:29], v[52:53], v[18:19]
	v_add_f64 v[44:45], v[44:45], v[26:27]
	v_add_f64 v[42:43], v[28:29], v[42:43]
	ds_read_b128 v[26:29], v37 offset:2096
	s_waitcnt lgkmcnt(1)
	v_mul_f64 v[50:51], v[24:25], v[2:3]
	v_mul_f64 v[2:3], v[22:23], v[2:3]
	v_fma_f64 v[50:51], v[22:23], v[0:1], -v[50:51]
	v_fmac_f64_e32 v[2:3], v[24:25], v[0:1]
	v_mul_f64 v[0:1], v[24:25], v[20:21]
	v_mul_f64 v[20:21], v[22:23], v[20:21]
	v_fmac_f64_e32 v[20:21], v[24:25], v[18:19]
	v_add_f64 v[46:47], v[46:47], v[50:51]
	v_add_f64 v[48:49], v[2:3], v[48:49]
	v_fma_f64 v[50:51], v[22:23], v[18:19], -v[0:1]
	ds_read_b128 v[0:3], v36 offset:1536
	v_add_f64 v[24:25], v[20:21], v[30:31]
	ds_read_b128 v[18:21], v36 offset:1792
	v_add_f64 v[22:23], v[32:33], v[50:51]
	s_add_u32 s10, s10, 8
	s_waitcnt lgkmcnt(1)
	v_mul_f64 v[30:31], v[56:57], v[2:3]
	v_mul_f64 v[32:33], v[54:55], v[2:3]
	s_waitcnt lgkmcnt(0)
	v_mul_f64 v[50:51], v[56:57], v[20:21]
	v_fma_f64 v[50:51], v[54:55], v[18:19], -v[50:51]
	v_add_f64 v[44:45], v[44:45], v[50:51]
	v_mul_f64 v[50:51], v[28:29], v[2:3]
	v_mul_f64 v[2:3], v[26:27], v[2:3]
	v_fma_f64 v[30:31], v[54:55], v[0:1], -v[30:31]
	v_fmac_f64_e32 v[32:33], v[56:57], v[0:1]
	v_fma_f64 v[50:51], v[26:27], v[0:1], -v[50:51]
	v_fmac_f64_e32 v[2:3], v[28:29], v[0:1]
	v_mul_f64 v[0:1], v[28:29], v[20:21]
	v_mul_f64 v[52:53], v[54:55], v[20:21]
	v_add_f64 v[46:47], v[46:47], v[50:51]
	v_fma_f64 v[50:51], v[26:27], v[18:19], -v[0:1]
	v_mul_f64 v[26:27], v[26:27], v[20:21]
	v_fmac_f64_e32 v[52:53], v[56:57], v[18:19]
	v_add_f64 v[48:49], v[2:3], v[48:49]
	v_fmac_f64_e32 v[26:27], v[28:29], v[18:19]
	ds_read_b128 v[0:3], v37 offset:64
	ds_read_b128 v[18:21], v36 offset:2048
	v_add_f64 v[42:43], v[52:53], v[42:43]
	v_add_f64 v[50:51], v[22:23], v[50:51]
	;; [unrolled: 1-line block ×3, first 2 shown]
	ds_read_b128 v[22:25], v36 offset:2304
	ds_read_b128 v[26:29], v37 offset:80
	s_waitcnt lgkmcnt(2)
	v_mul_f64 v[54:55], v[2:3], v[20:21]
	v_add_f64 v[30:31], v[58:59], v[30:31]
	v_fma_f64 v[54:55], v[0:1], v[18:19], -v[54:55]
	v_mul_f64 v[56:57], v[0:1], v[20:21]
	v_add_f64 v[32:33], v[32:33], v[60:61]
	v_fmac_f64_e32 v[56:57], v[2:3], v[18:19]
	v_add_f64 v[54:55], v[30:31], v[54:55]
	s_waitcnt lgkmcnt(1)
	v_mul_f64 v[30:31], v[2:3], v[24:25]
	v_add_f64 v[56:57], v[56:57], v[32:33]
	v_fma_f64 v[58:59], v[0:1], v[22:23], -v[30:31]
	ds_read_b128 v[30:33], v37 offset:2112
	v_mul_f64 v[0:1], v[0:1], v[24:25]
	v_fmac_f64_e32 v[0:1], v[2:3], v[22:23]
	v_add_f64 v[44:45], v[44:45], v[58:59]
	v_add_f64 v[42:43], v[0:1], v[42:43]
	ds_read_b128 v[0:3], v37 offset:2128
	s_waitcnt lgkmcnt(1)
	v_mul_f64 v[58:59], v[32:33], v[20:21]
	v_mul_f64 v[20:21], v[30:31], v[20:21]
	v_fma_f64 v[58:59], v[30:31], v[18:19], -v[58:59]
	v_fmac_f64_e32 v[20:21], v[32:33], v[18:19]
	v_mul_f64 v[18:19], v[32:33], v[24:25]
	v_add_f64 v[46:47], v[46:47], v[58:59]
	v_add_f64 v[48:49], v[20:21], v[48:49]
	v_fma_f64 v[58:59], v[30:31], v[22:23], -v[18:19]
	v_mul_f64 v[24:25], v[30:31], v[24:25]
	ds_read_b128 v[18:21], v36 offset:2560
	v_fmac_f64_e32 v[24:25], v[32:33], v[22:23]
	v_add_f64 v[32:33], v[24:25], v[52:53]
	ds_read_b128 v[22:25], v36 offset:2816
	v_add_f64 v[30:31], v[50:51], v[58:59]
	s_waitcnt lgkmcnt(1)
	v_mul_f64 v[50:51], v[28:29], v[20:21]
	v_fma_f64 v[50:51], v[26:27], v[18:19], -v[50:51]
	v_add_f64 v[50:51], v[54:55], v[50:51]
	s_waitcnt lgkmcnt(0)
	v_mul_f64 v[54:55], v[28:29], v[24:25]
	v_mul_f64 v[52:53], v[26:27], v[20:21]
	v_fma_f64 v[54:55], v[26:27], v[22:23], -v[54:55]
	v_mul_f64 v[26:27], v[26:27], v[24:25]
	v_fmac_f64_e32 v[26:27], v[28:29], v[22:23]
	v_add_f64 v[42:43], v[26:27], v[42:43]
	v_mul_f64 v[26:27], v[2:3], v[20:21]
	v_mul_f64 v[20:21], v[0:1], v[20:21]
	v_fmac_f64_e32 v[52:53], v[28:29], v[18:19]
	v_fma_f64 v[26:27], v[0:1], v[18:19], -v[26:27]
	v_fmac_f64_e32 v[20:21], v[2:3], v[18:19]
	v_mul_f64 v[18:19], v[2:3], v[24:25]
	v_mul_f64 v[24:25], v[0:1], v[24:25]
	v_add_f64 v[46:47], v[46:47], v[26:27]
	v_add_f64 v[48:49], v[20:21], v[48:49]
	v_fma_f64 v[26:27], v[0:1], v[22:23], -v[18:19]
	v_fmac_f64_e32 v[24:25], v[2:3], v[22:23]
	ds_read_b128 v[0:3], v37 offset:96
	ds_read_b128 v[18:21], v36 offset:3072
	v_add_f64 v[52:53], v[52:53], v[56:57]
	v_add_f64 v[44:45], v[44:45], v[54:55]
	;; [unrolled: 1-line block ×4, first 2 shown]
	ds_read_b128 v[22:25], v36 offset:3328
	ds_read_b128 v[26:29], v37 offset:112
	s_waitcnt lgkmcnt(2)
	v_mul_f64 v[30:31], v[2:3], v[20:21]
	v_fma_f64 v[30:31], v[0:1], v[18:19], -v[30:31]
	v_mul_f64 v[32:33], v[0:1], v[20:21]
	v_fmac_f64_e32 v[32:33], v[2:3], v[18:19]
	v_add_f64 v[50:51], v[50:51], v[30:31]
	s_waitcnt lgkmcnt(1)
	v_mul_f64 v[30:31], v[2:3], v[24:25]
	v_add_f64 v[52:53], v[32:33], v[52:53]
	v_fma_f64 v[58:59], v[0:1], v[22:23], -v[30:31]
	ds_read_b128 v[30:33], v37 offset:2144
	v_mul_f64 v[0:1], v[0:1], v[24:25]
	v_fmac_f64_e32 v[0:1], v[2:3], v[22:23]
	v_add_f64 v[60:61], v[0:1], v[42:43]
	ds_read_b128 v[0:3], v37 offset:2160
	s_waitcnt lgkmcnt(1)
	v_mul_f64 v[42:43], v[32:33], v[20:21]
	v_mul_f64 v[20:21], v[30:31], v[20:21]
	v_fma_f64 v[42:43], v[30:31], v[18:19], -v[42:43]
	v_fmac_f64_e32 v[20:21], v[32:33], v[18:19]
	v_mul_f64 v[18:19], v[32:33], v[24:25]
	v_add_f64 v[46:47], v[46:47], v[42:43]
	v_add_f64 v[48:49], v[20:21], v[48:49]
	v_fma_f64 v[42:43], v[30:31], v[22:23], -v[18:19]
	ds_read_b128 v[18:21], v36 offset:3584
	v_add_f64 v[58:59], v[44:45], v[58:59]
	v_add_f64 v[54:55], v[54:55], v[42:43]
	ds_read_b128 v[42:45], v36 offset:3840
	v_mul_f64 v[24:25], v[30:31], v[24:25]
	v_fmac_f64_e32 v[24:25], v[32:33], v[22:23]
	s_waitcnt lgkmcnt(1)
	v_mul_f64 v[22:23], v[28:29], v[20:21]
	v_fma_f64 v[22:23], v[26:27], v[18:19], -v[22:23]
	v_add_f64 v[56:57], v[24:25], v[56:57]
	v_mul_f64 v[24:25], v[26:27], v[20:21]
	v_add_f64 v[30:31], v[50:51], v[22:23]
	s_waitcnt lgkmcnt(0)
	v_mul_f64 v[22:23], v[28:29], v[44:45]
	v_fmac_f64_e32 v[24:25], v[28:29], v[18:19]
	v_fma_f64 v[22:23], v[26:27], v[42:43], -v[22:23]
	v_add_f64 v[32:33], v[24:25], v[52:53]
	v_mul_f64 v[24:25], v[26:27], v[44:45]
	v_add_f64 v[26:27], v[58:59], v[22:23]
	v_mul_f64 v[22:23], v[2:3], v[20:21]
	v_mul_f64 v[20:21], v[0:1], v[20:21]
	v_fma_f64 v[22:23], v[0:1], v[18:19], -v[22:23]
	v_fmac_f64_e32 v[20:21], v[2:3], v[18:19]
	v_mul_f64 v[18:19], v[2:3], v[44:45]
	v_fma_f64 v[18:19], v[0:1], v[42:43], -v[18:19]
	v_mul_f64 v[0:1], v[0:1], v[44:45]
	s_addc_u32 s11, s11, 0
	v_fmac_f64_e32 v[24:25], v[28:29], v[42:43]
	v_fmac_f64_e32 v[0:1], v[2:3], v[42:43]
	v_cmp_lt_i64_e32 vcc, s[10:11], v[16:17]
	v_add_f64 v[28:29], v[24:25], v[60:61]
	v_add_f64 v[22:23], v[46:47], v[22:23]
	;; [unrolled: 1-line block ×5, first 2 shown]
	v_lshl_add_u64 v[12:13], v[12:13], 0, s[8:9]
	v_lshl_add_u64 v[14:15], v[14:15], 0, s[26:27]
	s_barrier
	s_cbranch_vccz .LBB142_10
.LBB142_3:                              ; =>This Inner Loop Header: Depth=1
	v_lshl_add_u64 v[0:1], v[8:9], 0, s[10:11]
	v_cmp_gt_i64_e32 vcc, s[40:41], v[0:1]
	s_and_b64 s[30:31], s[2:3], vcc
	v_mov_b64_e32 v[0:1], 0
	v_mov_b64_e32 v[2:3], 0
	s_and_saveexec_b64 s[28:29], s[30:31]
	s_cbranch_execz .LBB142_5
; %bb.4:                                ;   in Loop: Header=BB142_3 Depth=1
	global_load_dwordx4 v[0:3], v[14:15], off offset:-8
	s_waitcnt vmcnt(0)
	v_xor_b32_e32 v3, 0x80000000, v3
.LBB142_5:                              ;   in Loop: Header=BB142_3 Depth=1
	s_or_b64 exec, exec, s[28:29]
	ds_write_b128 v34, v[0:3]
	v_lshl_add_u64 v[0:1], v[10:11], 0, s[10:11]
	v_cmp_le_i64_e32 vcc, s[40:41], v[0:1]
	s_or_b64 s[28:29], vcc, s[12:13]
	s_and_saveexec_b64 s[30:31], s[28:29]
	s_xor_b64 s[28:29], exec, s[30:31]
; %bb.6:                                ;   in Loop: Header=BB142_3 Depth=1
	ds_write_b128 v35, v[38:41]
; %bb.7:                                ;   in Loop: Header=BB142_3 Depth=1
	s_andn2_saveexec_b64 s[28:29], s[28:29]
	s_cbranch_execz .LBB142_2
; %bb.8:                                ;   in Loop: Header=BB142_3 Depth=1
	global_load_dwordx4 v[0:3], v[12:13], off
	s_waitcnt vmcnt(0)
	ds_write2_b64 v35, v[0:1], v[2:3] offset1:1
	s_branch .LBB142_2
.LBB142_9:
	v_mov_b64_e32 v[30:31], 0
	v_mov_b64_e32 v[32:33], 0
	;; [unrolled: 1-line block ×8, first 2 shown]
.LBB142_10:
	s_load_dwordx2 s[2:3], s[0:1], 0x90
	s_load_dwordx4 s[8:11], s[0:1], 0x80
	v_lshl_add_u64 v[0:1], s[6:7], 0, v[6:7]
	s_waitcnt lgkmcnt(0)
	s_mul_i32 s1, s3, s4
	s_mul_hi_u32 s3, s2, s4
	s_mul_i32 s0, s2, s4
	s_add_i32 s1, s3, s1
	s_lshl_b64 s[0:1], s[0:1], 4
	s_add_u32 s8, s8, s0
	s_addc_u32 s9, s9, s1
	v_cmp_neq_f64_e64 s[0:1], s[14:15], 0
	v_cmp_neq_f64_e64 s[2:3], s[16:17], 0
	s_or_b64 s[6:7], s[0:1], s[2:3]
	v_cmp_gt_i64_e64 s[0:1], s[38:39], v[0:1]
	s_mov_b64 s[2:3], -1
	s_and_b64 vcc, exec, s[6:7]
	s_cbranch_vccnz .LBB142_22
; %bb.11:
	s_and_saveexec_b64 s[12:13], s[0:1]
	s_cbranch_execz .LBB142_21
; %bb.12:
	v_mul_lo_u32 v8, v1, s10
	v_mul_lo_u32 v9, v0, s11
	v_mad_u64_u32 v[6:7], s[2:3], v0, s10, 0
	v_add3_u32 v7, v7, v9, v8
	v_lshl_add_u64 v[2:3], s[24:25], 0, v[4:5]
	v_lshl_add_u64 v[6:7], v[6:7], 4, s[8:9]
	v_cmp_gt_i64_e32 vcc, s[36:37], v[2:3]
	v_lshl_add_u64 v[8:9], v[2:3], 4, v[6:7]
	s_and_saveexec_b64 s[2:3], vcc
	s_cbranch_execz .LBB142_14
; %bb.13:
	v_mul_f64 v[10:11], s[44:45], v[32:33]
	v_mul_f64 v[12:13], s[42:43], v[32:33]
	v_fma_f64 v[10:11], s[42:43], v[30:31], -v[10:11]
	v_fmac_f64_e32 v[12:13], s[44:45], v[30:31]
	global_store_dwordx4 v[8:9], v[10:13], off
.LBB142_14:
	s_or_b64 exec, exec, s[2:3]
	s_nop 0
	v_lshl_add_u64 v[10:11], v[2:3], 0, 16
	v_cmp_gt_i64_e64 s[2:3], s[36:37], v[10:11]
	s_and_saveexec_b64 s[6:7], s[2:3]
	s_cbranch_execz .LBB142_16
; %bb.15:
	v_mul_f64 v[10:11], s[44:45], v[28:29]
	v_mul_f64 v[12:13], s[42:43], v[28:29]
	v_fma_f64 v[10:11], s[42:43], v[26:27], -v[10:11]
	v_fmac_f64_e32 v[12:13], s[44:45], v[26:27]
	global_store_dwordx4 v[8:9], v[10:13], off offset:256
.LBB142_16:
	s_or_b64 exec, exec, s[6:7]
	v_lshl_add_u64 v[8:9], v[0:1], 0, 16
	v_cmp_gt_i64_e64 s[6:7], s[38:39], v[8:9]
	s_and_b64 exec, exec, s[6:7]
	s_cbranch_execz .LBB142_21
; %bb.17:
	s_lshl_b64 s[6:7], s[10:11], 8
	v_lshl_add_u64 v[6:7], v[6:7], 0, s[6:7]
	v_lshl_add_u64 v[2:3], v[2:3], 4, v[6:7]
	s_and_saveexec_b64 s[6:7], vcc
	s_cbranch_execz .LBB142_19
; %bb.18:
	v_mul_f64 v[6:7], s[44:45], v[24:25]
	v_mul_f64 v[8:9], s[42:43], v[24:25]
	v_fma_f64 v[6:7], s[42:43], v[22:23], -v[6:7]
	v_fmac_f64_e32 v[8:9], s[44:45], v[22:23]
	global_store_dwordx4 v[2:3], v[6:9], off
.LBB142_19:
	s_or_b64 exec, exec, s[6:7]
	s_and_b64 exec, exec, s[2:3]
	s_cbranch_execz .LBB142_21
; %bb.20:
	v_mul_f64 v[6:7], s[44:45], v[18:19]
	v_mul_f64 v[8:9], s[42:43], v[18:19]
	v_fma_f64 v[6:7], s[42:43], v[20:21], -v[6:7]
	v_fmac_f64_e32 v[8:9], s[44:45], v[20:21]
	global_store_dwordx4 v[2:3], v[6:9], off offset:256
.LBB142_21:
	s_or_b64 exec, exec, s[12:13]
	s_mov_b64 s[2:3], 0
.LBB142_22:
	s_andn2_b64 vcc, exec, s[2:3]
	s_cbranch_vccnz .LBB142_33
; %bb.23:
	s_and_saveexec_b64 s[2:3], s[0:1]
	s_cbranch_execz .LBB142_33
; %bb.24:
	s_mul_i32 s0, s23, s4
	s_mul_hi_u32 s1, s22, s4
	s_add_i32 s1, s1, s0
	s_mul_i32 s0, s22, s4
	s_lshl_b64 s[0:1], s[0:1], 4
	v_lshl_add_u64 v[8:9], s[24:25], 0, v[4:5]
	v_mul_lo_u32 v4, v1, s20
	v_mul_lo_u32 v5, v0, s21
	v_mad_u64_u32 v[2:3], s[2:3], v0, s20, 0
	s_add_u32 s0, s18, s0
	v_add3_u32 v3, v3, v5, v4
	v_mul_lo_u32 v6, v1, s10
	v_mul_lo_u32 v7, v0, s11
	v_mad_u64_u32 v[4:5], s[2:3], v0, s10, 0
	s_addc_u32 s1, s19, s1
	v_add3_u32 v5, v5, v7, v6
	v_cmp_gt_i64_e32 vcc, s[36:37], v[8:9]
	v_lshl_add_u64 v[6:7], v[2:3], 4, s[0:1]
	v_lshl_add_u64 v[4:5], v[4:5], 4, s[8:9]
	v_lshlrev_b64 v[2:3], 4, v[8:9]
	s_and_saveexec_b64 s[0:1], vcc
	s_cbranch_execz .LBB142_26
; %bb.25:
	v_lshl_add_u64 v[10:11], v[6:7], 0, v[2:3]
	global_load_dwordx4 v[10:13], v[10:11], off
	v_mul_f64 v[14:15], s[44:45], v[32:33]
	v_mul_f64 v[16:17], s[42:43], v[32:33]
	v_fma_f64 v[14:15], s[42:43], v[30:31], -v[14:15]
	v_fmac_f64_e32 v[16:17], s[44:45], v[30:31]
	s_waitcnt vmcnt(0)
	v_mul_f64 v[30:31], s[16:17], v[12:13]
	v_mul_f64 v[12:13], s[14:15], v[12:13]
	v_fma_f64 v[30:31], s[14:15], v[10:11], -v[30:31]
	v_fmac_f64_e32 v[12:13], s[16:17], v[10:11]
	v_add_f64 v[10:11], v[14:15], v[30:31]
	v_add_f64 v[12:13], v[16:17], v[12:13]
	v_lshl_add_u64 v[14:15], v[4:5], 0, v[2:3]
	global_store_dwordx4 v[14:15], v[10:13], off
.LBB142_26:
	s_or_b64 exec, exec, s[0:1]
	v_lshl_add_u64 v[8:9], v[8:9], 0, 16
	v_cmp_gt_i64_e64 s[0:1], s[36:37], v[8:9]
	s_and_saveexec_b64 s[2:3], s[0:1]
	s_cbranch_execz .LBB142_28
; %bb.27:
	v_lshl_add_u64 v[8:9], v[6:7], 0, v[2:3]
	global_load_dwordx4 v[8:11], v[8:9], off offset:256
	v_mul_f64 v[12:13], s[44:45], v[28:29]
	v_mul_f64 v[14:15], s[42:43], v[28:29]
	v_fma_f64 v[12:13], s[42:43], v[26:27], -v[12:13]
	v_fmac_f64_e32 v[14:15], s[44:45], v[26:27]
	s_waitcnt vmcnt(0)
	v_mul_f64 v[16:17], s[16:17], v[10:11]
	v_mul_f64 v[10:11], s[14:15], v[10:11]
	v_fma_f64 v[16:17], s[14:15], v[8:9], -v[16:17]
	v_fmac_f64_e32 v[10:11], s[16:17], v[8:9]
	v_add_f64 v[8:9], v[12:13], v[16:17]
	v_add_f64 v[10:11], v[14:15], v[10:11]
	v_lshl_add_u64 v[12:13], v[4:5], 0, v[2:3]
	global_store_dwordx4 v[12:13], v[8:11], off offset:256
.LBB142_28:
	s_or_b64 exec, exec, s[2:3]
	v_lshl_add_u64 v[0:1], v[0:1], 0, 16
	v_cmp_gt_i64_e64 s[2:3], s[38:39], v[0:1]
	s_and_b64 exec, exec, s[2:3]
	s_cbranch_execz .LBB142_33
; %bb.29:
	s_lshl_b64 s[2:3], s[20:21], 8
	v_lshl_add_u64 v[0:1], v[6:7], 0, s[2:3]
	s_lshl_b64 s[2:3], s[10:11], 8
	v_lshl_add_u64 v[6:7], v[4:5], 0, s[2:3]
	v_lshl_add_u64 v[4:5], v[0:1], 0, v[2:3]
	;; [unrolled: 1-line block ×3, first 2 shown]
	s_and_saveexec_b64 s[2:3], vcc
	s_cbranch_execz .LBB142_31
; %bb.30:
	global_load_dwordx4 v[6:9], v[4:5], off
	v_mul_f64 v[2:3], s[44:45], v[24:25]
	v_mul_f64 v[10:11], s[42:43], v[24:25]
	v_fma_f64 v[2:3], s[42:43], v[22:23], -v[2:3]
	v_fmac_f64_e32 v[10:11], s[44:45], v[22:23]
	s_waitcnt vmcnt(0)
	v_mul_f64 v[12:13], s[16:17], v[8:9]
	v_mul_f64 v[8:9], s[14:15], v[8:9]
	v_fma_f64 v[12:13], s[14:15], v[6:7], -v[12:13]
	v_fmac_f64_e32 v[8:9], s[16:17], v[6:7]
	v_add_f64 v[6:7], v[2:3], v[12:13]
	v_add_f64 v[8:9], v[10:11], v[8:9]
	global_store_dwordx4 v[0:1], v[6:9], off
.LBB142_31:
	s_or_b64 exec, exec, s[2:3]
	s_and_b64 exec, exec, s[0:1]
	s_cbranch_execz .LBB142_33
; %bb.32:
	global_load_dwordx4 v[2:5], v[4:5], off offset:256
	v_mul_f64 v[6:7], s[44:45], v[18:19]
	v_mul_f64 v[8:9], s[42:43], v[18:19]
	v_fma_f64 v[6:7], s[42:43], v[20:21], -v[6:7]
	v_fmac_f64_e32 v[8:9], s[44:45], v[20:21]
	s_waitcnt vmcnt(0)
	v_mul_f64 v[10:11], s[16:17], v[4:5]
	v_mul_f64 v[4:5], s[14:15], v[4:5]
	v_fma_f64 v[10:11], s[14:15], v[2:3], -v[10:11]
	v_fmac_f64_e32 v[4:5], s[16:17], v[2:3]
	v_add_f64 v[2:3], v[6:7], v[10:11]
	v_add_f64 v[4:5], v[8:9], v[4:5]
	global_store_dwordx4 v[0:1], v[2:5], off offset:256
.LBB142_33:
	s_endpgm
	.section	.rodata,"a",@progbits
	.p2align	6, 0x0
	.amdhsa_kernel _ZN12_GLOBAL__N_135rocblas_gemm_batched_general_kernelI19rocblas_complex_numIdELi16ELi16ELi32ELi32ELi8ELi32ELi8ELi8ELi32ELc67ELc84EKS2_S3_S2_EEvlllT_PT11_llS6_llS4_PT12_llPT13_lli
		.amdhsa_group_segment_fixed_size 8192
		.amdhsa_private_segment_fixed_size 0
		.amdhsa_kernarg_size 156
		.amdhsa_user_sgpr_count 2
		.amdhsa_user_sgpr_dispatch_ptr 0
		.amdhsa_user_sgpr_queue_ptr 0
		.amdhsa_user_sgpr_kernarg_segment_ptr 1
		.amdhsa_user_sgpr_dispatch_id 0
		.amdhsa_user_sgpr_kernarg_preload_length 0
		.amdhsa_user_sgpr_kernarg_preload_offset 0
		.amdhsa_user_sgpr_private_segment_size 0
		.amdhsa_uses_dynamic_stack 0
		.amdhsa_enable_private_segment 0
		.amdhsa_system_sgpr_workgroup_id_x 1
		.amdhsa_system_sgpr_workgroup_id_y 1
		.amdhsa_system_sgpr_workgroup_id_z 1
		.amdhsa_system_sgpr_workgroup_info 0
		.amdhsa_system_vgpr_workitem_id 1
		.amdhsa_next_free_vgpr 68
		.amdhsa_next_free_sgpr 52
		.amdhsa_accum_offset 68
		.amdhsa_reserve_vcc 1
		.amdhsa_float_round_mode_32 0
		.amdhsa_float_round_mode_16_64 0
		.amdhsa_float_denorm_mode_32 3
		.amdhsa_float_denorm_mode_16_64 3
		.amdhsa_dx10_clamp 1
		.amdhsa_ieee_mode 1
		.amdhsa_fp16_overflow 0
		.amdhsa_tg_split 0
		.amdhsa_exception_fp_ieee_invalid_op 0
		.amdhsa_exception_fp_denorm_src 0
		.amdhsa_exception_fp_ieee_div_zero 0
		.amdhsa_exception_fp_ieee_overflow 0
		.amdhsa_exception_fp_ieee_underflow 0
		.amdhsa_exception_fp_ieee_inexact 0
		.amdhsa_exception_int_div_zero 0
	.end_amdhsa_kernel
	.section	.text._ZN12_GLOBAL__N_135rocblas_gemm_batched_general_kernelI19rocblas_complex_numIdELi16ELi16ELi32ELi32ELi8ELi32ELi8ELi8ELi32ELc67ELc84EKS2_S3_S2_EEvlllT_PT11_llS6_llS4_PT12_llPT13_lli,"axG",@progbits,_ZN12_GLOBAL__N_135rocblas_gemm_batched_general_kernelI19rocblas_complex_numIdELi16ELi16ELi32ELi32ELi8ELi32ELi8ELi8ELi32ELc67ELc84EKS2_S3_S2_EEvlllT_PT11_llS6_llS4_PT12_llPT13_lli,comdat
.Lfunc_end142:
	.size	_ZN12_GLOBAL__N_135rocblas_gemm_batched_general_kernelI19rocblas_complex_numIdELi16ELi16ELi32ELi32ELi8ELi32ELi8ELi8ELi32ELc67ELc84EKS2_S3_S2_EEvlllT_PT11_llS6_llS4_PT12_llPT13_lli, .Lfunc_end142-_ZN12_GLOBAL__N_135rocblas_gemm_batched_general_kernelI19rocblas_complex_numIdELi16ELi16ELi32ELi32ELi8ELi32ELi8ELi8ELi32ELc67ELc84EKS2_S3_S2_EEvlllT_PT11_llS6_llS4_PT12_llPT13_lli
                                        ; -- End function
	.set _ZN12_GLOBAL__N_135rocblas_gemm_batched_general_kernelI19rocblas_complex_numIdELi16ELi16ELi32ELi32ELi8ELi32ELi8ELi8ELi32ELc67ELc84EKS2_S3_S2_EEvlllT_PT11_llS6_llS4_PT12_llPT13_lli.num_vgpr, 68
	.set _ZN12_GLOBAL__N_135rocblas_gemm_batched_general_kernelI19rocblas_complex_numIdELi16ELi16ELi32ELi32ELi8ELi32ELi8ELi8ELi32ELc67ELc84EKS2_S3_S2_EEvlllT_PT11_llS6_llS4_PT12_llPT13_lli.num_agpr, 0
	.set _ZN12_GLOBAL__N_135rocblas_gemm_batched_general_kernelI19rocblas_complex_numIdELi16ELi16ELi32ELi32ELi8ELi32ELi8ELi8ELi32ELc67ELc84EKS2_S3_S2_EEvlllT_PT11_llS6_llS4_PT12_llPT13_lli.numbered_sgpr, 52
	.set _ZN12_GLOBAL__N_135rocblas_gemm_batched_general_kernelI19rocblas_complex_numIdELi16ELi16ELi32ELi32ELi8ELi32ELi8ELi8ELi32ELc67ELc84EKS2_S3_S2_EEvlllT_PT11_llS6_llS4_PT12_llPT13_lli.num_named_barrier, 0
	.set _ZN12_GLOBAL__N_135rocblas_gemm_batched_general_kernelI19rocblas_complex_numIdELi16ELi16ELi32ELi32ELi8ELi32ELi8ELi8ELi32ELc67ELc84EKS2_S3_S2_EEvlllT_PT11_llS6_llS4_PT12_llPT13_lli.private_seg_size, 0
	.set _ZN12_GLOBAL__N_135rocblas_gemm_batched_general_kernelI19rocblas_complex_numIdELi16ELi16ELi32ELi32ELi8ELi32ELi8ELi8ELi32ELc67ELc84EKS2_S3_S2_EEvlllT_PT11_llS6_llS4_PT12_llPT13_lli.uses_vcc, 1
	.set _ZN12_GLOBAL__N_135rocblas_gemm_batched_general_kernelI19rocblas_complex_numIdELi16ELi16ELi32ELi32ELi8ELi32ELi8ELi8ELi32ELc67ELc84EKS2_S3_S2_EEvlllT_PT11_llS6_llS4_PT12_llPT13_lli.uses_flat_scratch, 0
	.set _ZN12_GLOBAL__N_135rocblas_gemm_batched_general_kernelI19rocblas_complex_numIdELi16ELi16ELi32ELi32ELi8ELi32ELi8ELi8ELi32ELc67ELc84EKS2_S3_S2_EEvlllT_PT11_llS6_llS4_PT12_llPT13_lli.has_dyn_sized_stack, 0
	.set _ZN12_GLOBAL__N_135rocblas_gemm_batched_general_kernelI19rocblas_complex_numIdELi16ELi16ELi32ELi32ELi8ELi32ELi8ELi8ELi32ELc67ELc84EKS2_S3_S2_EEvlllT_PT11_llS6_llS4_PT12_llPT13_lli.has_recursion, 0
	.set _ZN12_GLOBAL__N_135rocblas_gemm_batched_general_kernelI19rocblas_complex_numIdELi16ELi16ELi32ELi32ELi8ELi32ELi8ELi8ELi32ELc67ELc84EKS2_S3_S2_EEvlllT_PT11_llS6_llS4_PT12_llPT13_lli.has_indirect_call, 0
	.section	.AMDGPU.csdata,"",@progbits
; Kernel info:
; codeLenInByte = 3512
; TotalNumSgprs: 58
; NumVgprs: 68
; NumAgprs: 0
; TotalNumVgprs: 68
; ScratchSize: 0
; MemoryBound: 1
; FloatMode: 240
; IeeeMode: 1
; LDSByteSize: 8192 bytes/workgroup (compile time only)
; SGPRBlocks: 7
; VGPRBlocks: 8
; NumSGPRsForWavesPerEU: 58
; NumVGPRsForWavesPerEU: 68
; AccumOffset: 68
; Occupancy: 7
; WaveLimiterHint : 0
; COMPUTE_PGM_RSRC2:SCRATCH_EN: 0
; COMPUTE_PGM_RSRC2:USER_SGPR: 2
; COMPUTE_PGM_RSRC2:TRAP_HANDLER: 0
; COMPUTE_PGM_RSRC2:TGID_X_EN: 1
; COMPUTE_PGM_RSRC2:TGID_Y_EN: 1
; COMPUTE_PGM_RSRC2:TGID_Z_EN: 1
; COMPUTE_PGM_RSRC2:TIDIG_COMP_CNT: 1
; COMPUTE_PGM_RSRC3_GFX90A:ACCUM_OFFSET: 16
; COMPUTE_PGM_RSRC3_GFX90A:TG_SPLIT: 0
	.section	.text._ZN12_GLOBAL__N_135rocblas_gemm_batched_general_kernelI19rocblas_complex_numIdELi16ELi16ELi32ELi32ELi8ELi32ELi8ELi8ELi32ELc78ELc67EKS2_S3_S2_EEvlllT_PT11_llS6_llS4_PT12_llPT13_lli,"axG",@progbits,_ZN12_GLOBAL__N_135rocblas_gemm_batched_general_kernelI19rocblas_complex_numIdELi16ELi16ELi32ELi32ELi8ELi32ELi8ELi8ELi32ELc78ELc67EKS2_S3_S2_EEvlllT_PT11_llS6_llS4_PT12_llPT13_lli,comdat
	.globl	_ZN12_GLOBAL__N_135rocblas_gemm_batched_general_kernelI19rocblas_complex_numIdELi16ELi16ELi32ELi32ELi8ELi32ELi8ELi8ELi32ELc78ELc67EKS2_S3_S2_EEvlllT_PT11_llS6_llS4_PT12_llPT13_lli ; -- Begin function _ZN12_GLOBAL__N_135rocblas_gemm_batched_general_kernelI19rocblas_complex_numIdELi16ELi16ELi32ELi32ELi8ELi32ELi8ELi8ELi32ELc78ELc67EKS2_S3_S2_EEvlllT_PT11_llS6_llS4_PT12_llPT13_lli
	.p2align	8
	.type	_ZN12_GLOBAL__N_135rocblas_gemm_batched_general_kernelI19rocblas_complex_numIdELi16ELi16ELi32ELi32ELi8ELi32ELi8ELi8ELi32ELc78ELc67EKS2_S3_S2_EEvlllT_PT11_llS6_llS4_PT12_llPT13_lli,@function
_ZN12_GLOBAL__N_135rocblas_gemm_batched_general_kernelI19rocblas_complex_numIdELi16ELi16ELi32ELi32ELi8ELi32ELi8ELi8ELi32ELc78ELc67EKS2_S3_S2_EEvlllT_PT11_llS6_llS4_PT12_llPT13_lli: ; @_ZN12_GLOBAL__N_135rocblas_gemm_batched_general_kernelI19rocblas_complex_numIdELi16ELi16ELi32ELi32ELi8ELi32ELi8ELi8ELi32ELc78ELc67EKS2_S3_S2_EEvlllT_PT11_llS6_llS4_PT12_llPT13_lli
; %bb.0:
	s_load_dwordx16 s[36:51], s[0:1], 0x0
	s_load_dwordx16 s[8:23], s[0:1], 0x40
	s_mov_b32 s28, s3
	v_mov_b32_e32 v7, 0
	s_ashr_i32 s3, s2, 31
	s_ashr_i32 s29, s28, 31
	s_waitcnt lgkmcnt(0)
	v_cmp_lt_i64_e64 s[6:7], s[40:41], 1
	v_and_b32_e32 v4, 0x3ff, v0
	v_bfe_u32 v6, v0, 10, 10
	v_mov_b32_e32 v5, v7
	s_lshl_b64 s[24:25], s[2:3], 5
	s_lshl_b64 s[26:27], s[28:29], 5
	s_and_b64 vcc, exec, s[6:7]
	s_cbranch_vccnz .LBB143_9
; %bb.1:
	v_lshl_add_u32 v12, v6, 4, v4
	v_lshrrev_b32_e32 v0, 3, v12
	v_mov_b32_e32 v1, v7
	v_and_b32_e32 v10, 7, v4
	v_lshl_add_u64 v[2:3], v[0:1], 0, s[26:27]
	v_and_b32_e32 v1, 31, v12
	s_mul_i32 s5, s13, s4
	s_mul_hi_u32 s13, s12, s4
	v_lshrrev_b32_e32 v8, 5, v12
	v_or_b32_e32 v12, s24, v1
	v_mov_b32_e32 v13, s25
	v_cmp_gt_i64_e64 s[6:7], s[38:39], v[2:3]
	s_add_i32 s13, s13, s5
	s_mul_i32 s12, s12, s4
	v_mad_u64_u32 v[2:3], s[30:31], s10, v10, 0
	v_cmp_gt_i64_e32 vcc, s[36:37], v[12:13]
	v_lshlrev_b32_e32 v14, 4, v1
	v_lshlrev_b32_e32 v1, 4, v10
	s_lshl_b64 s[12:13], s[12:13], 4
	v_mov_b32_e32 v12, v3
	s_lshl_b64 s[28:29], s[28:29], 9
	v_lshl_or_b32 v1, v0, 7, v1
	v_mad_u64_u32 v[12:13], s[30:31], s11, v10, v[12:13]
	s_add_u32 s12, s28, s12
	v_add_u32_e32 v35, 0x1000, v1
	v_mov_b32_e32 v1, 0x1000
	v_mov_b32_e32 v3, v12
	s_addc_u32 s13, s29, s13
	v_lshl_add_u32 v37, v6, 7, v1
	v_lshl_add_u64 v[2:3], v[2:3], 4, s[12:13]
	v_lshlrev_b32_e32 v0, 4, v0
	v_mov_b32_e32 v1, v7
	v_lshl_add_u64 v[0:1], v[2:3], 0, v[0:1]
	v_lshl_add_u64 v[0:1], s[8:9], 0, v[0:1]
	;; [unrolled: 1-line block ×3, first 2 shown]
	s_lshl_b64 s[8:9], s[10:11], 7
	v_mad_u64_u32 v[0:1], s[10:11], s48, v8, 0
	v_mov_b32_e32 v2, v1
	v_mad_u64_u32 v[2:3], s[10:11], s49, v8, v[2:3]
	s_mul_i32 s5, s51, s4
	s_mul_hi_u32 s10, s50, s4
	s_add_i32 s11, s10, s5
	s_mul_i32 s10, s50, s4
	s_lshl_b64 s[10:11], s[10:11], 4
	s_lshl_b64 s[2:3], s[2:3], 9
	s_add_u32 s2, s2, s10
	v_mov_b32_e32 v1, v2
	s_addc_u32 s3, s3, s11
	v_lshl_add_u64 v[0:1], v[0:1], 4, s[2:3]
	v_mov_b32_e32 v15, v7
	v_lshl_add_u64 v[0:1], v[0:1], 0, v[14:15]
	v_mov_b32_e32 v9, v7
	v_mov_b32_e32 v11, v7
	v_lshl_or_b32 v34, v8, 9, v14
	v_lshlrev_b32_e32 v36, 4, v4
	v_lshl_add_u64 v[14:15], s[46:47], 0, v[0:1]
	s_lshl_b64 s[2:3], s[48:49], 7
	s_mov_b64 s[10:11], 0
	v_mov_b64_e32 v[18:19], 0
	s_xor_b64 s[12:13], vcc, -1
	v_mov_b64_e32 v[16:17], s[40:41]
	v_mov_b32_e32 v38, v7
	v_mov_b32_e32 v39, v7
	;; [unrolled: 1-line block ×4, first 2 shown]
	v_mov_b64_e32 v[20:21], 0
	v_mov_b64_e32 v[24:25], 0
	;; [unrolled: 1-line block ×7, first 2 shown]
	s_branch .LBB143_3
.LBB143_2:                              ;   in Loop: Header=BB143_3 Depth=1
	s_or_b64 exec, exec, s[28:29]
	ds_write_b128 v35, v[0:3]
	s_waitcnt lgkmcnt(0)
	s_barrier
	ds_read_b128 v[0:3], v36
	ds_read_b128 v[42:45], v37
	ds_read_b128 v[46:49], v37 offset:16
	ds_read_b128 v[50:53], v37 offset:32
	;; [unrolled: 1-line block ×4, first 2 shown]
	s_waitcnt lgkmcnt(4)
	v_mul_f64 v[62:63], v[44:45], v[2:3]
	v_fma_f64 v[62:63], v[42:43], v[0:1], -v[62:63]
	v_mul_f64 v[64:65], v[42:43], v[2:3]
	v_fmac_f64_e32 v[64:65], v[44:45], v[0:1]
	v_add_f64 v[62:63], v[30:31], v[62:63]
	s_waitcnt lgkmcnt(0)
	v_mul_f64 v[30:31], v[44:45], v[60:61]
	v_add_f64 v[64:65], v[64:65], v[32:33]
	v_fma_f64 v[66:67], v[42:43], v[58:59], -v[30:31]
	ds_read_b128 v[30:33], v37 offset:2048
	v_mul_f64 v[42:43], v[42:43], v[60:61]
	v_fmac_f64_e32 v[42:43], v[44:45], v[58:59]
	v_add_f64 v[44:45], v[26:27], v[66:67]
	v_add_f64 v[42:43], v[42:43], v[28:29]
	ds_read_b128 v[26:29], v37 offset:2064
	s_waitcnt lgkmcnt(1)
	v_mul_f64 v[66:67], v[32:33], v[2:3]
	v_mul_f64 v[2:3], v[30:31], v[2:3]
	v_fma_f64 v[66:67], v[30:31], v[0:1], -v[66:67]
	v_fmac_f64_e32 v[2:3], v[32:33], v[0:1]
	v_mul_f64 v[0:1], v[32:33], v[60:61]
	v_add_f64 v[22:23], v[22:23], v[66:67]
	v_add_f64 v[24:25], v[2:3], v[24:25]
	v_fma_f64 v[66:67], v[30:31], v[58:59], -v[0:1]
	v_mul_f64 v[30:31], v[30:31], v[60:61]
	ds_read_b128 v[0:3], v36 offset:512
	v_fmac_f64_e32 v[30:31], v[32:33], v[58:59]
	v_add_f64 v[32:33], v[20:21], v[66:67]
	v_add_f64 v[30:31], v[30:31], v[18:19]
	ds_read_b128 v[18:21], v36 offset:768
	s_waitcnt lgkmcnt(1)
	v_mul_f64 v[58:59], v[48:49], v[2:3]
	v_fma_f64 v[58:59], v[46:47], v[0:1], -v[58:59]
	v_add_f64 v[58:59], v[62:63], v[58:59]
	v_mul_f64 v[60:61], v[46:47], v[2:3]
	s_waitcnt lgkmcnt(0)
	v_mul_f64 v[62:63], v[48:49], v[20:21]
	v_fma_f64 v[62:63], v[46:47], v[18:19], -v[62:63]
	v_mul_f64 v[46:47], v[46:47], v[20:21]
	v_fmac_f64_e32 v[46:47], v[48:49], v[18:19]
	v_add_f64 v[42:43], v[46:47], v[42:43]
	v_mul_f64 v[46:47], v[28:29], v[2:3]
	v_mul_f64 v[2:3], v[26:27], v[2:3]
	v_fmac_f64_e32 v[60:61], v[48:49], v[0:1]
	v_fma_f64 v[46:47], v[26:27], v[0:1], -v[46:47]
	v_fmac_f64_e32 v[2:3], v[28:29], v[0:1]
	v_mul_f64 v[0:1], v[28:29], v[20:21]
	v_add_f64 v[46:47], v[22:23], v[46:47]
	v_add_f64 v[48:49], v[2:3], v[24:25]
	v_fma_f64 v[22:23], v[26:27], v[18:19], -v[0:1]
	v_mul_f64 v[20:21], v[26:27], v[20:21]
	ds_read_b128 v[0:3], v36 offset:1024
	v_fmac_f64_e32 v[20:21], v[28:29], v[18:19]
	v_add_f64 v[30:31], v[20:21], v[30:31]
	ds_read_b128 v[18:21], v36 offset:1280
	v_add_f64 v[32:33], v[32:33], v[22:23]
	s_waitcnt lgkmcnt(1)
	v_mul_f64 v[22:23], v[52:53], v[2:3]
	v_fma_f64 v[22:23], v[50:51], v[0:1], -v[22:23]
	v_mul_f64 v[24:25], v[50:51], v[2:3]
	v_add_f64 v[60:61], v[60:61], v[64:65]
	v_fmac_f64_e32 v[24:25], v[52:53], v[0:1]
	v_add_f64 v[58:59], v[58:59], v[22:23]
	s_waitcnt lgkmcnt(0)
	v_mul_f64 v[22:23], v[52:53], v[20:21]
	v_add_f64 v[60:61], v[24:25], v[60:61]
	v_fma_f64 v[26:27], v[50:51], v[18:19], -v[22:23]
	ds_read_b128 v[22:25], v37 offset:2080
	v_mul_f64 v[28:29], v[50:51], v[20:21]
	v_add_f64 v[44:45], v[44:45], v[62:63]
	v_fmac_f64_e32 v[28:29], v[52:53], v[18:19]
	v_add_f64 v[44:45], v[44:45], v[26:27]
	v_add_f64 v[42:43], v[28:29], v[42:43]
	ds_read_b128 v[26:29], v37 offset:2096
	s_waitcnt lgkmcnt(1)
	v_mul_f64 v[50:51], v[24:25], v[2:3]
	v_mul_f64 v[2:3], v[22:23], v[2:3]
	v_fma_f64 v[50:51], v[22:23], v[0:1], -v[50:51]
	v_fmac_f64_e32 v[2:3], v[24:25], v[0:1]
	v_mul_f64 v[0:1], v[24:25], v[20:21]
	v_mul_f64 v[20:21], v[22:23], v[20:21]
	v_fmac_f64_e32 v[20:21], v[24:25], v[18:19]
	v_add_f64 v[46:47], v[46:47], v[50:51]
	v_add_f64 v[48:49], v[2:3], v[48:49]
	v_fma_f64 v[50:51], v[22:23], v[18:19], -v[0:1]
	ds_read_b128 v[0:3], v36 offset:1536
	v_add_f64 v[24:25], v[20:21], v[30:31]
	ds_read_b128 v[18:21], v36 offset:1792
	v_add_f64 v[22:23], v[32:33], v[50:51]
	s_add_u32 s10, s10, 8
	s_waitcnt lgkmcnt(1)
	v_mul_f64 v[30:31], v[56:57], v[2:3]
	v_mul_f64 v[32:33], v[54:55], v[2:3]
	s_waitcnt lgkmcnt(0)
	v_mul_f64 v[50:51], v[56:57], v[20:21]
	v_fma_f64 v[50:51], v[54:55], v[18:19], -v[50:51]
	v_add_f64 v[44:45], v[44:45], v[50:51]
	v_mul_f64 v[50:51], v[28:29], v[2:3]
	v_mul_f64 v[2:3], v[26:27], v[2:3]
	v_fma_f64 v[30:31], v[54:55], v[0:1], -v[30:31]
	v_fmac_f64_e32 v[32:33], v[56:57], v[0:1]
	v_fma_f64 v[50:51], v[26:27], v[0:1], -v[50:51]
	v_fmac_f64_e32 v[2:3], v[28:29], v[0:1]
	v_mul_f64 v[0:1], v[28:29], v[20:21]
	v_mul_f64 v[52:53], v[54:55], v[20:21]
	v_add_f64 v[46:47], v[46:47], v[50:51]
	v_fma_f64 v[50:51], v[26:27], v[18:19], -v[0:1]
	v_mul_f64 v[26:27], v[26:27], v[20:21]
	v_fmac_f64_e32 v[52:53], v[56:57], v[18:19]
	v_add_f64 v[48:49], v[2:3], v[48:49]
	v_fmac_f64_e32 v[26:27], v[28:29], v[18:19]
	ds_read_b128 v[0:3], v37 offset:64
	ds_read_b128 v[18:21], v36 offset:2048
	v_add_f64 v[42:43], v[52:53], v[42:43]
	v_add_f64 v[50:51], v[22:23], v[50:51]
	;; [unrolled: 1-line block ×3, first 2 shown]
	ds_read_b128 v[22:25], v36 offset:2304
	ds_read_b128 v[26:29], v37 offset:80
	s_waitcnt lgkmcnt(2)
	v_mul_f64 v[54:55], v[2:3], v[20:21]
	v_add_f64 v[30:31], v[58:59], v[30:31]
	v_fma_f64 v[54:55], v[0:1], v[18:19], -v[54:55]
	v_mul_f64 v[56:57], v[0:1], v[20:21]
	v_add_f64 v[32:33], v[32:33], v[60:61]
	v_fmac_f64_e32 v[56:57], v[2:3], v[18:19]
	v_add_f64 v[54:55], v[30:31], v[54:55]
	s_waitcnt lgkmcnt(1)
	v_mul_f64 v[30:31], v[2:3], v[24:25]
	v_add_f64 v[56:57], v[56:57], v[32:33]
	v_fma_f64 v[58:59], v[0:1], v[22:23], -v[30:31]
	ds_read_b128 v[30:33], v37 offset:2112
	v_mul_f64 v[0:1], v[0:1], v[24:25]
	v_fmac_f64_e32 v[0:1], v[2:3], v[22:23]
	v_add_f64 v[44:45], v[44:45], v[58:59]
	v_add_f64 v[42:43], v[0:1], v[42:43]
	ds_read_b128 v[0:3], v37 offset:2128
	s_waitcnt lgkmcnt(1)
	v_mul_f64 v[58:59], v[32:33], v[20:21]
	v_mul_f64 v[20:21], v[30:31], v[20:21]
	v_fma_f64 v[58:59], v[30:31], v[18:19], -v[58:59]
	v_fmac_f64_e32 v[20:21], v[32:33], v[18:19]
	v_mul_f64 v[18:19], v[32:33], v[24:25]
	v_add_f64 v[46:47], v[46:47], v[58:59]
	v_add_f64 v[48:49], v[20:21], v[48:49]
	v_fma_f64 v[58:59], v[30:31], v[22:23], -v[18:19]
	v_mul_f64 v[24:25], v[30:31], v[24:25]
	ds_read_b128 v[18:21], v36 offset:2560
	v_fmac_f64_e32 v[24:25], v[32:33], v[22:23]
	v_add_f64 v[32:33], v[24:25], v[52:53]
	ds_read_b128 v[22:25], v36 offset:2816
	v_add_f64 v[30:31], v[50:51], v[58:59]
	s_waitcnt lgkmcnt(1)
	v_mul_f64 v[50:51], v[28:29], v[20:21]
	v_fma_f64 v[50:51], v[26:27], v[18:19], -v[50:51]
	v_add_f64 v[50:51], v[54:55], v[50:51]
	s_waitcnt lgkmcnt(0)
	v_mul_f64 v[54:55], v[28:29], v[24:25]
	v_mul_f64 v[52:53], v[26:27], v[20:21]
	v_fma_f64 v[54:55], v[26:27], v[22:23], -v[54:55]
	v_mul_f64 v[26:27], v[26:27], v[24:25]
	v_fmac_f64_e32 v[26:27], v[28:29], v[22:23]
	v_add_f64 v[42:43], v[26:27], v[42:43]
	v_mul_f64 v[26:27], v[2:3], v[20:21]
	v_mul_f64 v[20:21], v[0:1], v[20:21]
	v_fmac_f64_e32 v[52:53], v[28:29], v[18:19]
	v_fma_f64 v[26:27], v[0:1], v[18:19], -v[26:27]
	v_fmac_f64_e32 v[20:21], v[2:3], v[18:19]
	v_mul_f64 v[18:19], v[2:3], v[24:25]
	v_mul_f64 v[24:25], v[0:1], v[24:25]
	v_add_f64 v[46:47], v[46:47], v[26:27]
	v_add_f64 v[48:49], v[20:21], v[48:49]
	v_fma_f64 v[26:27], v[0:1], v[22:23], -v[18:19]
	v_fmac_f64_e32 v[24:25], v[2:3], v[22:23]
	ds_read_b128 v[0:3], v37 offset:96
	ds_read_b128 v[18:21], v36 offset:3072
	v_add_f64 v[52:53], v[52:53], v[56:57]
	v_add_f64 v[44:45], v[44:45], v[54:55]
	;; [unrolled: 1-line block ×4, first 2 shown]
	ds_read_b128 v[22:25], v36 offset:3328
	ds_read_b128 v[26:29], v37 offset:112
	s_waitcnt lgkmcnt(2)
	v_mul_f64 v[30:31], v[2:3], v[20:21]
	v_fma_f64 v[30:31], v[0:1], v[18:19], -v[30:31]
	v_mul_f64 v[32:33], v[0:1], v[20:21]
	v_fmac_f64_e32 v[32:33], v[2:3], v[18:19]
	v_add_f64 v[50:51], v[50:51], v[30:31]
	s_waitcnt lgkmcnt(1)
	v_mul_f64 v[30:31], v[2:3], v[24:25]
	v_add_f64 v[52:53], v[32:33], v[52:53]
	v_fma_f64 v[58:59], v[0:1], v[22:23], -v[30:31]
	ds_read_b128 v[30:33], v37 offset:2144
	v_mul_f64 v[0:1], v[0:1], v[24:25]
	v_fmac_f64_e32 v[0:1], v[2:3], v[22:23]
	v_add_f64 v[60:61], v[0:1], v[42:43]
	ds_read_b128 v[0:3], v37 offset:2160
	s_waitcnt lgkmcnt(1)
	v_mul_f64 v[42:43], v[32:33], v[20:21]
	v_mul_f64 v[20:21], v[30:31], v[20:21]
	v_fma_f64 v[42:43], v[30:31], v[18:19], -v[42:43]
	v_fmac_f64_e32 v[20:21], v[32:33], v[18:19]
	v_mul_f64 v[18:19], v[32:33], v[24:25]
	v_add_f64 v[46:47], v[46:47], v[42:43]
	v_add_f64 v[48:49], v[20:21], v[48:49]
	v_fma_f64 v[42:43], v[30:31], v[22:23], -v[18:19]
	ds_read_b128 v[18:21], v36 offset:3584
	v_add_f64 v[58:59], v[44:45], v[58:59]
	v_add_f64 v[54:55], v[54:55], v[42:43]
	ds_read_b128 v[42:45], v36 offset:3840
	v_mul_f64 v[24:25], v[30:31], v[24:25]
	v_fmac_f64_e32 v[24:25], v[32:33], v[22:23]
	s_waitcnt lgkmcnt(1)
	v_mul_f64 v[22:23], v[28:29], v[20:21]
	v_fma_f64 v[22:23], v[26:27], v[18:19], -v[22:23]
	v_add_f64 v[56:57], v[24:25], v[56:57]
	v_mul_f64 v[24:25], v[26:27], v[20:21]
	v_add_f64 v[30:31], v[50:51], v[22:23]
	s_waitcnt lgkmcnt(0)
	v_mul_f64 v[22:23], v[28:29], v[44:45]
	v_fmac_f64_e32 v[24:25], v[28:29], v[18:19]
	v_fma_f64 v[22:23], v[26:27], v[42:43], -v[22:23]
	v_add_f64 v[32:33], v[24:25], v[52:53]
	v_mul_f64 v[24:25], v[26:27], v[44:45]
	v_add_f64 v[26:27], v[58:59], v[22:23]
	v_mul_f64 v[22:23], v[2:3], v[20:21]
	v_mul_f64 v[20:21], v[0:1], v[20:21]
	v_fma_f64 v[22:23], v[0:1], v[18:19], -v[22:23]
	v_fmac_f64_e32 v[20:21], v[2:3], v[18:19]
	v_mul_f64 v[18:19], v[2:3], v[44:45]
	v_fma_f64 v[18:19], v[0:1], v[42:43], -v[18:19]
	v_mul_f64 v[0:1], v[0:1], v[44:45]
	s_addc_u32 s11, s11, 0
	v_fmac_f64_e32 v[24:25], v[28:29], v[42:43]
	v_fmac_f64_e32 v[0:1], v[2:3], v[42:43]
	v_cmp_lt_i64_e32 vcc, s[10:11], v[16:17]
	v_add_f64 v[28:29], v[24:25], v[60:61]
	v_add_f64 v[22:23], v[46:47], v[22:23]
	;; [unrolled: 1-line block ×5, first 2 shown]
	v_lshl_add_u64 v[12:13], v[12:13], 0, s[8:9]
	v_lshl_add_u64 v[14:15], v[14:15], 0, s[2:3]
	s_barrier
	s_cbranch_vccz .LBB143_10
.LBB143_3:                              ; =>This Inner Loop Header: Depth=1
	v_lshl_add_u64 v[0:1], v[8:9], 0, s[10:11]
	v_cmp_le_i64_e32 vcc, s[40:41], v[0:1]
	s_or_b64 s[28:29], s[12:13], vcc
	s_and_saveexec_b64 s[30:31], s[28:29]
	s_xor_b64 s[28:29], exec, s[30:31]
; %bb.4:                                ;   in Loop: Header=BB143_3 Depth=1
	ds_write_b128 v34, v[38:41]
; %bb.5:                                ;   in Loop: Header=BB143_3 Depth=1
	s_andn2_saveexec_b64 s[28:29], s[28:29]
	s_cbranch_execz .LBB143_7
; %bb.6:                                ;   in Loop: Header=BB143_3 Depth=1
	global_load_dwordx4 v[0:3], v[14:15], off
	s_waitcnt vmcnt(0)
	ds_write2_b64 v34, v[0:1], v[2:3] offset1:1
.LBB143_7:                              ;   in Loop: Header=BB143_3 Depth=1
	s_or_b64 exec, exec, s[28:29]
	v_lshl_add_u64 v[0:1], v[10:11], 0, s[10:11]
	v_cmp_gt_i64_e32 vcc, s[40:41], v[0:1]
	s_and_b64 s[30:31], vcc, s[6:7]
	v_mov_b64_e32 v[0:1], 0
	v_mov_b64_e32 v[2:3], 0
	s_and_saveexec_b64 s[28:29], s[30:31]
	s_cbranch_execz .LBB143_2
; %bb.8:                                ;   in Loop: Header=BB143_3 Depth=1
	global_load_dwordx4 v[0:3], v[12:13], off offset:-8
	s_waitcnt vmcnt(0)
	v_xor_b32_e32 v3, 0x80000000, v3
	s_branch .LBB143_2
.LBB143_9:
	v_mov_b64_e32 v[30:31], 0
	v_mov_b64_e32 v[32:33], 0
	;; [unrolled: 1-line block ×8, first 2 shown]
.LBB143_10:
	s_load_dwordx2 s[2:3], s[0:1], 0x90
	s_load_dwordx4 s[8:11], s[0:1], 0x80
	v_lshl_add_u64 v[0:1], s[26:27], 0, v[6:7]
	s_waitcnt lgkmcnt(0)
	s_mul_i32 s1, s3, s4
	s_mul_hi_u32 s3, s2, s4
	s_mul_i32 s0, s2, s4
	s_add_i32 s1, s3, s1
	s_lshl_b64 s[0:1], s[0:1], 4
	s_add_u32 s8, s8, s0
	s_addc_u32 s9, s9, s1
	v_cmp_neq_f64_e64 s[0:1], s[14:15], 0
	v_cmp_neq_f64_e64 s[2:3], s[16:17], 0
	s_or_b64 s[6:7], s[0:1], s[2:3]
	v_cmp_gt_i64_e64 s[0:1], s[38:39], v[0:1]
	s_mov_b64 s[2:3], -1
	s_and_b64 vcc, exec, s[6:7]
	s_cbranch_vccnz .LBB143_22
; %bb.11:
	s_and_saveexec_b64 s[12:13], s[0:1]
	s_cbranch_execz .LBB143_21
; %bb.12:
	v_mul_lo_u32 v8, v1, s10
	v_mul_lo_u32 v9, v0, s11
	v_mad_u64_u32 v[6:7], s[2:3], v0, s10, 0
	v_add3_u32 v7, v7, v9, v8
	v_lshl_add_u64 v[2:3], s[24:25], 0, v[4:5]
	v_lshl_add_u64 v[6:7], v[6:7], 4, s[8:9]
	v_cmp_gt_i64_e32 vcc, s[36:37], v[2:3]
	v_lshl_add_u64 v[8:9], v[2:3], 4, v[6:7]
	s_and_saveexec_b64 s[2:3], vcc
	s_cbranch_execz .LBB143_14
; %bb.13:
	v_mul_f64 v[10:11], s[44:45], v[32:33]
	v_mul_f64 v[12:13], s[42:43], v[32:33]
	v_fma_f64 v[10:11], s[42:43], v[30:31], -v[10:11]
	v_fmac_f64_e32 v[12:13], s[44:45], v[30:31]
	global_store_dwordx4 v[8:9], v[10:13], off
.LBB143_14:
	s_or_b64 exec, exec, s[2:3]
	s_nop 0
	v_lshl_add_u64 v[10:11], v[2:3], 0, 16
	v_cmp_gt_i64_e64 s[2:3], s[36:37], v[10:11]
	s_and_saveexec_b64 s[6:7], s[2:3]
	s_cbranch_execz .LBB143_16
; %bb.15:
	v_mul_f64 v[10:11], s[44:45], v[28:29]
	v_mul_f64 v[12:13], s[42:43], v[28:29]
	v_fma_f64 v[10:11], s[42:43], v[26:27], -v[10:11]
	v_fmac_f64_e32 v[12:13], s[44:45], v[26:27]
	global_store_dwordx4 v[8:9], v[10:13], off offset:256
.LBB143_16:
	s_or_b64 exec, exec, s[6:7]
	v_lshl_add_u64 v[8:9], v[0:1], 0, 16
	v_cmp_gt_i64_e64 s[6:7], s[38:39], v[8:9]
	s_and_b64 exec, exec, s[6:7]
	s_cbranch_execz .LBB143_21
; %bb.17:
	s_lshl_b64 s[6:7], s[10:11], 8
	v_lshl_add_u64 v[6:7], v[6:7], 0, s[6:7]
	v_lshl_add_u64 v[2:3], v[2:3], 4, v[6:7]
	s_and_saveexec_b64 s[6:7], vcc
	s_cbranch_execz .LBB143_19
; %bb.18:
	v_mul_f64 v[6:7], s[44:45], v[24:25]
	v_mul_f64 v[8:9], s[42:43], v[24:25]
	v_fma_f64 v[6:7], s[42:43], v[22:23], -v[6:7]
	v_fmac_f64_e32 v[8:9], s[44:45], v[22:23]
	global_store_dwordx4 v[2:3], v[6:9], off
.LBB143_19:
	s_or_b64 exec, exec, s[6:7]
	s_and_b64 exec, exec, s[2:3]
	s_cbranch_execz .LBB143_21
; %bb.20:
	v_mul_f64 v[6:7], s[44:45], v[18:19]
	v_mul_f64 v[8:9], s[42:43], v[18:19]
	v_fma_f64 v[6:7], s[42:43], v[20:21], -v[6:7]
	v_fmac_f64_e32 v[8:9], s[44:45], v[20:21]
	global_store_dwordx4 v[2:3], v[6:9], off offset:256
.LBB143_21:
	s_or_b64 exec, exec, s[12:13]
	s_mov_b64 s[2:3], 0
.LBB143_22:
	s_andn2_b64 vcc, exec, s[2:3]
	s_cbranch_vccnz .LBB143_33
; %bb.23:
	s_and_saveexec_b64 s[2:3], s[0:1]
	s_cbranch_execz .LBB143_33
; %bb.24:
	s_mul_i32 s0, s23, s4
	s_mul_hi_u32 s1, s22, s4
	s_add_i32 s1, s1, s0
	s_mul_i32 s0, s22, s4
	s_lshl_b64 s[0:1], s[0:1], 4
	v_lshl_add_u64 v[8:9], s[24:25], 0, v[4:5]
	v_mul_lo_u32 v4, v1, s20
	v_mul_lo_u32 v5, v0, s21
	v_mad_u64_u32 v[2:3], s[2:3], v0, s20, 0
	s_add_u32 s0, s18, s0
	v_add3_u32 v3, v3, v5, v4
	v_mul_lo_u32 v6, v1, s10
	v_mul_lo_u32 v7, v0, s11
	v_mad_u64_u32 v[4:5], s[2:3], v0, s10, 0
	s_addc_u32 s1, s19, s1
	v_add3_u32 v5, v5, v7, v6
	v_cmp_gt_i64_e32 vcc, s[36:37], v[8:9]
	v_lshl_add_u64 v[6:7], v[2:3], 4, s[0:1]
	v_lshl_add_u64 v[4:5], v[4:5], 4, s[8:9]
	v_lshlrev_b64 v[2:3], 4, v[8:9]
	s_and_saveexec_b64 s[0:1], vcc
	s_cbranch_execz .LBB143_26
; %bb.25:
	v_lshl_add_u64 v[10:11], v[6:7], 0, v[2:3]
	global_load_dwordx4 v[10:13], v[10:11], off
	v_mul_f64 v[14:15], s[44:45], v[32:33]
	v_mul_f64 v[16:17], s[42:43], v[32:33]
	v_fma_f64 v[14:15], s[42:43], v[30:31], -v[14:15]
	v_fmac_f64_e32 v[16:17], s[44:45], v[30:31]
	s_waitcnt vmcnt(0)
	v_mul_f64 v[30:31], s[16:17], v[12:13]
	v_mul_f64 v[12:13], s[14:15], v[12:13]
	v_fma_f64 v[30:31], s[14:15], v[10:11], -v[30:31]
	v_fmac_f64_e32 v[12:13], s[16:17], v[10:11]
	v_add_f64 v[10:11], v[14:15], v[30:31]
	v_add_f64 v[12:13], v[16:17], v[12:13]
	v_lshl_add_u64 v[14:15], v[4:5], 0, v[2:3]
	global_store_dwordx4 v[14:15], v[10:13], off
.LBB143_26:
	s_or_b64 exec, exec, s[0:1]
	v_lshl_add_u64 v[8:9], v[8:9], 0, 16
	v_cmp_gt_i64_e64 s[0:1], s[36:37], v[8:9]
	s_and_saveexec_b64 s[2:3], s[0:1]
	s_cbranch_execz .LBB143_28
; %bb.27:
	v_lshl_add_u64 v[8:9], v[6:7], 0, v[2:3]
	global_load_dwordx4 v[8:11], v[8:9], off offset:256
	v_mul_f64 v[12:13], s[44:45], v[28:29]
	v_mul_f64 v[14:15], s[42:43], v[28:29]
	v_fma_f64 v[12:13], s[42:43], v[26:27], -v[12:13]
	v_fmac_f64_e32 v[14:15], s[44:45], v[26:27]
	s_waitcnt vmcnt(0)
	v_mul_f64 v[16:17], s[16:17], v[10:11]
	v_mul_f64 v[10:11], s[14:15], v[10:11]
	v_fma_f64 v[16:17], s[14:15], v[8:9], -v[16:17]
	v_fmac_f64_e32 v[10:11], s[16:17], v[8:9]
	v_add_f64 v[8:9], v[12:13], v[16:17]
	v_add_f64 v[10:11], v[14:15], v[10:11]
	v_lshl_add_u64 v[12:13], v[4:5], 0, v[2:3]
	global_store_dwordx4 v[12:13], v[8:11], off offset:256
.LBB143_28:
	s_or_b64 exec, exec, s[2:3]
	v_lshl_add_u64 v[0:1], v[0:1], 0, 16
	v_cmp_gt_i64_e64 s[2:3], s[38:39], v[0:1]
	s_and_b64 exec, exec, s[2:3]
	s_cbranch_execz .LBB143_33
; %bb.29:
	s_lshl_b64 s[2:3], s[20:21], 8
	v_lshl_add_u64 v[0:1], v[6:7], 0, s[2:3]
	s_lshl_b64 s[2:3], s[10:11], 8
	v_lshl_add_u64 v[6:7], v[4:5], 0, s[2:3]
	v_lshl_add_u64 v[4:5], v[0:1], 0, v[2:3]
	;; [unrolled: 1-line block ×3, first 2 shown]
	s_and_saveexec_b64 s[2:3], vcc
	s_cbranch_execz .LBB143_31
; %bb.30:
	global_load_dwordx4 v[6:9], v[4:5], off
	v_mul_f64 v[2:3], s[44:45], v[24:25]
	v_mul_f64 v[10:11], s[42:43], v[24:25]
	v_fma_f64 v[2:3], s[42:43], v[22:23], -v[2:3]
	v_fmac_f64_e32 v[10:11], s[44:45], v[22:23]
	s_waitcnt vmcnt(0)
	v_mul_f64 v[12:13], s[16:17], v[8:9]
	v_mul_f64 v[8:9], s[14:15], v[8:9]
	v_fma_f64 v[12:13], s[14:15], v[6:7], -v[12:13]
	v_fmac_f64_e32 v[8:9], s[16:17], v[6:7]
	v_add_f64 v[6:7], v[2:3], v[12:13]
	v_add_f64 v[8:9], v[10:11], v[8:9]
	global_store_dwordx4 v[0:1], v[6:9], off
.LBB143_31:
	s_or_b64 exec, exec, s[2:3]
	s_and_b64 exec, exec, s[0:1]
	s_cbranch_execz .LBB143_33
; %bb.32:
	global_load_dwordx4 v[2:5], v[4:5], off offset:256
	v_mul_f64 v[6:7], s[44:45], v[18:19]
	v_mul_f64 v[8:9], s[42:43], v[18:19]
	v_fma_f64 v[6:7], s[42:43], v[20:21], -v[6:7]
	v_fmac_f64_e32 v[8:9], s[44:45], v[20:21]
	s_waitcnt vmcnt(0)
	v_mul_f64 v[10:11], s[16:17], v[4:5]
	v_mul_f64 v[4:5], s[14:15], v[4:5]
	v_fma_f64 v[10:11], s[14:15], v[2:3], -v[10:11]
	v_fmac_f64_e32 v[4:5], s[16:17], v[2:3]
	v_add_f64 v[2:3], v[6:7], v[10:11]
	v_add_f64 v[4:5], v[8:9], v[4:5]
	global_store_dwordx4 v[0:1], v[2:5], off offset:256
.LBB143_33:
	s_endpgm
	.section	.rodata,"a",@progbits
	.p2align	6, 0x0
	.amdhsa_kernel _ZN12_GLOBAL__N_135rocblas_gemm_batched_general_kernelI19rocblas_complex_numIdELi16ELi16ELi32ELi32ELi8ELi32ELi8ELi8ELi32ELc78ELc67EKS2_S3_S2_EEvlllT_PT11_llS6_llS4_PT12_llPT13_lli
		.amdhsa_group_segment_fixed_size 8192
		.amdhsa_private_segment_fixed_size 0
		.amdhsa_kernarg_size 156
		.amdhsa_user_sgpr_count 2
		.amdhsa_user_sgpr_dispatch_ptr 0
		.amdhsa_user_sgpr_queue_ptr 0
		.amdhsa_user_sgpr_kernarg_segment_ptr 1
		.amdhsa_user_sgpr_dispatch_id 0
		.amdhsa_user_sgpr_kernarg_preload_length 0
		.amdhsa_user_sgpr_kernarg_preload_offset 0
		.amdhsa_user_sgpr_private_segment_size 0
		.amdhsa_uses_dynamic_stack 0
		.amdhsa_enable_private_segment 0
		.amdhsa_system_sgpr_workgroup_id_x 1
		.amdhsa_system_sgpr_workgroup_id_y 1
		.amdhsa_system_sgpr_workgroup_id_z 1
		.amdhsa_system_sgpr_workgroup_info 0
		.amdhsa_system_vgpr_workitem_id 1
		.amdhsa_next_free_vgpr 68
		.amdhsa_next_free_sgpr 52
		.amdhsa_accum_offset 68
		.amdhsa_reserve_vcc 1
		.amdhsa_float_round_mode_32 0
		.amdhsa_float_round_mode_16_64 0
		.amdhsa_float_denorm_mode_32 3
		.amdhsa_float_denorm_mode_16_64 3
		.amdhsa_dx10_clamp 1
		.amdhsa_ieee_mode 1
		.amdhsa_fp16_overflow 0
		.amdhsa_tg_split 0
		.amdhsa_exception_fp_ieee_invalid_op 0
		.amdhsa_exception_fp_denorm_src 0
		.amdhsa_exception_fp_ieee_div_zero 0
		.amdhsa_exception_fp_ieee_overflow 0
		.amdhsa_exception_fp_ieee_underflow 0
		.amdhsa_exception_fp_ieee_inexact 0
		.amdhsa_exception_int_div_zero 0
	.end_amdhsa_kernel
	.section	.text._ZN12_GLOBAL__N_135rocblas_gemm_batched_general_kernelI19rocblas_complex_numIdELi16ELi16ELi32ELi32ELi8ELi32ELi8ELi8ELi32ELc78ELc67EKS2_S3_S2_EEvlllT_PT11_llS6_llS4_PT12_llPT13_lli,"axG",@progbits,_ZN12_GLOBAL__N_135rocblas_gemm_batched_general_kernelI19rocblas_complex_numIdELi16ELi16ELi32ELi32ELi8ELi32ELi8ELi8ELi32ELc78ELc67EKS2_S3_S2_EEvlllT_PT11_llS6_llS4_PT12_llPT13_lli,comdat
.Lfunc_end143:
	.size	_ZN12_GLOBAL__N_135rocblas_gemm_batched_general_kernelI19rocblas_complex_numIdELi16ELi16ELi32ELi32ELi8ELi32ELi8ELi8ELi32ELc78ELc67EKS2_S3_S2_EEvlllT_PT11_llS6_llS4_PT12_llPT13_lli, .Lfunc_end143-_ZN12_GLOBAL__N_135rocblas_gemm_batched_general_kernelI19rocblas_complex_numIdELi16ELi16ELi32ELi32ELi8ELi32ELi8ELi8ELi32ELc78ELc67EKS2_S3_S2_EEvlllT_PT11_llS6_llS4_PT12_llPT13_lli
                                        ; -- End function
	.set _ZN12_GLOBAL__N_135rocblas_gemm_batched_general_kernelI19rocblas_complex_numIdELi16ELi16ELi32ELi32ELi8ELi32ELi8ELi8ELi32ELc78ELc67EKS2_S3_S2_EEvlllT_PT11_llS6_llS4_PT12_llPT13_lli.num_vgpr, 68
	.set _ZN12_GLOBAL__N_135rocblas_gemm_batched_general_kernelI19rocblas_complex_numIdELi16ELi16ELi32ELi32ELi8ELi32ELi8ELi8ELi32ELc78ELc67EKS2_S3_S2_EEvlllT_PT11_llS6_llS4_PT12_llPT13_lli.num_agpr, 0
	.set _ZN12_GLOBAL__N_135rocblas_gemm_batched_general_kernelI19rocblas_complex_numIdELi16ELi16ELi32ELi32ELi8ELi32ELi8ELi8ELi32ELc78ELc67EKS2_S3_S2_EEvlllT_PT11_llS6_llS4_PT12_llPT13_lli.numbered_sgpr, 52
	.set _ZN12_GLOBAL__N_135rocblas_gemm_batched_general_kernelI19rocblas_complex_numIdELi16ELi16ELi32ELi32ELi8ELi32ELi8ELi8ELi32ELc78ELc67EKS2_S3_S2_EEvlllT_PT11_llS6_llS4_PT12_llPT13_lli.num_named_barrier, 0
	.set _ZN12_GLOBAL__N_135rocblas_gemm_batched_general_kernelI19rocblas_complex_numIdELi16ELi16ELi32ELi32ELi8ELi32ELi8ELi8ELi32ELc78ELc67EKS2_S3_S2_EEvlllT_PT11_llS6_llS4_PT12_llPT13_lli.private_seg_size, 0
	.set _ZN12_GLOBAL__N_135rocblas_gemm_batched_general_kernelI19rocblas_complex_numIdELi16ELi16ELi32ELi32ELi8ELi32ELi8ELi8ELi32ELc78ELc67EKS2_S3_S2_EEvlllT_PT11_llS6_llS4_PT12_llPT13_lli.uses_vcc, 1
	.set _ZN12_GLOBAL__N_135rocblas_gemm_batched_general_kernelI19rocblas_complex_numIdELi16ELi16ELi32ELi32ELi8ELi32ELi8ELi8ELi32ELc78ELc67EKS2_S3_S2_EEvlllT_PT11_llS6_llS4_PT12_llPT13_lli.uses_flat_scratch, 0
	.set _ZN12_GLOBAL__N_135rocblas_gemm_batched_general_kernelI19rocblas_complex_numIdELi16ELi16ELi32ELi32ELi8ELi32ELi8ELi8ELi32ELc78ELc67EKS2_S3_S2_EEvlllT_PT11_llS6_llS4_PT12_llPT13_lli.has_dyn_sized_stack, 0
	.set _ZN12_GLOBAL__N_135rocblas_gemm_batched_general_kernelI19rocblas_complex_numIdELi16ELi16ELi32ELi32ELi8ELi32ELi8ELi8ELi32ELc78ELc67EKS2_S3_S2_EEvlllT_PT11_llS6_llS4_PT12_llPT13_lli.has_recursion, 0
	.set _ZN12_GLOBAL__N_135rocblas_gemm_batched_general_kernelI19rocblas_complex_numIdELi16ELi16ELi32ELi32ELi8ELi32ELi8ELi8ELi32ELc78ELc67EKS2_S3_S2_EEvlllT_PT11_llS6_llS4_PT12_llPT13_lli.has_indirect_call, 0
	.section	.AMDGPU.csdata,"",@progbits
; Kernel info:
; codeLenInByte = 3496
; TotalNumSgprs: 58
; NumVgprs: 68
; NumAgprs: 0
; TotalNumVgprs: 68
; ScratchSize: 0
; MemoryBound: 1
; FloatMode: 240
; IeeeMode: 1
; LDSByteSize: 8192 bytes/workgroup (compile time only)
; SGPRBlocks: 7
; VGPRBlocks: 8
; NumSGPRsForWavesPerEU: 58
; NumVGPRsForWavesPerEU: 68
; AccumOffset: 68
; Occupancy: 7
; WaveLimiterHint : 0
; COMPUTE_PGM_RSRC2:SCRATCH_EN: 0
; COMPUTE_PGM_RSRC2:USER_SGPR: 2
; COMPUTE_PGM_RSRC2:TRAP_HANDLER: 0
; COMPUTE_PGM_RSRC2:TGID_X_EN: 1
; COMPUTE_PGM_RSRC2:TGID_Y_EN: 1
; COMPUTE_PGM_RSRC2:TGID_Z_EN: 1
; COMPUTE_PGM_RSRC2:TIDIG_COMP_CNT: 1
; COMPUTE_PGM_RSRC3_GFX90A:ACCUM_OFFSET: 16
; COMPUTE_PGM_RSRC3_GFX90A:TG_SPLIT: 0
	.section	.text._ZN12_GLOBAL__N_135rocblas_gemm_batched_general_kernelI19rocblas_complex_numIdELi16ELi16ELi32ELi32ELi8ELi32ELi8ELi8ELi32ELc84ELc67EKS2_S3_S2_EEvlllT_PT11_llS6_llS4_PT12_llPT13_lli,"axG",@progbits,_ZN12_GLOBAL__N_135rocblas_gemm_batched_general_kernelI19rocblas_complex_numIdELi16ELi16ELi32ELi32ELi8ELi32ELi8ELi8ELi32ELc84ELc67EKS2_S3_S2_EEvlllT_PT11_llS6_llS4_PT12_llPT13_lli,comdat
	.globl	_ZN12_GLOBAL__N_135rocblas_gemm_batched_general_kernelI19rocblas_complex_numIdELi16ELi16ELi32ELi32ELi8ELi32ELi8ELi8ELi32ELc84ELc67EKS2_S3_S2_EEvlllT_PT11_llS6_llS4_PT12_llPT13_lli ; -- Begin function _ZN12_GLOBAL__N_135rocblas_gemm_batched_general_kernelI19rocblas_complex_numIdELi16ELi16ELi32ELi32ELi8ELi32ELi8ELi8ELi32ELc84ELc67EKS2_S3_S2_EEvlllT_PT11_llS6_llS4_PT12_llPT13_lli
	.p2align	8
	.type	_ZN12_GLOBAL__N_135rocblas_gemm_batched_general_kernelI19rocblas_complex_numIdELi16ELi16ELi32ELi32ELi8ELi32ELi8ELi8ELi32ELc84ELc67EKS2_S3_S2_EEvlllT_PT11_llS6_llS4_PT12_llPT13_lli,@function
_ZN12_GLOBAL__N_135rocblas_gemm_batched_general_kernelI19rocblas_complex_numIdELi16ELi16ELi32ELi32ELi8ELi32ELi8ELi8ELi32ELc84ELc67EKS2_S3_S2_EEvlllT_PT11_llS6_llS4_PT12_llPT13_lli: ; @_ZN12_GLOBAL__N_135rocblas_gemm_batched_general_kernelI19rocblas_complex_numIdELi16ELi16ELi32ELi32ELi8ELi32ELi8ELi8ELi32ELc84ELc67EKS2_S3_S2_EEvlllT_PT11_llS6_llS4_PT12_llPT13_lli
; %bb.0:
	s_load_dwordx16 s[36:51], s[0:1], 0x0
	s_load_dwordx16 s[8:23], s[0:1], 0x40
	s_mov_b32 s26, s3
	s_ashr_i32 s3, s2, 31
	v_mov_b32_e32 v7, 0
	s_lshl_b64 s[24:25], s[2:3], 5
	s_ashr_i32 s27, s26, 31
	s_waitcnt lgkmcnt(0)
	v_cmp_lt_i64_e64 s[2:3], s[40:41], 1
	v_and_b32_e32 v4, 0x3ff, v0
	v_bfe_u32 v6, v0, 10, 10
	v_mov_b32_e32 v5, v7
	s_lshl_b64 s[6:7], s[26:27], 5
	s_and_b64 vcc, exec, s[2:3]
	s_cbranch_vccnz .LBB144_9
; %bb.1:
	v_lshl_add_u32 v12, v6, 4, v4
	v_lshrrev_b32_e32 v0, 3, v12
	v_mov_b32_e32 v1, v7
	v_and_b32_e32 v10, 7, v4
	v_lshl_add_u64 v[2:3], v[0:1], 0, s[6:7]
	v_and_b32_e32 v14, 31, v12
	s_mul_i32 s5, s13, s4
	s_mul_hi_u32 s13, s12, s4
	v_lshrrev_b32_e32 v8, 5, v12
	v_or_b32_e32 v12, s24, v14
	v_mov_b32_e32 v13, s25
	v_lshlrev_b32_e32 v1, 4, v14
	v_cmp_gt_i64_e64 s[2:3], s[38:39], v[2:3]
	s_add_i32 s13, s13, s5
	s_mul_i32 s12, s12, s4
	v_mad_u64_u32 v[2:3], s[28:29], s10, v10, 0
	v_cmp_gt_i64_e32 vcc, s[36:37], v[12:13]
	v_lshl_or_b32 v34, v8, 9, v1
	v_lshlrev_b32_e32 v1, 4, v10
	s_lshl_b64 s[12:13], s[12:13], 4
	v_mov_b32_e32 v12, v3
	s_lshl_b64 s[26:27], s[26:27], 9
	v_lshl_or_b32 v1, v0, 7, v1
	v_mad_u64_u32 v[12:13], s[28:29], s11, v10, v[12:13]
	s_add_u32 s12, s26, s12
	v_add_u32_e32 v35, 0x1000, v1
	v_mov_b32_e32 v1, 0x1000
	v_mov_b32_e32 v3, v12
	s_addc_u32 s13, s27, s13
	v_lshl_add_u32 v37, v6, 7, v1
	v_lshl_add_u64 v[2:3], v[2:3], 4, s[12:13]
	v_lshlrev_b32_e32 v0, 4, v0
	v_mov_b32_e32 v1, v7
	v_lshl_add_u64 v[0:1], v[2:3], 0, v[0:1]
	v_mov_b32_e32 v15, v7
	v_lshl_add_u64 v[0:1], s[8:9], 0, v[0:1]
	v_lshl_add_u64 v[12:13], v[0:1], 0, 8
	;; [unrolled: 1-line block ×3, first 2 shown]
	s_lshl_b64 s[8:9], s[10:11], 7
	v_mul_lo_u32 v2, s49, v0
	v_mul_lo_u32 v3, s48, v1
	v_mad_u64_u32 v[0:1], s[10:11], s48, v0, 0
	s_mul_i32 s5, s51, s4
	s_mul_hi_u32 s10, s50, s4
	s_add_i32 s11, s10, s5
	s_mul_i32 s10, s50, s4
	v_add3_u32 v1, v1, v3, v2
	s_lshl_b64 s[10:11], s[10:11], 4
	v_lshl_add_u64 v[0:1], v[0:1], 4, s[10:11]
	v_lshlrev_b32_e32 v2, 4, v8
	v_mov_b32_e32 v3, v7
	v_lshl_add_u64 v[0:1], v[0:1], 0, v[2:3]
	v_mov_b32_e32 v9, v7
	v_mov_b32_e32 v11, v7
	v_lshlrev_b32_e32 v36, 4, v4
	v_lshl_add_u64 v[14:15], s[46:47], 0, v[0:1]
	s_mov_b64 s[10:11], 0
	v_mov_b64_e32 v[18:19], 0
	s_xor_b64 s[12:13], vcc, -1
	s_mov_b64 s[26:27], 0x80
	v_mov_b64_e32 v[16:17], s[40:41]
	v_mov_b32_e32 v38, v7
	v_mov_b32_e32 v39, v7
	;; [unrolled: 1-line block ×4, first 2 shown]
	v_mov_b64_e32 v[20:21], 0
	v_mov_b64_e32 v[24:25], 0
	;; [unrolled: 1-line block ×7, first 2 shown]
	s_branch .LBB144_3
.LBB144_2:                              ;   in Loop: Header=BB144_3 Depth=1
	s_or_b64 exec, exec, s[28:29]
	ds_write_b128 v35, v[0:3]
	s_waitcnt lgkmcnt(0)
	s_barrier
	ds_read_b128 v[0:3], v36
	ds_read_b128 v[42:45], v37
	ds_read_b128 v[46:49], v37 offset:16
	ds_read_b128 v[50:53], v37 offset:32
	;; [unrolled: 1-line block ×4, first 2 shown]
	s_waitcnt lgkmcnt(4)
	v_mul_f64 v[62:63], v[44:45], v[2:3]
	v_fma_f64 v[62:63], v[42:43], v[0:1], -v[62:63]
	v_mul_f64 v[64:65], v[42:43], v[2:3]
	v_fmac_f64_e32 v[64:65], v[44:45], v[0:1]
	v_add_f64 v[62:63], v[30:31], v[62:63]
	s_waitcnt lgkmcnt(0)
	v_mul_f64 v[30:31], v[44:45], v[60:61]
	v_add_f64 v[64:65], v[64:65], v[32:33]
	v_fma_f64 v[66:67], v[42:43], v[58:59], -v[30:31]
	ds_read_b128 v[30:33], v37 offset:2048
	v_mul_f64 v[42:43], v[42:43], v[60:61]
	v_fmac_f64_e32 v[42:43], v[44:45], v[58:59]
	v_add_f64 v[44:45], v[26:27], v[66:67]
	v_add_f64 v[42:43], v[42:43], v[28:29]
	ds_read_b128 v[26:29], v37 offset:2064
	s_waitcnt lgkmcnt(1)
	v_mul_f64 v[66:67], v[32:33], v[2:3]
	v_mul_f64 v[2:3], v[30:31], v[2:3]
	v_fma_f64 v[66:67], v[30:31], v[0:1], -v[66:67]
	v_fmac_f64_e32 v[2:3], v[32:33], v[0:1]
	v_mul_f64 v[0:1], v[32:33], v[60:61]
	v_add_f64 v[22:23], v[22:23], v[66:67]
	v_add_f64 v[24:25], v[2:3], v[24:25]
	v_fma_f64 v[66:67], v[30:31], v[58:59], -v[0:1]
	v_mul_f64 v[30:31], v[30:31], v[60:61]
	ds_read_b128 v[0:3], v36 offset:512
	v_fmac_f64_e32 v[30:31], v[32:33], v[58:59]
	v_add_f64 v[32:33], v[20:21], v[66:67]
	v_add_f64 v[30:31], v[30:31], v[18:19]
	ds_read_b128 v[18:21], v36 offset:768
	s_waitcnt lgkmcnt(1)
	v_mul_f64 v[58:59], v[48:49], v[2:3]
	v_fma_f64 v[58:59], v[46:47], v[0:1], -v[58:59]
	v_add_f64 v[58:59], v[62:63], v[58:59]
	v_mul_f64 v[60:61], v[46:47], v[2:3]
	s_waitcnt lgkmcnt(0)
	v_mul_f64 v[62:63], v[48:49], v[20:21]
	v_fma_f64 v[62:63], v[46:47], v[18:19], -v[62:63]
	v_mul_f64 v[46:47], v[46:47], v[20:21]
	v_fmac_f64_e32 v[46:47], v[48:49], v[18:19]
	v_add_f64 v[42:43], v[46:47], v[42:43]
	v_mul_f64 v[46:47], v[28:29], v[2:3]
	v_mul_f64 v[2:3], v[26:27], v[2:3]
	v_fmac_f64_e32 v[60:61], v[48:49], v[0:1]
	v_fma_f64 v[46:47], v[26:27], v[0:1], -v[46:47]
	v_fmac_f64_e32 v[2:3], v[28:29], v[0:1]
	v_mul_f64 v[0:1], v[28:29], v[20:21]
	v_add_f64 v[46:47], v[22:23], v[46:47]
	v_add_f64 v[48:49], v[2:3], v[24:25]
	v_fma_f64 v[22:23], v[26:27], v[18:19], -v[0:1]
	v_mul_f64 v[20:21], v[26:27], v[20:21]
	ds_read_b128 v[0:3], v36 offset:1024
	v_fmac_f64_e32 v[20:21], v[28:29], v[18:19]
	v_add_f64 v[30:31], v[20:21], v[30:31]
	ds_read_b128 v[18:21], v36 offset:1280
	v_add_f64 v[32:33], v[32:33], v[22:23]
	s_waitcnt lgkmcnt(1)
	v_mul_f64 v[22:23], v[52:53], v[2:3]
	v_fma_f64 v[22:23], v[50:51], v[0:1], -v[22:23]
	v_mul_f64 v[24:25], v[50:51], v[2:3]
	v_add_f64 v[60:61], v[60:61], v[64:65]
	v_fmac_f64_e32 v[24:25], v[52:53], v[0:1]
	v_add_f64 v[58:59], v[58:59], v[22:23]
	s_waitcnt lgkmcnt(0)
	v_mul_f64 v[22:23], v[52:53], v[20:21]
	v_add_f64 v[60:61], v[24:25], v[60:61]
	v_fma_f64 v[26:27], v[50:51], v[18:19], -v[22:23]
	ds_read_b128 v[22:25], v37 offset:2080
	v_mul_f64 v[28:29], v[50:51], v[20:21]
	v_add_f64 v[44:45], v[44:45], v[62:63]
	v_fmac_f64_e32 v[28:29], v[52:53], v[18:19]
	v_add_f64 v[44:45], v[44:45], v[26:27]
	v_add_f64 v[42:43], v[28:29], v[42:43]
	ds_read_b128 v[26:29], v37 offset:2096
	s_waitcnt lgkmcnt(1)
	v_mul_f64 v[50:51], v[24:25], v[2:3]
	v_mul_f64 v[2:3], v[22:23], v[2:3]
	v_fma_f64 v[50:51], v[22:23], v[0:1], -v[50:51]
	v_fmac_f64_e32 v[2:3], v[24:25], v[0:1]
	v_mul_f64 v[0:1], v[24:25], v[20:21]
	v_mul_f64 v[20:21], v[22:23], v[20:21]
	v_fmac_f64_e32 v[20:21], v[24:25], v[18:19]
	v_add_f64 v[46:47], v[46:47], v[50:51]
	v_add_f64 v[48:49], v[2:3], v[48:49]
	v_fma_f64 v[50:51], v[22:23], v[18:19], -v[0:1]
	ds_read_b128 v[0:3], v36 offset:1536
	v_add_f64 v[24:25], v[20:21], v[30:31]
	ds_read_b128 v[18:21], v36 offset:1792
	v_add_f64 v[22:23], v[32:33], v[50:51]
	s_add_u32 s10, s10, 8
	s_waitcnt lgkmcnt(1)
	v_mul_f64 v[30:31], v[56:57], v[2:3]
	v_mul_f64 v[32:33], v[54:55], v[2:3]
	s_waitcnt lgkmcnt(0)
	v_mul_f64 v[50:51], v[56:57], v[20:21]
	v_fma_f64 v[50:51], v[54:55], v[18:19], -v[50:51]
	v_add_f64 v[44:45], v[44:45], v[50:51]
	v_mul_f64 v[50:51], v[28:29], v[2:3]
	v_mul_f64 v[2:3], v[26:27], v[2:3]
	v_fma_f64 v[30:31], v[54:55], v[0:1], -v[30:31]
	v_fmac_f64_e32 v[32:33], v[56:57], v[0:1]
	v_fma_f64 v[50:51], v[26:27], v[0:1], -v[50:51]
	v_fmac_f64_e32 v[2:3], v[28:29], v[0:1]
	v_mul_f64 v[0:1], v[28:29], v[20:21]
	v_mul_f64 v[52:53], v[54:55], v[20:21]
	v_add_f64 v[46:47], v[46:47], v[50:51]
	v_fma_f64 v[50:51], v[26:27], v[18:19], -v[0:1]
	v_mul_f64 v[26:27], v[26:27], v[20:21]
	v_fmac_f64_e32 v[52:53], v[56:57], v[18:19]
	v_add_f64 v[48:49], v[2:3], v[48:49]
	v_fmac_f64_e32 v[26:27], v[28:29], v[18:19]
	ds_read_b128 v[0:3], v37 offset:64
	ds_read_b128 v[18:21], v36 offset:2048
	v_add_f64 v[42:43], v[52:53], v[42:43]
	v_add_f64 v[50:51], v[22:23], v[50:51]
	;; [unrolled: 1-line block ×3, first 2 shown]
	ds_read_b128 v[22:25], v36 offset:2304
	ds_read_b128 v[26:29], v37 offset:80
	s_waitcnt lgkmcnt(2)
	v_mul_f64 v[54:55], v[2:3], v[20:21]
	v_add_f64 v[30:31], v[58:59], v[30:31]
	v_fma_f64 v[54:55], v[0:1], v[18:19], -v[54:55]
	v_mul_f64 v[56:57], v[0:1], v[20:21]
	v_add_f64 v[32:33], v[32:33], v[60:61]
	v_fmac_f64_e32 v[56:57], v[2:3], v[18:19]
	v_add_f64 v[54:55], v[30:31], v[54:55]
	s_waitcnt lgkmcnt(1)
	v_mul_f64 v[30:31], v[2:3], v[24:25]
	v_add_f64 v[56:57], v[56:57], v[32:33]
	v_fma_f64 v[58:59], v[0:1], v[22:23], -v[30:31]
	ds_read_b128 v[30:33], v37 offset:2112
	v_mul_f64 v[0:1], v[0:1], v[24:25]
	v_fmac_f64_e32 v[0:1], v[2:3], v[22:23]
	v_add_f64 v[44:45], v[44:45], v[58:59]
	v_add_f64 v[42:43], v[0:1], v[42:43]
	ds_read_b128 v[0:3], v37 offset:2128
	s_waitcnt lgkmcnt(1)
	v_mul_f64 v[58:59], v[32:33], v[20:21]
	v_mul_f64 v[20:21], v[30:31], v[20:21]
	v_fma_f64 v[58:59], v[30:31], v[18:19], -v[58:59]
	v_fmac_f64_e32 v[20:21], v[32:33], v[18:19]
	v_mul_f64 v[18:19], v[32:33], v[24:25]
	v_add_f64 v[46:47], v[46:47], v[58:59]
	v_add_f64 v[48:49], v[20:21], v[48:49]
	v_fma_f64 v[58:59], v[30:31], v[22:23], -v[18:19]
	v_mul_f64 v[24:25], v[30:31], v[24:25]
	ds_read_b128 v[18:21], v36 offset:2560
	v_fmac_f64_e32 v[24:25], v[32:33], v[22:23]
	v_add_f64 v[32:33], v[24:25], v[52:53]
	ds_read_b128 v[22:25], v36 offset:2816
	v_add_f64 v[30:31], v[50:51], v[58:59]
	s_waitcnt lgkmcnt(1)
	v_mul_f64 v[50:51], v[28:29], v[20:21]
	v_fma_f64 v[50:51], v[26:27], v[18:19], -v[50:51]
	v_add_f64 v[50:51], v[54:55], v[50:51]
	s_waitcnt lgkmcnt(0)
	v_mul_f64 v[54:55], v[28:29], v[24:25]
	v_mul_f64 v[52:53], v[26:27], v[20:21]
	v_fma_f64 v[54:55], v[26:27], v[22:23], -v[54:55]
	v_mul_f64 v[26:27], v[26:27], v[24:25]
	v_fmac_f64_e32 v[26:27], v[28:29], v[22:23]
	v_add_f64 v[42:43], v[26:27], v[42:43]
	v_mul_f64 v[26:27], v[2:3], v[20:21]
	v_mul_f64 v[20:21], v[0:1], v[20:21]
	v_fmac_f64_e32 v[52:53], v[28:29], v[18:19]
	v_fma_f64 v[26:27], v[0:1], v[18:19], -v[26:27]
	v_fmac_f64_e32 v[20:21], v[2:3], v[18:19]
	v_mul_f64 v[18:19], v[2:3], v[24:25]
	v_mul_f64 v[24:25], v[0:1], v[24:25]
	v_add_f64 v[46:47], v[46:47], v[26:27]
	v_add_f64 v[48:49], v[20:21], v[48:49]
	v_fma_f64 v[26:27], v[0:1], v[22:23], -v[18:19]
	v_fmac_f64_e32 v[24:25], v[2:3], v[22:23]
	ds_read_b128 v[0:3], v37 offset:96
	ds_read_b128 v[18:21], v36 offset:3072
	v_add_f64 v[52:53], v[52:53], v[56:57]
	v_add_f64 v[44:45], v[44:45], v[54:55]
	;; [unrolled: 1-line block ×4, first 2 shown]
	ds_read_b128 v[22:25], v36 offset:3328
	ds_read_b128 v[26:29], v37 offset:112
	s_waitcnt lgkmcnt(2)
	v_mul_f64 v[30:31], v[2:3], v[20:21]
	v_fma_f64 v[30:31], v[0:1], v[18:19], -v[30:31]
	v_mul_f64 v[32:33], v[0:1], v[20:21]
	v_fmac_f64_e32 v[32:33], v[2:3], v[18:19]
	v_add_f64 v[50:51], v[50:51], v[30:31]
	s_waitcnt lgkmcnt(1)
	v_mul_f64 v[30:31], v[2:3], v[24:25]
	v_add_f64 v[52:53], v[32:33], v[52:53]
	v_fma_f64 v[58:59], v[0:1], v[22:23], -v[30:31]
	ds_read_b128 v[30:33], v37 offset:2144
	v_mul_f64 v[0:1], v[0:1], v[24:25]
	v_fmac_f64_e32 v[0:1], v[2:3], v[22:23]
	v_add_f64 v[60:61], v[0:1], v[42:43]
	ds_read_b128 v[0:3], v37 offset:2160
	s_waitcnt lgkmcnt(1)
	v_mul_f64 v[42:43], v[32:33], v[20:21]
	v_mul_f64 v[20:21], v[30:31], v[20:21]
	v_fma_f64 v[42:43], v[30:31], v[18:19], -v[42:43]
	v_fmac_f64_e32 v[20:21], v[32:33], v[18:19]
	v_mul_f64 v[18:19], v[32:33], v[24:25]
	v_add_f64 v[46:47], v[46:47], v[42:43]
	v_add_f64 v[48:49], v[20:21], v[48:49]
	v_fma_f64 v[42:43], v[30:31], v[22:23], -v[18:19]
	ds_read_b128 v[18:21], v36 offset:3584
	v_add_f64 v[58:59], v[44:45], v[58:59]
	v_add_f64 v[54:55], v[54:55], v[42:43]
	ds_read_b128 v[42:45], v36 offset:3840
	v_mul_f64 v[24:25], v[30:31], v[24:25]
	v_fmac_f64_e32 v[24:25], v[32:33], v[22:23]
	s_waitcnt lgkmcnt(1)
	v_mul_f64 v[22:23], v[28:29], v[20:21]
	v_fma_f64 v[22:23], v[26:27], v[18:19], -v[22:23]
	v_add_f64 v[56:57], v[24:25], v[56:57]
	v_mul_f64 v[24:25], v[26:27], v[20:21]
	v_add_f64 v[30:31], v[50:51], v[22:23]
	s_waitcnt lgkmcnt(0)
	v_mul_f64 v[22:23], v[28:29], v[44:45]
	v_fmac_f64_e32 v[24:25], v[28:29], v[18:19]
	v_fma_f64 v[22:23], v[26:27], v[42:43], -v[22:23]
	v_add_f64 v[32:33], v[24:25], v[52:53]
	v_mul_f64 v[24:25], v[26:27], v[44:45]
	v_add_f64 v[26:27], v[58:59], v[22:23]
	v_mul_f64 v[22:23], v[2:3], v[20:21]
	v_mul_f64 v[20:21], v[0:1], v[20:21]
	v_fma_f64 v[22:23], v[0:1], v[18:19], -v[22:23]
	v_fmac_f64_e32 v[20:21], v[2:3], v[18:19]
	v_mul_f64 v[18:19], v[2:3], v[44:45]
	v_fma_f64 v[18:19], v[0:1], v[42:43], -v[18:19]
	v_mul_f64 v[0:1], v[0:1], v[44:45]
	s_addc_u32 s11, s11, 0
	v_fmac_f64_e32 v[24:25], v[28:29], v[42:43]
	v_fmac_f64_e32 v[0:1], v[2:3], v[42:43]
	v_cmp_lt_i64_e32 vcc, s[10:11], v[16:17]
	v_add_f64 v[28:29], v[24:25], v[60:61]
	v_add_f64 v[22:23], v[46:47], v[22:23]
	;; [unrolled: 1-line block ×5, first 2 shown]
	v_lshl_add_u64 v[12:13], v[12:13], 0, s[8:9]
	v_lshl_add_u64 v[14:15], v[14:15], 0, s[26:27]
	s_barrier
	s_cbranch_vccz .LBB144_10
.LBB144_3:                              ; =>This Inner Loop Header: Depth=1
	v_lshl_add_u64 v[0:1], v[8:9], 0, s[10:11]
	v_cmp_le_i64_e32 vcc, s[40:41], v[0:1]
	s_or_b64 s[28:29], s[12:13], vcc
	s_and_saveexec_b64 s[30:31], s[28:29]
	s_xor_b64 s[28:29], exec, s[30:31]
; %bb.4:                                ;   in Loop: Header=BB144_3 Depth=1
	ds_write_b128 v34, v[38:41]
; %bb.5:                                ;   in Loop: Header=BB144_3 Depth=1
	s_andn2_saveexec_b64 s[28:29], s[28:29]
	s_cbranch_execz .LBB144_7
; %bb.6:                                ;   in Loop: Header=BB144_3 Depth=1
	global_load_dwordx4 v[0:3], v[14:15], off
	s_waitcnt vmcnt(0)
	ds_write2_b64 v34, v[0:1], v[2:3] offset1:1
.LBB144_7:                              ;   in Loop: Header=BB144_3 Depth=1
	s_or_b64 exec, exec, s[28:29]
	v_lshl_add_u64 v[0:1], v[10:11], 0, s[10:11]
	v_cmp_gt_i64_e32 vcc, s[40:41], v[0:1]
	s_and_b64 s[30:31], vcc, s[2:3]
	v_mov_b64_e32 v[0:1], 0
	v_mov_b64_e32 v[2:3], 0
	s_and_saveexec_b64 s[28:29], s[30:31]
	s_cbranch_execz .LBB144_2
; %bb.8:                                ;   in Loop: Header=BB144_3 Depth=1
	global_load_dwordx4 v[0:3], v[12:13], off offset:-8
	s_waitcnt vmcnt(0)
	v_xor_b32_e32 v3, 0x80000000, v3
	s_branch .LBB144_2
.LBB144_9:
	v_mov_b64_e32 v[30:31], 0
	v_mov_b64_e32 v[32:33], 0
	;; [unrolled: 1-line block ×8, first 2 shown]
.LBB144_10:
	s_load_dwordx2 s[2:3], s[0:1], 0x90
	s_load_dwordx4 s[8:11], s[0:1], 0x80
	v_lshl_add_u64 v[0:1], s[6:7], 0, v[6:7]
	s_waitcnt lgkmcnt(0)
	s_mul_i32 s1, s3, s4
	s_mul_hi_u32 s3, s2, s4
	s_mul_i32 s0, s2, s4
	s_add_i32 s1, s3, s1
	s_lshl_b64 s[0:1], s[0:1], 4
	s_add_u32 s8, s8, s0
	s_addc_u32 s9, s9, s1
	v_cmp_neq_f64_e64 s[0:1], s[14:15], 0
	v_cmp_neq_f64_e64 s[2:3], s[16:17], 0
	s_or_b64 s[6:7], s[0:1], s[2:3]
	v_cmp_gt_i64_e64 s[0:1], s[38:39], v[0:1]
	s_mov_b64 s[2:3], -1
	s_and_b64 vcc, exec, s[6:7]
	s_cbranch_vccnz .LBB144_22
; %bb.11:
	s_and_saveexec_b64 s[12:13], s[0:1]
	s_cbranch_execz .LBB144_21
; %bb.12:
	v_mul_lo_u32 v8, v1, s10
	v_mul_lo_u32 v9, v0, s11
	v_mad_u64_u32 v[6:7], s[2:3], v0, s10, 0
	v_add3_u32 v7, v7, v9, v8
	v_lshl_add_u64 v[2:3], s[24:25], 0, v[4:5]
	v_lshl_add_u64 v[6:7], v[6:7], 4, s[8:9]
	v_cmp_gt_i64_e32 vcc, s[36:37], v[2:3]
	v_lshl_add_u64 v[8:9], v[2:3], 4, v[6:7]
	s_and_saveexec_b64 s[2:3], vcc
	s_cbranch_execz .LBB144_14
; %bb.13:
	v_mul_f64 v[10:11], s[44:45], v[32:33]
	v_mul_f64 v[12:13], s[42:43], v[32:33]
	v_fma_f64 v[10:11], s[42:43], v[30:31], -v[10:11]
	v_fmac_f64_e32 v[12:13], s[44:45], v[30:31]
	global_store_dwordx4 v[8:9], v[10:13], off
.LBB144_14:
	s_or_b64 exec, exec, s[2:3]
	s_nop 0
	v_lshl_add_u64 v[10:11], v[2:3], 0, 16
	v_cmp_gt_i64_e64 s[2:3], s[36:37], v[10:11]
	s_and_saveexec_b64 s[6:7], s[2:3]
	s_cbranch_execz .LBB144_16
; %bb.15:
	v_mul_f64 v[10:11], s[44:45], v[28:29]
	v_mul_f64 v[12:13], s[42:43], v[28:29]
	v_fma_f64 v[10:11], s[42:43], v[26:27], -v[10:11]
	v_fmac_f64_e32 v[12:13], s[44:45], v[26:27]
	global_store_dwordx4 v[8:9], v[10:13], off offset:256
.LBB144_16:
	s_or_b64 exec, exec, s[6:7]
	v_lshl_add_u64 v[8:9], v[0:1], 0, 16
	v_cmp_gt_i64_e64 s[6:7], s[38:39], v[8:9]
	s_and_b64 exec, exec, s[6:7]
	s_cbranch_execz .LBB144_21
; %bb.17:
	s_lshl_b64 s[6:7], s[10:11], 8
	v_lshl_add_u64 v[6:7], v[6:7], 0, s[6:7]
	v_lshl_add_u64 v[2:3], v[2:3], 4, v[6:7]
	s_and_saveexec_b64 s[6:7], vcc
	s_cbranch_execz .LBB144_19
; %bb.18:
	v_mul_f64 v[6:7], s[44:45], v[24:25]
	v_mul_f64 v[8:9], s[42:43], v[24:25]
	v_fma_f64 v[6:7], s[42:43], v[22:23], -v[6:7]
	v_fmac_f64_e32 v[8:9], s[44:45], v[22:23]
	global_store_dwordx4 v[2:3], v[6:9], off
.LBB144_19:
	s_or_b64 exec, exec, s[6:7]
	s_and_b64 exec, exec, s[2:3]
	s_cbranch_execz .LBB144_21
; %bb.20:
	v_mul_f64 v[6:7], s[44:45], v[18:19]
	v_mul_f64 v[8:9], s[42:43], v[18:19]
	v_fma_f64 v[6:7], s[42:43], v[20:21], -v[6:7]
	v_fmac_f64_e32 v[8:9], s[44:45], v[20:21]
	global_store_dwordx4 v[2:3], v[6:9], off offset:256
.LBB144_21:
	s_or_b64 exec, exec, s[12:13]
	s_mov_b64 s[2:3], 0
.LBB144_22:
	s_andn2_b64 vcc, exec, s[2:3]
	s_cbranch_vccnz .LBB144_33
; %bb.23:
	s_and_saveexec_b64 s[2:3], s[0:1]
	s_cbranch_execz .LBB144_33
; %bb.24:
	s_mul_i32 s0, s23, s4
	s_mul_hi_u32 s1, s22, s4
	s_add_i32 s1, s1, s0
	s_mul_i32 s0, s22, s4
	s_lshl_b64 s[0:1], s[0:1], 4
	v_lshl_add_u64 v[8:9], s[24:25], 0, v[4:5]
	v_mul_lo_u32 v4, v1, s20
	v_mul_lo_u32 v5, v0, s21
	v_mad_u64_u32 v[2:3], s[2:3], v0, s20, 0
	s_add_u32 s0, s18, s0
	v_add3_u32 v3, v3, v5, v4
	v_mul_lo_u32 v6, v1, s10
	v_mul_lo_u32 v7, v0, s11
	v_mad_u64_u32 v[4:5], s[2:3], v0, s10, 0
	s_addc_u32 s1, s19, s1
	v_add3_u32 v5, v5, v7, v6
	v_cmp_gt_i64_e32 vcc, s[36:37], v[8:9]
	v_lshl_add_u64 v[6:7], v[2:3], 4, s[0:1]
	v_lshl_add_u64 v[4:5], v[4:5], 4, s[8:9]
	v_lshlrev_b64 v[2:3], 4, v[8:9]
	s_and_saveexec_b64 s[0:1], vcc
	s_cbranch_execz .LBB144_26
; %bb.25:
	v_lshl_add_u64 v[10:11], v[6:7], 0, v[2:3]
	global_load_dwordx4 v[10:13], v[10:11], off
	v_mul_f64 v[14:15], s[44:45], v[32:33]
	v_mul_f64 v[16:17], s[42:43], v[32:33]
	v_fma_f64 v[14:15], s[42:43], v[30:31], -v[14:15]
	v_fmac_f64_e32 v[16:17], s[44:45], v[30:31]
	s_waitcnt vmcnt(0)
	v_mul_f64 v[30:31], s[16:17], v[12:13]
	v_mul_f64 v[12:13], s[14:15], v[12:13]
	v_fma_f64 v[30:31], s[14:15], v[10:11], -v[30:31]
	v_fmac_f64_e32 v[12:13], s[16:17], v[10:11]
	v_add_f64 v[10:11], v[14:15], v[30:31]
	v_add_f64 v[12:13], v[16:17], v[12:13]
	v_lshl_add_u64 v[14:15], v[4:5], 0, v[2:3]
	global_store_dwordx4 v[14:15], v[10:13], off
.LBB144_26:
	s_or_b64 exec, exec, s[0:1]
	v_lshl_add_u64 v[8:9], v[8:9], 0, 16
	v_cmp_gt_i64_e64 s[0:1], s[36:37], v[8:9]
	s_and_saveexec_b64 s[2:3], s[0:1]
	s_cbranch_execz .LBB144_28
; %bb.27:
	v_lshl_add_u64 v[8:9], v[6:7], 0, v[2:3]
	global_load_dwordx4 v[8:11], v[8:9], off offset:256
	v_mul_f64 v[12:13], s[44:45], v[28:29]
	v_mul_f64 v[14:15], s[42:43], v[28:29]
	v_fma_f64 v[12:13], s[42:43], v[26:27], -v[12:13]
	v_fmac_f64_e32 v[14:15], s[44:45], v[26:27]
	s_waitcnt vmcnt(0)
	v_mul_f64 v[16:17], s[16:17], v[10:11]
	v_mul_f64 v[10:11], s[14:15], v[10:11]
	v_fma_f64 v[16:17], s[14:15], v[8:9], -v[16:17]
	v_fmac_f64_e32 v[10:11], s[16:17], v[8:9]
	v_add_f64 v[8:9], v[12:13], v[16:17]
	v_add_f64 v[10:11], v[14:15], v[10:11]
	v_lshl_add_u64 v[12:13], v[4:5], 0, v[2:3]
	global_store_dwordx4 v[12:13], v[8:11], off offset:256
.LBB144_28:
	s_or_b64 exec, exec, s[2:3]
	v_lshl_add_u64 v[0:1], v[0:1], 0, 16
	v_cmp_gt_i64_e64 s[2:3], s[38:39], v[0:1]
	s_and_b64 exec, exec, s[2:3]
	s_cbranch_execz .LBB144_33
; %bb.29:
	s_lshl_b64 s[2:3], s[20:21], 8
	v_lshl_add_u64 v[0:1], v[6:7], 0, s[2:3]
	s_lshl_b64 s[2:3], s[10:11], 8
	v_lshl_add_u64 v[6:7], v[4:5], 0, s[2:3]
	v_lshl_add_u64 v[4:5], v[0:1], 0, v[2:3]
	;; [unrolled: 1-line block ×3, first 2 shown]
	s_and_saveexec_b64 s[2:3], vcc
	s_cbranch_execz .LBB144_31
; %bb.30:
	global_load_dwordx4 v[6:9], v[4:5], off
	v_mul_f64 v[2:3], s[44:45], v[24:25]
	v_mul_f64 v[10:11], s[42:43], v[24:25]
	v_fma_f64 v[2:3], s[42:43], v[22:23], -v[2:3]
	v_fmac_f64_e32 v[10:11], s[44:45], v[22:23]
	s_waitcnt vmcnt(0)
	v_mul_f64 v[12:13], s[16:17], v[8:9]
	v_mul_f64 v[8:9], s[14:15], v[8:9]
	v_fma_f64 v[12:13], s[14:15], v[6:7], -v[12:13]
	v_fmac_f64_e32 v[8:9], s[16:17], v[6:7]
	v_add_f64 v[6:7], v[2:3], v[12:13]
	v_add_f64 v[8:9], v[10:11], v[8:9]
	global_store_dwordx4 v[0:1], v[6:9], off
.LBB144_31:
	s_or_b64 exec, exec, s[2:3]
	s_and_b64 exec, exec, s[0:1]
	s_cbranch_execz .LBB144_33
; %bb.32:
	global_load_dwordx4 v[2:5], v[4:5], off offset:256
	v_mul_f64 v[6:7], s[44:45], v[18:19]
	v_mul_f64 v[8:9], s[42:43], v[18:19]
	v_fma_f64 v[6:7], s[42:43], v[20:21], -v[6:7]
	v_fmac_f64_e32 v[8:9], s[44:45], v[20:21]
	s_waitcnt vmcnt(0)
	v_mul_f64 v[10:11], s[16:17], v[4:5]
	v_mul_f64 v[4:5], s[14:15], v[4:5]
	v_fma_f64 v[10:11], s[14:15], v[2:3], -v[10:11]
	v_fmac_f64_e32 v[4:5], s[16:17], v[2:3]
	v_add_f64 v[2:3], v[6:7], v[10:11]
	v_add_f64 v[4:5], v[8:9], v[4:5]
	global_store_dwordx4 v[0:1], v[2:5], off offset:256
.LBB144_33:
	s_endpgm
	.section	.rodata,"a",@progbits
	.p2align	6, 0x0
	.amdhsa_kernel _ZN12_GLOBAL__N_135rocblas_gemm_batched_general_kernelI19rocblas_complex_numIdELi16ELi16ELi32ELi32ELi8ELi32ELi8ELi8ELi32ELc84ELc67EKS2_S3_S2_EEvlllT_PT11_llS6_llS4_PT12_llPT13_lli
		.amdhsa_group_segment_fixed_size 8192
		.amdhsa_private_segment_fixed_size 0
		.amdhsa_kernarg_size 156
		.amdhsa_user_sgpr_count 2
		.amdhsa_user_sgpr_dispatch_ptr 0
		.amdhsa_user_sgpr_queue_ptr 0
		.amdhsa_user_sgpr_kernarg_segment_ptr 1
		.amdhsa_user_sgpr_dispatch_id 0
		.amdhsa_user_sgpr_kernarg_preload_length 0
		.amdhsa_user_sgpr_kernarg_preload_offset 0
		.amdhsa_user_sgpr_private_segment_size 0
		.amdhsa_uses_dynamic_stack 0
		.amdhsa_enable_private_segment 0
		.amdhsa_system_sgpr_workgroup_id_x 1
		.amdhsa_system_sgpr_workgroup_id_y 1
		.amdhsa_system_sgpr_workgroup_id_z 1
		.amdhsa_system_sgpr_workgroup_info 0
		.amdhsa_system_vgpr_workitem_id 1
		.amdhsa_next_free_vgpr 68
		.amdhsa_next_free_sgpr 52
		.amdhsa_accum_offset 68
		.amdhsa_reserve_vcc 1
		.amdhsa_float_round_mode_32 0
		.amdhsa_float_round_mode_16_64 0
		.amdhsa_float_denorm_mode_32 3
		.amdhsa_float_denorm_mode_16_64 3
		.amdhsa_dx10_clamp 1
		.amdhsa_ieee_mode 1
		.amdhsa_fp16_overflow 0
		.amdhsa_tg_split 0
		.amdhsa_exception_fp_ieee_invalid_op 0
		.amdhsa_exception_fp_denorm_src 0
		.amdhsa_exception_fp_ieee_div_zero 0
		.amdhsa_exception_fp_ieee_overflow 0
		.amdhsa_exception_fp_ieee_underflow 0
		.amdhsa_exception_fp_ieee_inexact 0
		.amdhsa_exception_int_div_zero 0
	.end_amdhsa_kernel
	.section	.text._ZN12_GLOBAL__N_135rocblas_gemm_batched_general_kernelI19rocblas_complex_numIdELi16ELi16ELi32ELi32ELi8ELi32ELi8ELi8ELi32ELc84ELc67EKS2_S3_S2_EEvlllT_PT11_llS6_llS4_PT12_llPT13_lli,"axG",@progbits,_ZN12_GLOBAL__N_135rocblas_gemm_batched_general_kernelI19rocblas_complex_numIdELi16ELi16ELi32ELi32ELi8ELi32ELi8ELi8ELi32ELc84ELc67EKS2_S3_S2_EEvlllT_PT11_llS6_llS4_PT12_llPT13_lli,comdat
.Lfunc_end144:
	.size	_ZN12_GLOBAL__N_135rocblas_gemm_batched_general_kernelI19rocblas_complex_numIdELi16ELi16ELi32ELi32ELi8ELi32ELi8ELi8ELi32ELc84ELc67EKS2_S3_S2_EEvlllT_PT11_llS6_llS4_PT12_llPT13_lli, .Lfunc_end144-_ZN12_GLOBAL__N_135rocblas_gemm_batched_general_kernelI19rocblas_complex_numIdELi16ELi16ELi32ELi32ELi8ELi32ELi8ELi8ELi32ELc84ELc67EKS2_S3_S2_EEvlllT_PT11_llS6_llS4_PT12_llPT13_lli
                                        ; -- End function
	.set _ZN12_GLOBAL__N_135rocblas_gemm_batched_general_kernelI19rocblas_complex_numIdELi16ELi16ELi32ELi32ELi8ELi32ELi8ELi8ELi32ELc84ELc67EKS2_S3_S2_EEvlllT_PT11_llS6_llS4_PT12_llPT13_lli.num_vgpr, 68
	.set _ZN12_GLOBAL__N_135rocblas_gemm_batched_general_kernelI19rocblas_complex_numIdELi16ELi16ELi32ELi32ELi8ELi32ELi8ELi8ELi32ELc84ELc67EKS2_S3_S2_EEvlllT_PT11_llS6_llS4_PT12_llPT13_lli.num_agpr, 0
	.set _ZN12_GLOBAL__N_135rocblas_gemm_batched_general_kernelI19rocblas_complex_numIdELi16ELi16ELi32ELi32ELi8ELi32ELi8ELi8ELi32ELc84ELc67EKS2_S3_S2_EEvlllT_PT11_llS6_llS4_PT12_llPT13_lli.numbered_sgpr, 52
	.set _ZN12_GLOBAL__N_135rocblas_gemm_batched_general_kernelI19rocblas_complex_numIdELi16ELi16ELi32ELi32ELi8ELi32ELi8ELi8ELi32ELc84ELc67EKS2_S3_S2_EEvlllT_PT11_llS6_llS4_PT12_llPT13_lli.num_named_barrier, 0
	.set _ZN12_GLOBAL__N_135rocblas_gemm_batched_general_kernelI19rocblas_complex_numIdELi16ELi16ELi32ELi32ELi8ELi32ELi8ELi8ELi32ELc84ELc67EKS2_S3_S2_EEvlllT_PT11_llS6_llS4_PT12_llPT13_lli.private_seg_size, 0
	.set _ZN12_GLOBAL__N_135rocblas_gemm_batched_general_kernelI19rocblas_complex_numIdELi16ELi16ELi32ELi32ELi8ELi32ELi8ELi8ELi32ELc84ELc67EKS2_S3_S2_EEvlllT_PT11_llS6_llS4_PT12_llPT13_lli.uses_vcc, 1
	.set _ZN12_GLOBAL__N_135rocblas_gemm_batched_general_kernelI19rocblas_complex_numIdELi16ELi16ELi32ELi32ELi8ELi32ELi8ELi8ELi32ELc84ELc67EKS2_S3_S2_EEvlllT_PT11_llS6_llS4_PT12_llPT13_lli.uses_flat_scratch, 0
	.set _ZN12_GLOBAL__N_135rocblas_gemm_batched_general_kernelI19rocblas_complex_numIdELi16ELi16ELi32ELi32ELi8ELi32ELi8ELi8ELi32ELc84ELc67EKS2_S3_S2_EEvlllT_PT11_llS6_llS4_PT12_llPT13_lli.has_dyn_sized_stack, 0
	.set _ZN12_GLOBAL__N_135rocblas_gemm_batched_general_kernelI19rocblas_complex_numIdELi16ELi16ELi32ELi32ELi8ELi32ELi8ELi8ELi32ELc84ELc67EKS2_S3_S2_EEvlllT_PT11_llS6_llS4_PT12_llPT13_lli.has_recursion, 0
	.set _ZN12_GLOBAL__N_135rocblas_gemm_batched_general_kernelI19rocblas_complex_numIdELi16ELi16ELi32ELi32ELi8ELi32ELi8ELi8ELi32ELc84ELc67EKS2_S3_S2_EEvlllT_PT11_llS6_llS4_PT12_llPT13_lli.has_indirect_call, 0
	.section	.AMDGPU.csdata,"",@progbits
; Kernel info:
; codeLenInByte = 3512
; TotalNumSgprs: 58
; NumVgprs: 68
; NumAgprs: 0
; TotalNumVgprs: 68
; ScratchSize: 0
; MemoryBound: 1
; FloatMode: 240
; IeeeMode: 1
; LDSByteSize: 8192 bytes/workgroup (compile time only)
; SGPRBlocks: 7
; VGPRBlocks: 8
; NumSGPRsForWavesPerEU: 58
; NumVGPRsForWavesPerEU: 68
; AccumOffset: 68
; Occupancy: 7
; WaveLimiterHint : 0
; COMPUTE_PGM_RSRC2:SCRATCH_EN: 0
; COMPUTE_PGM_RSRC2:USER_SGPR: 2
; COMPUTE_PGM_RSRC2:TRAP_HANDLER: 0
; COMPUTE_PGM_RSRC2:TGID_X_EN: 1
; COMPUTE_PGM_RSRC2:TGID_Y_EN: 1
; COMPUTE_PGM_RSRC2:TGID_Z_EN: 1
; COMPUTE_PGM_RSRC2:TIDIG_COMP_CNT: 1
; COMPUTE_PGM_RSRC3_GFX90A:ACCUM_OFFSET: 16
; COMPUTE_PGM_RSRC3_GFX90A:TG_SPLIT: 0
	.section	.text._ZN12_GLOBAL__N_125rocblas_gemm_scale_kernelILi32ELi32EDF16_PKPDF16_EEviiT1_T2_llli,"axG",@progbits,_ZN12_GLOBAL__N_125rocblas_gemm_scale_kernelILi32ELi32EDF16_PKPDF16_EEviiT1_T2_llli,comdat
	.globl	_ZN12_GLOBAL__N_125rocblas_gemm_scale_kernelILi32ELi32EDF16_PKPDF16_EEviiT1_T2_llli ; -- Begin function _ZN12_GLOBAL__N_125rocblas_gemm_scale_kernelILi32ELi32EDF16_PKPDF16_EEviiT1_T2_llli
	.p2align	8
	.type	_ZN12_GLOBAL__N_125rocblas_gemm_scale_kernelILi32ELi32EDF16_PKPDF16_EEviiT1_T2_llli,@function
_ZN12_GLOBAL__N_125rocblas_gemm_scale_kernelILi32ELi32EDF16_PKPDF16_EEviiT1_T2_llli: ; @_ZN12_GLOBAL__N_125rocblas_gemm_scale_kernelILi32ELi32EDF16_PKPDF16_EEviiT1_T2_llli
; %bb.0:
	s_load_dwordx4 s[8:11], s[0:1], 0x0
	v_and_b32_e32 v1, 0x3ff, v0
	v_bfe_u32 v0, v0, 10, 10
	v_lshl_add_u32 v2, s2, 5, v1
	v_lshl_add_u32 v0, s3, 5, v0
	s_waitcnt lgkmcnt(0)
	v_cmp_gt_u32_e32 vcc, s8, v2
	v_cmp_gt_u32_e64 s[2:3], s9, v0
	s_and_b64 s[2:3], vcc, s[2:3]
	s_and_saveexec_b64 s[6:7], s[2:3]
	s_cbranch_execz .LBB145_4
; %bb.1:
	s_load_dwordx4 s[12:15], s[0:1], 0x10
	s_load_dwordx2 s[2:3], s[0:1], 0x20
	s_mov_b32 s5, 0
	s_lshl_b64 s[0:1], s[4:5], 3
	v_mov_b32_e32 v3, 0
	s_waitcnt lgkmcnt(0)
	s_add_u32 s0, s12, s0
	s_addc_u32 s1, s13, s1
	s_load_dwordx2 s[0:1], s[0:1], 0x0
	v_mad_u64_u32 v[4:5], s[6:7], s2, v0, 0
	s_lshl_b64 s[6:7], s[14:15], 1
	v_mov_b32_e32 v6, v5
	s_waitcnt lgkmcnt(0)
	s_add_u32 s0, s0, s6
	v_mad_u64_u32 v[0:1], s[2:3], s3, v0, v[6:7]
	v_cmp_eq_f16_e64 s[4:5], s10, 0
	s_addc_u32 s1, s1, s7
	v_mov_b32_e32 v5, v0
	s_and_b64 vcc, exec, s[4:5]
	v_lshl_add_u64 v[0:1], v[4:5], 1, s[0:1]
	v_mov_b32_e32 v4, v3
	s_cbranch_vccnz .LBB145_3
; %bb.2:
	v_lshl_add_u64 v[4:5], v[2:3], 1, v[0:1]
	flat_load_ushort v4, v[4:5]
	s_waitcnt vmcnt(0) lgkmcnt(0)
	v_mul_f16_e32 v4, s10, v4
.LBB145_3:
	v_lshl_add_u64 v[0:1], v[2:3], 1, v[0:1]
	flat_store_short v[0:1], v4
.LBB145_4:
	s_endpgm
	.section	.rodata,"a",@progbits
	.p2align	6, 0x0
	.amdhsa_kernel _ZN12_GLOBAL__N_125rocblas_gemm_scale_kernelILi32ELi32EDF16_PKPDF16_EEviiT1_T2_llli
		.amdhsa_group_segment_fixed_size 0
		.amdhsa_private_segment_fixed_size 0
		.amdhsa_kernarg_size 52
		.amdhsa_user_sgpr_count 2
		.amdhsa_user_sgpr_dispatch_ptr 0
		.amdhsa_user_sgpr_queue_ptr 0
		.amdhsa_user_sgpr_kernarg_segment_ptr 1
		.amdhsa_user_sgpr_dispatch_id 0
		.amdhsa_user_sgpr_kernarg_preload_length 0
		.amdhsa_user_sgpr_kernarg_preload_offset 0
		.amdhsa_user_sgpr_private_segment_size 0
		.amdhsa_uses_dynamic_stack 0
		.amdhsa_enable_private_segment 0
		.amdhsa_system_sgpr_workgroup_id_x 1
		.amdhsa_system_sgpr_workgroup_id_y 1
		.amdhsa_system_sgpr_workgroup_id_z 1
		.amdhsa_system_sgpr_workgroup_info 0
		.amdhsa_system_vgpr_workitem_id 1
		.amdhsa_next_free_vgpr 8
		.amdhsa_next_free_sgpr 16
		.amdhsa_accum_offset 8
		.amdhsa_reserve_vcc 1
		.amdhsa_float_round_mode_32 0
		.amdhsa_float_round_mode_16_64 0
		.amdhsa_float_denorm_mode_32 3
		.amdhsa_float_denorm_mode_16_64 3
		.amdhsa_dx10_clamp 1
		.amdhsa_ieee_mode 1
		.amdhsa_fp16_overflow 0
		.amdhsa_tg_split 0
		.amdhsa_exception_fp_ieee_invalid_op 0
		.amdhsa_exception_fp_denorm_src 0
		.amdhsa_exception_fp_ieee_div_zero 0
		.amdhsa_exception_fp_ieee_overflow 0
		.amdhsa_exception_fp_ieee_underflow 0
		.amdhsa_exception_fp_ieee_inexact 0
		.amdhsa_exception_int_div_zero 0
	.end_amdhsa_kernel
	.section	.text._ZN12_GLOBAL__N_125rocblas_gemm_scale_kernelILi32ELi32EDF16_PKPDF16_EEviiT1_T2_llli,"axG",@progbits,_ZN12_GLOBAL__N_125rocblas_gemm_scale_kernelILi32ELi32EDF16_PKPDF16_EEviiT1_T2_llli,comdat
.Lfunc_end145:
	.size	_ZN12_GLOBAL__N_125rocblas_gemm_scale_kernelILi32ELi32EDF16_PKPDF16_EEviiT1_T2_llli, .Lfunc_end145-_ZN12_GLOBAL__N_125rocblas_gemm_scale_kernelILi32ELi32EDF16_PKPDF16_EEviiT1_T2_llli
                                        ; -- End function
	.set _ZN12_GLOBAL__N_125rocblas_gemm_scale_kernelILi32ELi32EDF16_PKPDF16_EEviiT1_T2_llli.num_vgpr, 8
	.set _ZN12_GLOBAL__N_125rocblas_gemm_scale_kernelILi32ELi32EDF16_PKPDF16_EEviiT1_T2_llli.num_agpr, 0
	.set _ZN12_GLOBAL__N_125rocblas_gemm_scale_kernelILi32ELi32EDF16_PKPDF16_EEviiT1_T2_llli.numbered_sgpr, 16
	.set _ZN12_GLOBAL__N_125rocblas_gemm_scale_kernelILi32ELi32EDF16_PKPDF16_EEviiT1_T2_llli.num_named_barrier, 0
	.set _ZN12_GLOBAL__N_125rocblas_gemm_scale_kernelILi32ELi32EDF16_PKPDF16_EEviiT1_T2_llli.private_seg_size, 0
	.set _ZN12_GLOBAL__N_125rocblas_gemm_scale_kernelILi32ELi32EDF16_PKPDF16_EEviiT1_T2_llli.uses_vcc, 1
	.set _ZN12_GLOBAL__N_125rocblas_gemm_scale_kernelILi32ELi32EDF16_PKPDF16_EEviiT1_T2_llli.uses_flat_scratch, 0
	.set _ZN12_GLOBAL__N_125rocblas_gemm_scale_kernelILi32ELi32EDF16_PKPDF16_EEviiT1_T2_llli.has_dyn_sized_stack, 0
	.set _ZN12_GLOBAL__N_125rocblas_gemm_scale_kernelILi32ELi32EDF16_PKPDF16_EEviiT1_T2_llli.has_recursion, 0
	.set _ZN12_GLOBAL__N_125rocblas_gemm_scale_kernelILi32ELi32EDF16_PKPDF16_EEviiT1_T2_llli.has_indirect_call, 0
	.section	.AMDGPU.csdata,"",@progbits
; Kernel info:
; codeLenInByte = 228
; TotalNumSgprs: 22
; NumVgprs: 8
; NumAgprs: 0
; TotalNumVgprs: 8
; ScratchSize: 0
; MemoryBound: 0
; FloatMode: 240
; IeeeMode: 1
; LDSByteSize: 0 bytes/workgroup (compile time only)
; SGPRBlocks: 2
; VGPRBlocks: 0
; NumSGPRsForWavesPerEU: 22
; NumVGPRsForWavesPerEU: 8
; AccumOffset: 8
; Occupancy: 8
; WaveLimiterHint : 1
; COMPUTE_PGM_RSRC2:SCRATCH_EN: 0
; COMPUTE_PGM_RSRC2:USER_SGPR: 2
; COMPUTE_PGM_RSRC2:TRAP_HANDLER: 0
; COMPUTE_PGM_RSRC2:TGID_X_EN: 1
; COMPUTE_PGM_RSRC2:TGID_Y_EN: 1
; COMPUTE_PGM_RSRC2:TGID_Z_EN: 1
; COMPUTE_PGM_RSRC2:TIDIG_COMP_CNT: 1
; COMPUTE_PGM_RSRC3_GFX90A:ACCUM_OFFSET: 1
; COMPUTE_PGM_RSRC3_GFX90A:TG_SPLIT: 0
	.section	.text._ZN12_GLOBAL__N_120gemm_ex_scale_kernelILi32ELi32EDF16_PKPKDF16_PKPDF16_EEviiT1_T2_lllT3_llli,"axG",@progbits,_ZN12_GLOBAL__N_120gemm_ex_scale_kernelILi32ELi32EDF16_PKPKDF16_PKPDF16_EEviiT1_T2_lllT3_llli,comdat
	.globl	_ZN12_GLOBAL__N_120gemm_ex_scale_kernelILi32ELi32EDF16_PKPKDF16_PKPDF16_EEviiT1_T2_lllT3_llli ; -- Begin function _ZN12_GLOBAL__N_120gemm_ex_scale_kernelILi32ELi32EDF16_PKPKDF16_PKPDF16_EEviiT1_T2_lllT3_llli
	.p2align	8
	.type	_ZN12_GLOBAL__N_120gemm_ex_scale_kernelILi32ELi32EDF16_PKPKDF16_PKPDF16_EEviiT1_T2_lllT3_llli,@function
_ZN12_GLOBAL__N_120gemm_ex_scale_kernelILi32ELi32EDF16_PKPKDF16_PKPDF16_EEviiT1_T2_lllT3_llli: ; @_ZN12_GLOBAL__N_120gemm_ex_scale_kernelILi32ELi32EDF16_PKPKDF16_PKPDF16_EEviiT1_T2_lllT3_llli
; %bb.0:
	s_load_dwordx8 s[8:15], s[0:1], 0x0
	s_load_dwordx2 s[6:7], s[0:1], 0x20
	s_mov_b32 s5, 0
	s_waitcnt lgkmcnt(0)
	v_cmp_eq_f16_e64 s[18:19], s10, 0
	s_and_b64 vcc, exec, s[18:19]
	s_cbranch_vccnz .LBB146_2
; %bb.1:
	s_lshl_b64 s[16:17], s[4:5], 3
	s_add_u32 s12, s12, s16
	s_addc_u32 s13, s13, s17
	s_load_dwordx2 s[12:13], s[12:13], 0x0
	s_lshl_b64 s[14:15], s[14:15], 1
	s_waitcnt lgkmcnt(0)
	s_add_u32 s16, s12, s14
	s_addc_u32 s17, s13, s15
	s_branch .LBB146_3
.LBB146_2:
	s_mov_b64 s[16:17], 0
.LBB146_3:
	v_and_b32_e32 v1, 0x3ff, v0
	v_bfe_u32 v0, v0, 10, 10
	v_lshl_add_u32 v2, s2, 5, v1
	v_lshl_add_u32 v4, s3, 5, v0
	v_cmp_gt_u32_e32 vcc, s8, v2
	v_cmp_gt_u32_e64 s[2:3], s9, v4
	s_and_b64 s[2:3], vcc, s[2:3]
	s_and_saveexec_b64 s[8:9], s[2:3]
	s_cbranch_execz .LBB146_9
; %bb.4:
	s_load_dwordx4 s[12:15], s[0:1], 0x30
	s_load_dwordx2 s[2:3], s[0:1], 0x40
	s_lshl_b64 s[0:1], s[4:5], 3
	v_mov_b32_e32 v3, 0
	s_waitcnt lgkmcnt(0)
	s_add_u32 s0, s12, s0
	s_addc_u32 s1, s13, s1
	s_load_dwordx2 s[0:1], s[0:1], 0x0
	s_andn2_b64 vcc, exec, s[18:19]
	s_cbranch_vccnz .LBB146_6
; %bb.5:
	v_mov_b32_e32 v1, 0
	v_mov_b32_e32 v0, v2
	s_cbranch_execz .LBB146_7
	s_branch .LBB146_8
.LBB146_6:
	v_mov_b64_e32 v[0:1], v[2:3]
.LBB146_7:
	v_mad_u64_u32 v[6:7], s[4:5], s6, v4, 0
	v_mov_b32_e32 v8, v7
	v_mad_u64_u32 v[8:9], s[4:5], s7, v4, v[8:9]
	v_mov_b32_e32 v7, v8
	v_lshl_add_u64 v[6:7], v[6:7], 1, s[16:17]
	v_lshl_add_u64 v[2:3], v[2:3], 1, v[6:7]
	flat_load_ushort v2, v[2:3]
	s_waitcnt vmcnt(0) lgkmcnt(0)
	v_mul_f16_e32 v3, s10, v2
.LBB146_8:
	s_lshl_b64 s[4:5], s[14:15], 1
	s_waitcnt lgkmcnt(0)
	s_add_u32 s0, s0, s4
	s_addc_u32 s1, s1, s5
	v_mad_u64_u32 v[6:7], s[4:5], s2, v4, 0
	v_mov_b32_e32 v2, v7
	v_mad_u64_u32 v[4:5], s[2:3], s3, v4, v[2:3]
	v_mov_b32_e32 v7, v4
	v_lshl_add_u64 v[4:5], v[6:7], 1, s[0:1]
	v_lshl_add_u64 v[0:1], v[0:1], 1, v[4:5]
	flat_store_short v[0:1], v3
.LBB146_9:
	s_endpgm
	.section	.rodata,"a",@progbits
	.p2align	6, 0x0
	.amdhsa_kernel _ZN12_GLOBAL__N_120gemm_ex_scale_kernelILi32ELi32EDF16_PKPKDF16_PKPDF16_EEviiT1_T2_lllT3_llli
		.amdhsa_group_segment_fixed_size 0
		.amdhsa_private_segment_fixed_size 0
		.amdhsa_kernarg_size 84
		.amdhsa_user_sgpr_count 2
		.amdhsa_user_sgpr_dispatch_ptr 0
		.amdhsa_user_sgpr_queue_ptr 0
		.amdhsa_user_sgpr_kernarg_segment_ptr 1
		.amdhsa_user_sgpr_dispatch_id 0
		.amdhsa_user_sgpr_kernarg_preload_length 0
		.amdhsa_user_sgpr_kernarg_preload_offset 0
		.amdhsa_user_sgpr_private_segment_size 0
		.amdhsa_uses_dynamic_stack 0
		.amdhsa_enable_private_segment 0
		.amdhsa_system_sgpr_workgroup_id_x 1
		.amdhsa_system_sgpr_workgroup_id_y 1
		.amdhsa_system_sgpr_workgroup_id_z 1
		.amdhsa_system_sgpr_workgroup_info 0
		.amdhsa_system_vgpr_workitem_id 1
		.amdhsa_next_free_vgpr 10
		.amdhsa_next_free_sgpr 20
		.amdhsa_accum_offset 12
		.amdhsa_reserve_vcc 1
		.amdhsa_float_round_mode_32 0
		.amdhsa_float_round_mode_16_64 0
		.amdhsa_float_denorm_mode_32 3
		.amdhsa_float_denorm_mode_16_64 3
		.amdhsa_dx10_clamp 1
		.amdhsa_ieee_mode 1
		.amdhsa_fp16_overflow 0
		.amdhsa_tg_split 0
		.amdhsa_exception_fp_ieee_invalid_op 0
		.amdhsa_exception_fp_denorm_src 0
		.amdhsa_exception_fp_ieee_div_zero 0
		.amdhsa_exception_fp_ieee_overflow 0
		.amdhsa_exception_fp_ieee_underflow 0
		.amdhsa_exception_fp_ieee_inexact 0
		.amdhsa_exception_int_div_zero 0
	.end_amdhsa_kernel
	.section	.text._ZN12_GLOBAL__N_120gemm_ex_scale_kernelILi32ELi32EDF16_PKPKDF16_PKPDF16_EEviiT1_T2_lllT3_llli,"axG",@progbits,_ZN12_GLOBAL__N_120gemm_ex_scale_kernelILi32ELi32EDF16_PKPKDF16_PKPDF16_EEviiT1_T2_lllT3_llli,comdat
.Lfunc_end146:
	.size	_ZN12_GLOBAL__N_120gemm_ex_scale_kernelILi32ELi32EDF16_PKPKDF16_PKPDF16_EEviiT1_T2_lllT3_llli, .Lfunc_end146-_ZN12_GLOBAL__N_120gemm_ex_scale_kernelILi32ELi32EDF16_PKPKDF16_PKPDF16_EEviiT1_T2_lllT3_llli
                                        ; -- End function
	.set _ZN12_GLOBAL__N_120gemm_ex_scale_kernelILi32ELi32EDF16_PKPKDF16_PKPDF16_EEviiT1_T2_lllT3_llli.num_vgpr, 10
	.set _ZN12_GLOBAL__N_120gemm_ex_scale_kernelILi32ELi32EDF16_PKPKDF16_PKPDF16_EEviiT1_T2_lllT3_llli.num_agpr, 0
	.set _ZN12_GLOBAL__N_120gemm_ex_scale_kernelILi32ELi32EDF16_PKPKDF16_PKPDF16_EEviiT1_T2_lllT3_llli.numbered_sgpr, 20
	.set _ZN12_GLOBAL__N_120gemm_ex_scale_kernelILi32ELi32EDF16_PKPKDF16_PKPDF16_EEviiT1_T2_lllT3_llli.num_named_barrier, 0
	.set _ZN12_GLOBAL__N_120gemm_ex_scale_kernelILi32ELi32EDF16_PKPKDF16_PKPDF16_EEviiT1_T2_lllT3_llli.private_seg_size, 0
	.set _ZN12_GLOBAL__N_120gemm_ex_scale_kernelILi32ELi32EDF16_PKPKDF16_PKPDF16_EEviiT1_T2_lllT3_llli.uses_vcc, 1
	.set _ZN12_GLOBAL__N_120gemm_ex_scale_kernelILi32ELi32EDF16_PKPKDF16_PKPDF16_EEviiT1_T2_lllT3_llli.uses_flat_scratch, 0
	.set _ZN12_GLOBAL__N_120gemm_ex_scale_kernelILi32ELi32EDF16_PKPKDF16_PKPDF16_EEviiT1_T2_lllT3_llli.has_dyn_sized_stack, 0
	.set _ZN12_GLOBAL__N_120gemm_ex_scale_kernelILi32ELi32EDF16_PKPKDF16_PKPDF16_EEviiT1_T2_lllT3_llli.has_recursion, 0
	.set _ZN12_GLOBAL__N_120gemm_ex_scale_kernelILi32ELi32EDF16_PKPKDF16_PKPDF16_EEviiT1_T2_lllT3_llli.has_indirect_call, 0
	.section	.AMDGPU.csdata,"",@progbits
; Kernel info:
; codeLenInByte = 336
; TotalNumSgprs: 26
; NumVgprs: 10
; NumAgprs: 0
; TotalNumVgprs: 10
; ScratchSize: 0
; MemoryBound: 0
; FloatMode: 240
; IeeeMode: 1
; LDSByteSize: 0 bytes/workgroup (compile time only)
; SGPRBlocks: 3
; VGPRBlocks: 1
; NumSGPRsForWavesPerEU: 26
; NumVGPRsForWavesPerEU: 10
; AccumOffset: 12
; Occupancy: 8
; WaveLimiterHint : 1
; COMPUTE_PGM_RSRC2:SCRATCH_EN: 0
; COMPUTE_PGM_RSRC2:USER_SGPR: 2
; COMPUTE_PGM_RSRC2:TRAP_HANDLER: 0
; COMPUTE_PGM_RSRC2:TGID_X_EN: 1
; COMPUTE_PGM_RSRC2:TGID_Y_EN: 1
; COMPUTE_PGM_RSRC2:TGID_Z_EN: 1
; COMPUTE_PGM_RSRC2:TIDIG_COMP_CNT: 1
; COMPUTE_PGM_RSRC3_GFX90A:ACCUM_OFFSET: 2
; COMPUTE_PGM_RSRC3_GFX90A:TG_SPLIT: 0
	.section	.text._ZN12_GLOBAL__N_127rocblas_gemm_batched_kernelIDF16_Li16ELi16ELi64ELi64ELi4ELi64ELi4ELi4ELi64ELc78ELc78EKPKDF16_S3_KPDF16_EEvlllT_PT11_llS8_llS6_PT12_llPT13_lli,"axG",@progbits,_ZN12_GLOBAL__N_127rocblas_gemm_batched_kernelIDF16_Li16ELi16ELi64ELi64ELi4ELi64ELi4ELi4ELi64ELc78ELc78EKPKDF16_S3_KPDF16_EEvlllT_PT11_llS8_llS6_PT12_llPT13_lli,comdat
	.globl	_ZN12_GLOBAL__N_127rocblas_gemm_batched_kernelIDF16_Li16ELi16ELi64ELi64ELi4ELi64ELi4ELi4ELi64ELc78ELc78EKPKDF16_S3_KPDF16_EEvlllT_PT11_llS8_llS6_PT12_llPT13_lli ; -- Begin function _ZN12_GLOBAL__N_127rocblas_gemm_batched_kernelIDF16_Li16ELi16ELi64ELi64ELi4ELi64ELi4ELi4ELi64ELc78ELc78EKPKDF16_S3_KPDF16_EEvlllT_PT11_llS8_llS6_PT12_llPT13_lli
	.p2align	8
	.type	_ZN12_GLOBAL__N_127rocblas_gemm_batched_kernelIDF16_Li16ELi16ELi64ELi64ELi4ELi64ELi4ELi4ELi64ELc78ELc78EKPKDF16_S3_KPDF16_EEvlllT_PT11_llS8_llS6_PT12_llPT13_lli,@function
_ZN12_GLOBAL__N_127rocblas_gemm_batched_kernelIDF16_Li16ELi16ELi64ELi64ELi4ELi64ELi4ELi4ELi64ELc78ELc78EKPKDF16_S3_KPDF16_EEvlllT_PT11_llS8_llS6_PT12_llPT13_lli: ; @_ZN12_GLOBAL__N_127rocblas_gemm_batched_kernelIDF16_Li16ELi16ELi64ELi64ELi4ELi64ELi4ELi4ELi64ELc78ELc78EKPKDF16_S3_KPDF16_EEvlllT_PT11_llS8_llS6_PT12_llPT13_lli
; %bb.0:
	s_load_dwordx2 s[28:29], s[0:1], 0x10
	s_load_dwordx4 s[24:27], s[0:1], 0x78
	s_load_dwordx8 s[8:15], s[0:1], 0x58
	s_mov_b32 s5, 0
	s_lshl_b64 s[30:31], s[4:5], 3
	s_mov_b32 s16, s3
	v_mov_b32_e32 v3, 0
	s_waitcnt lgkmcnt(0)
	s_add_u32 s4, s8, s30
	s_addc_u32 s5, s9, s31
	s_add_u32 s6, s14, s30
	s_addc_u32 s7, s15, s31
	s_load_dwordx2 s[4:5], s[4:5], 0x0
	s_ashr_i32 s3, s2, 31
	s_load_dwordx2 s[6:7], s[6:7], 0x0
	s_ashr_i32 s17, s16, 31
	v_cmp_lt_i64_e64 s[14:15], s[28:29], 1
	v_bfe_u32 v2, v0, 10, 10
	v_and_b32_e32 v0, 0x3ff, v0
	v_mov_b32_e32 v1, v3
	s_lshl_b64 s[2:3], s[2:3], 6
	s_lshl_b64 s[8:9], s[16:17], 6
	s_and_b64 vcc, exec, s[14:15]
	s_cbranch_vccnz .LBB147_3
; %bb.1:
	s_load_dwordx8 s[16:23], s[0:1], 0x20
	s_load_dwordx4 s[36:39], s[0:1], 0x40
	v_lshl_add_u32 v10, v2, 4, v0
	v_lshrrev_b32_e32 v4, 2, v10
	v_mov_b32_e32 v5, v3
	s_waitcnt lgkmcnt(0)
	s_add_u32 s14, s16, s30
	v_and_b32_e32 v8, 63, v10
	s_addc_u32 s15, s17, s31
	v_lshl_add_u64 v[6:7], v[4:5], 0, s[8:9]
	v_and_b32_e32 v5, 3, v0
	v_lshrrev_b32_e32 v12, 6, v10
	v_lshlrev_b32_e32 v10, 1, v8
	s_add_u32 s16, s22, s30
	v_lshl_or_b32 v18, v12, 7, v10
	v_lshlrev_b32_e32 v10, 1, v5
	s_addc_u32 s17, s23, s31
	v_lshl_or_b32 v4, v4, 3, v10
	s_load_dwordx2 s[16:17], s[16:17], 0x0
	v_add_u32_e32 v19, 0x200, v4
	v_mov_b32_e32 v4, 0x200
	v_lshl_add_u32 v21, v2, 3, v4
	v_mul_lo_u32 v11, s37, v6
	v_mul_lo_u32 v7, s36, v7
	v_mad_u64_u32 v[4:5], s[22:23], s36, v6, 0
	v_add3_u32 v5, v5, v7, v11
	s_lshl_b64 s[22:23], s[38:39], 1
	s_load_dwordx2 s[14:15], s[14:15], 0x0
	v_lshl_add_u64 v[4:5], v[4:5], 1, s[22:23]
	v_mov_b32_e32 v11, v3
	v_lshl_add_u64 v[4:5], v[4:5], 0, v[10:11]
	v_mov_b64_e32 v[6:7], s[2:3]
	s_waitcnt lgkmcnt(0)
	v_lshl_add_u64 v[4:5], s[16:17], 0, v[4:5]
	s_lshl_b64 s[16:17], s[20:21], 1
	v_mad_u64_u32 v[6:7], s[20:21], s18, v12, v[6:7]
	v_mov_b32_e32 v10, v7
	v_mad_u64_u32 v[10:11], s[20:21], s19, v12, v[10:11]
	v_mov_b32_e32 v9, v3
	v_mov_b32_e32 v7, v10
	s_add_u32 s14, s14, s16
	v_lshl_add_u64 v[6:7], v[6:7], 0, v[8:9]
	s_addc_u32 s15, s15, s17
	v_lshlrev_b32_e32 v20, 1, v0
	v_lshl_add_u64 v[6:7], v[6:7], 1, s[14:15]
	s_lshl_b64 s[14:15], s[18:19], 3
	s_mov_b64 s[16:17], 0
	s_mov_b32 s18, 0x5040100
	v_mov_b64_e32 v[8:9], s[28:29]
	v_mov_b32_e32 v10, v3
	v_mov_b32_e32 v11, v3
	;; [unrolled: 1-line block ×8, first 2 shown]
.LBB147_2:                              ; =>This Inner Loop Header: Depth=1
	flat_load_ushort v22, v[6:7]
	s_add_u32 s16, s16, 4
	s_addc_u32 s17, s17, 0
	v_cmp_lt_i64_e32 vcc, s[16:17], v[8:9]
	v_lshl_add_u64 v[6:7], v[6:7], 0, s[14:15]
	s_and_b64 vcc, exec, vcc
	s_waitcnt vmcnt(0) lgkmcnt(0)
	ds_write_b16 v18, v22
	flat_load_ushort v22, v[4:5]
	v_lshl_add_u64 v[4:5], v[4:5], 0, 8
	s_waitcnt vmcnt(0) lgkmcnt(0)
	ds_write_b16 v19, v22
	s_waitcnt lgkmcnt(0)
	s_barrier
	ds_read2_b64 v[22:25], v21 offset1:16
	ds_read2_b64 v[26:29], v21 offset0:32 offset1:48
	ds_read_u16 v30, v20
	ds_read_u16 v31, v20 offset:32
	ds_read_u16 v32, v20 offset:64
	;; [unrolled: 1-line block ×15, first 2 shown]
	s_waitcnt lgkmcnt(14)
	v_perm_b32 v30, v30, v31, s18
	s_waitcnt lgkmcnt(12)
	v_perm_b32 v32, v32, v33, s18
	;; [unrolled: 2-line block ×4, first 2 shown]
	v_pk_fma_f16 v17, v30, v22, v17 op_sel_hi:[1,0,1]
	v_pk_fma_f16 v16, v32, v22, v16 op_sel_hi:[1,0,1]
	;; [unrolled: 1-line block ×8, first 2 shown]
	s_waitcnt lgkmcnt(6)
	v_perm_b32 v34, v38, v39, s18
	s_waitcnt lgkmcnt(4)
	v_perm_b32 v36, v40, v41, s18
	v_pk_fma_f16 v17, v31, v22, v17 op_sel:[0,1,0]
	v_pk_fma_f16 v16, v33, v22, v16 op_sel:[0,1,0]
	;; [unrolled: 1-line block ×8, first 2 shown]
	s_waitcnt lgkmcnt(2)
	v_perm_b32 v35, v42, v43, s18
	s_waitcnt lgkmcnt(0)
	v_perm_b32 v37, v44, v45, s18
	v_pk_fma_f16 v17, v34, v23, v17 op_sel_hi:[1,0,1]
	v_pk_fma_f16 v16, v36, v23, v16 op_sel_hi:[1,0,1]
	;; [unrolled: 1-line block ×8, first 2 shown]
	v_pk_fma_f16 v17, v35, v23, v17 op_sel:[0,1,0]
	v_pk_fma_f16 v16, v37, v23, v16 op_sel:[0,1,0]
	;; [unrolled: 1-line block ×8, first 2 shown]
	s_barrier
	s_cbranch_vccnz .LBB147_2
	s_branch .LBB147_4
.LBB147_3:
	v_mov_b32_e32 v17, v3
	v_mov_b32_e32 v16, v3
	;; [unrolled: 1-line block ×8, first 2 shown]
.LBB147_4:
	s_load_dword s14, s[0:1], 0x18
	s_load_dword s15, s[0:1], 0x50
	s_lshl_b64 s[0:1], s[26:27], 1
	s_waitcnt lgkmcnt(0)
	s_add_u32 s0, s6, s0
	s_addc_u32 s1, s7, s1
	v_lshl_add_u64 v[2:3], s[8:9], 0, v[2:3]
	v_cmp_neq_f16_e64 s[6:7], s15, 0
	v_lshl_add_u64 v[0:1], s[2:3], 0, v[0:1]
	s_and_b64 vcc, exec, s[6:7]
	v_mul_lo_u32 v20, v3, s24
	v_mul_lo_u32 v21, v2, s25
	v_lshrrev_b32_e32 v19, 16, v17
	v_lshlrev_b64 v[0:1], 1, v[0:1]
	v_lshrrev_b32_e32 v18, 16, v16
	v_lshrrev_b32_e32 v9, 16, v15
	;; [unrolled: 1-line block ×7, first 2 shown]
	s_cbranch_vccnz .LBB147_8
; %bb.5:
	v_mad_u64_u32 v[22:23], s[2:3], v2, s24, 0
	v_add3_u32 v23, v23, v21, v20
	v_lshl_add_u64 v[22:23], v[22:23], 1, s[0:1]
	v_mul_f16_sdwa v26, s14, v17 dst_sel:DWORD dst_unused:UNUSED_PAD src0_sel:DWORD src1_sel:WORD_1
	v_lshl_add_u64 v[24:25], v[22:23], 0, v[0:1]
	flat_store_short v[24:25], v26
	v_mul_f16_e32 v26, s14, v17
	flat_store_short v[24:25], v26 offset:32
	v_mul_f16_sdwa v26, s14, v16 dst_sel:DWORD dst_unused:UNUSED_PAD src0_sel:DWORD src1_sel:WORD_1
	s_lshl_b64 s[2:3], s[24:25], 5
	flat_store_short v[24:25], v26 offset:64
	v_mul_f16_e32 v26, s14, v16
	v_lshl_add_u64 v[22:23], v[22:23], 0, s[2:3]
	flat_store_short v[24:25], v26 offset:96
	v_mul_f16_sdwa v26, s14, v15 dst_sel:DWORD dst_unused:UNUSED_PAD src0_sel:DWORD src1_sel:WORD_1
	v_lshl_add_u64 v[24:25], v[22:23], 0, v[0:1]
	flat_store_short v[24:25], v26
	v_mul_f16_e32 v26, s14, v15
	flat_store_short v[24:25], v26 offset:32
	v_mul_f16_sdwa v26, s14, v14 dst_sel:DWORD dst_unused:UNUSED_PAD src0_sel:DWORD src1_sel:WORD_1
	flat_store_short v[24:25], v26 offset:64
	v_mul_f16_e32 v26, s14, v14
	v_lshl_add_u64 v[22:23], v[22:23], 0, s[2:3]
	flat_store_short v[24:25], v26 offset:96
	v_mul_f16_sdwa v26, s14, v13 dst_sel:DWORD dst_unused:UNUSED_PAD src0_sel:DWORD src1_sel:WORD_1
	v_lshl_add_u64 v[24:25], v[22:23], 0, v[0:1]
	flat_store_short v[24:25], v26
	v_mul_f16_e32 v26, s14, v13
	flat_store_short v[24:25], v26 offset:32
	v_mul_f16_sdwa v26, s14, v12 dst_sel:DWORD dst_unused:UNUSED_PAD src0_sel:DWORD src1_sel:WORD_1
	flat_store_short v[24:25], v26 offset:64
	v_mul_f16_e32 v26, s14, v12
	v_lshl_add_u64 v[22:23], v[22:23], 0, s[2:3]
	flat_store_short v[24:25], v26 offset:96
	v_mul_f16_sdwa v24, s14, v11 dst_sel:DWORD dst_unused:UNUSED_PAD src0_sel:DWORD src1_sel:WORD_1
	v_lshl_add_u64 v[22:23], v[22:23], 0, v[0:1]
	flat_store_short v[22:23], v24
	v_mul_f16_e32 v24, s14, v11
	flat_store_short v[22:23], v24 offset:32
	v_mul_f16_sdwa v24, s14, v10 dst_sel:DWORD dst_unused:UNUSED_PAD src0_sel:DWORD src1_sel:WORD_1
	flat_store_short v[22:23], v24 offset:64
	v_mul_f16_e32 v24, s14, v10
	flat_store_short v[22:23], v24 offset:96
	s_cbranch_execnz .LBB147_7
.LBB147_6:
	s_lshl_b64 s[2:3], s[12:13], 1
	s_add_u32 s2, s4, s2
	s_addc_u32 s3, s5, s3
	v_mul_lo_u32 v3, v3, s10
	v_mul_lo_u32 v24, v2, s11
	v_mad_u64_u32 v[22:23], s[4:5], v2, s10, 0
	v_add3_u32 v23, v23, v24, v3
	v_lshl_add_u64 v[22:23], v[22:23], 1, s[2:3]
	v_lshl_add_u64 v[24:25], v[22:23], 0, v[0:1]
	flat_load_ushort v26, v[24:25]
	v_mad_u64_u32 v[2:3], s[2:3], v2, s24, 0
	v_add3_u32 v3, v3, v21, v20
	v_lshl_add_u64 v[2:3], v[2:3], 1, s[0:1]
	v_lshl_add_u64 v[20:21], v[2:3], 0, v[0:1]
	s_lshl_b64 s[0:1], s[10:11], 5
	s_lshl_b64 s[2:3], s[24:25], 5
	v_lshl_add_u64 v[2:3], v[2:3], 0, s[2:3]
	s_waitcnt vmcnt(0) lgkmcnt(0)
	v_mul_f16_e32 v26, s15, v26
	v_fma_f16 v19, s14, v19, v26
	flat_store_short v[20:21], v19
	flat_load_ushort v19, v[24:25] offset:32
	s_waitcnt vmcnt(0) lgkmcnt(0)
	v_mul_f16_e32 v19, s15, v19
	v_fma_f16 v17, s14, v17, v19
	flat_store_short v[20:21], v17 offset:32
	flat_load_ushort v17, v[24:25] offset:64
	s_waitcnt vmcnt(0) lgkmcnt(0)
	v_mul_f16_e32 v17, s15, v17
	v_fma_f16 v17, s14, v18, v17
	flat_store_short v[20:21], v17 offset:64
	flat_load_ushort v17, v[24:25] offset:96
	v_lshl_add_u64 v[18:19], v[22:23], 0, s[0:1]
	v_lshl_add_u64 v[22:23], v[18:19], 0, v[0:1]
	s_waitcnt vmcnt(0) lgkmcnt(0)
	v_mul_f16_e32 v17, s15, v17
	v_fma_f16 v16, s14, v16, v17
	flat_store_short v[20:21], v16 offset:96
	flat_load_ushort v20, v[22:23]
	v_lshl_add_u64 v[16:17], v[2:3], 0, v[0:1]
	v_lshl_add_u64 v[2:3], v[2:3], 0, s[2:3]
	s_waitcnt vmcnt(0) lgkmcnt(0)
	v_mul_f16_e32 v20, s15, v20
	v_fma_f16 v9, s14, v9, v20
	flat_store_short v[16:17], v9
	flat_load_ushort v9, v[22:23] offset:32
	s_waitcnt vmcnt(0) lgkmcnt(0)
	v_mul_f16_e32 v9, s15, v9
	v_fma_f16 v9, s14, v15, v9
	flat_store_short v[16:17], v9 offset:32
	flat_load_ushort v9, v[22:23] offset:64
	s_waitcnt vmcnt(0) lgkmcnt(0)
	v_mul_f16_e32 v9, s15, v9
	v_fma_f16 v8, s14, v8, v9
	flat_store_short v[16:17], v8 offset:64
	flat_load_ushort v15, v[22:23] offset:96
	v_lshl_add_u64 v[8:9], v[18:19], 0, s[0:1]
	v_lshl_add_u64 v[18:19], v[8:9], 0, v[0:1]
	s_waitcnt vmcnt(0) lgkmcnt(0)
	v_mul_f16_e32 v15, s15, v15
	v_fma_f16 v14, s14, v14, v15
	flat_store_short v[16:17], v14 offset:96
	flat_load_ushort v16, v[18:19]
	v_lshl_add_u64 v[14:15], v[2:3], 0, v[0:1]
	v_lshl_add_u64 v[2:3], v[2:3], 0, s[2:3]
	s_waitcnt vmcnt(0) lgkmcnt(0)
	v_mul_f16_e32 v16, s15, v16
	v_fma_f16 v7, s14, v7, v16
	flat_store_short v[14:15], v7
	flat_load_ushort v7, v[18:19] offset:32
	s_waitcnt vmcnt(0) lgkmcnt(0)
	v_mul_f16_e32 v7, s15, v7
	v_fma_f16 v7, s14, v13, v7
	flat_store_short v[14:15], v7 offset:32
	flat_load_ushort v7, v[18:19] offset:64
	s_waitcnt vmcnt(0) lgkmcnt(0)
	v_mul_f16_e32 v7, s15, v7
	v_fma_f16 v6, s14, v6, v7
	flat_store_short v[14:15], v6 offset:64
	flat_load_ushort v13, v[18:19] offset:96
	v_lshl_add_u64 v[6:7], v[8:9], 0, s[0:1]
	v_lshl_add_u64 v[6:7], v[6:7], 0, v[0:1]
	;; [unrolled: 1-line block ×3, first 2 shown]
	s_waitcnt vmcnt(0) lgkmcnt(0)
	v_mul_f16_e32 v8, s15, v13
	v_fma_f16 v8, s14, v12, v8
	flat_store_short v[14:15], v8 offset:96
	flat_load_ushort v8, v[6:7]
	s_waitcnt vmcnt(0) lgkmcnt(0)
	v_mul_f16_e32 v8, s15, v8
	v_fma_f16 v5, s14, v5, v8
	flat_store_short v[0:1], v5
	flat_load_ushort v2, v[6:7] offset:32
	s_waitcnt vmcnt(0) lgkmcnt(0)
	v_mul_f16_e32 v2, s15, v2
	v_fma_f16 v2, s14, v11, v2
	flat_store_short v[0:1], v2 offset:32
	flat_load_ushort v2, v[6:7] offset:64
	s_waitcnt vmcnt(0) lgkmcnt(0)
	v_mul_f16_e32 v2, s15, v2
	v_fma_f16 v2, s14, v4, v2
	flat_store_short v[0:1], v2 offset:64
	;; [unrolled: 5-line block ×3, first 2 shown]
.LBB147_7:
	s_endpgm
.LBB147_8:
	s_branch .LBB147_6
	.section	.rodata,"a",@progbits
	.p2align	6, 0x0
	.amdhsa_kernel _ZN12_GLOBAL__N_127rocblas_gemm_batched_kernelIDF16_Li16ELi16ELi64ELi64ELi4ELi64ELi4ELi4ELi64ELc78ELc78EKPKDF16_S3_KPDF16_EEvlllT_PT11_llS8_llS6_PT12_llPT13_lli
		.amdhsa_group_segment_fixed_size 1024
		.amdhsa_private_segment_fixed_size 0
		.amdhsa_kernarg_size 140
		.amdhsa_user_sgpr_count 2
		.amdhsa_user_sgpr_dispatch_ptr 0
		.amdhsa_user_sgpr_queue_ptr 0
		.amdhsa_user_sgpr_kernarg_segment_ptr 1
		.amdhsa_user_sgpr_dispatch_id 0
		.amdhsa_user_sgpr_kernarg_preload_length 0
		.amdhsa_user_sgpr_kernarg_preload_offset 0
		.amdhsa_user_sgpr_private_segment_size 0
		.amdhsa_uses_dynamic_stack 0
		.amdhsa_enable_private_segment 0
		.amdhsa_system_sgpr_workgroup_id_x 1
		.amdhsa_system_sgpr_workgroup_id_y 1
		.amdhsa_system_sgpr_workgroup_id_z 1
		.amdhsa_system_sgpr_workgroup_info 0
		.amdhsa_system_vgpr_workitem_id 1
		.amdhsa_next_free_vgpr 46
		.amdhsa_next_free_sgpr 40
		.amdhsa_accum_offset 48
		.amdhsa_reserve_vcc 1
		.amdhsa_float_round_mode_32 0
		.amdhsa_float_round_mode_16_64 0
		.amdhsa_float_denorm_mode_32 3
		.amdhsa_float_denorm_mode_16_64 3
		.amdhsa_dx10_clamp 1
		.amdhsa_ieee_mode 1
		.amdhsa_fp16_overflow 0
		.amdhsa_tg_split 0
		.amdhsa_exception_fp_ieee_invalid_op 0
		.amdhsa_exception_fp_denorm_src 0
		.amdhsa_exception_fp_ieee_div_zero 0
		.amdhsa_exception_fp_ieee_overflow 0
		.amdhsa_exception_fp_ieee_underflow 0
		.amdhsa_exception_fp_ieee_inexact 0
		.amdhsa_exception_int_div_zero 0
	.end_amdhsa_kernel
	.section	.text._ZN12_GLOBAL__N_127rocblas_gemm_batched_kernelIDF16_Li16ELi16ELi64ELi64ELi4ELi64ELi4ELi4ELi64ELc78ELc78EKPKDF16_S3_KPDF16_EEvlllT_PT11_llS8_llS6_PT12_llPT13_lli,"axG",@progbits,_ZN12_GLOBAL__N_127rocblas_gemm_batched_kernelIDF16_Li16ELi16ELi64ELi64ELi4ELi64ELi4ELi4ELi64ELc78ELc78EKPKDF16_S3_KPDF16_EEvlllT_PT11_llS8_llS6_PT12_llPT13_lli,comdat
.Lfunc_end147:
	.size	_ZN12_GLOBAL__N_127rocblas_gemm_batched_kernelIDF16_Li16ELi16ELi64ELi64ELi4ELi64ELi4ELi4ELi64ELc78ELc78EKPKDF16_S3_KPDF16_EEvlllT_PT11_llS8_llS6_PT12_llPT13_lli, .Lfunc_end147-_ZN12_GLOBAL__N_127rocblas_gemm_batched_kernelIDF16_Li16ELi16ELi64ELi64ELi4ELi64ELi4ELi4ELi64ELc78ELc78EKPKDF16_S3_KPDF16_EEvlllT_PT11_llS8_llS6_PT12_llPT13_lli
                                        ; -- End function
	.set _ZN12_GLOBAL__N_127rocblas_gemm_batched_kernelIDF16_Li16ELi16ELi64ELi64ELi4ELi64ELi4ELi4ELi64ELc78ELc78EKPKDF16_S3_KPDF16_EEvlllT_PT11_llS8_llS6_PT12_llPT13_lli.num_vgpr, 46
	.set _ZN12_GLOBAL__N_127rocblas_gemm_batched_kernelIDF16_Li16ELi16ELi64ELi64ELi4ELi64ELi4ELi4ELi64ELc78ELc78EKPKDF16_S3_KPDF16_EEvlllT_PT11_llS8_llS6_PT12_llPT13_lli.num_agpr, 0
	.set _ZN12_GLOBAL__N_127rocblas_gemm_batched_kernelIDF16_Li16ELi16ELi64ELi64ELi4ELi64ELi4ELi4ELi64ELc78ELc78EKPKDF16_S3_KPDF16_EEvlllT_PT11_llS8_llS6_PT12_llPT13_lli.numbered_sgpr, 40
	.set _ZN12_GLOBAL__N_127rocblas_gemm_batched_kernelIDF16_Li16ELi16ELi64ELi64ELi4ELi64ELi4ELi4ELi64ELc78ELc78EKPKDF16_S3_KPDF16_EEvlllT_PT11_llS8_llS6_PT12_llPT13_lli.num_named_barrier, 0
	.set _ZN12_GLOBAL__N_127rocblas_gemm_batched_kernelIDF16_Li16ELi16ELi64ELi64ELi4ELi64ELi4ELi4ELi64ELc78ELc78EKPKDF16_S3_KPDF16_EEvlllT_PT11_llS8_llS6_PT12_llPT13_lli.private_seg_size, 0
	.set _ZN12_GLOBAL__N_127rocblas_gemm_batched_kernelIDF16_Li16ELi16ELi64ELi64ELi4ELi64ELi4ELi4ELi64ELc78ELc78EKPKDF16_S3_KPDF16_EEvlllT_PT11_llS8_llS6_PT12_llPT13_lli.uses_vcc, 1
	.set _ZN12_GLOBAL__N_127rocblas_gemm_batched_kernelIDF16_Li16ELi16ELi64ELi64ELi4ELi64ELi4ELi4ELi64ELc78ELc78EKPKDF16_S3_KPDF16_EEvlllT_PT11_llS8_llS6_PT12_llPT13_lli.uses_flat_scratch, 0
	.set _ZN12_GLOBAL__N_127rocblas_gemm_batched_kernelIDF16_Li16ELi16ELi64ELi64ELi4ELi64ELi4ELi4ELi64ELc78ELc78EKPKDF16_S3_KPDF16_EEvlllT_PT11_llS8_llS6_PT12_llPT13_lli.has_dyn_sized_stack, 0
	.set _ZN12_GLOBAL__N_127rocblas_gemm_batched_kernelIDF16_Li16ELi16ELi64ELi64ELi4ELi64ELi4ELi4ELi64ELc78ELc78EKPKDF16_S3_KPDF16_EEvlllT_PT11_llS8_llS6_PT12_llPT13_lli.has_recursion, 0
	.set _ZN12_GLOBAL__N_127rocblas_gemm_batched_kernelIDF16_Li16ELi16ELi64ELi64ELi4ELi64ELi4ELi4ELi64ELc78ELc78EKPKDF16_S3_KPDF16_EEvlllT_PT11_llS8_llS6_PT12_llPT13_lli.has_indirect_call, 0
	.section	.AMDGPU.csdata,"",@progbits
; Kernel info:
; codeLenInByte = 2216
; TotalNumSgprs: 46
; NumVgprs: 46
; NumAgprs: 0
; TotalNumVgprs: 46
; ScratchSize: 0
; MemoryBound: 0
; FloatMode: 240
; IeeeMode: 1
; LDSByteSize: 1024 bytes/workgroup (compile time only)
; SGPRBlocks: 5
; VGPRBlocks: 5
; NumSGPRsForWavesPerEU: 46
; NumVGPRsForWavesPerEU: 46
; AccumOffset: 48
; Occupancy: 8
; WaveLimiterHint : 1
; COMPUTE_PGM_RSRC2:SCRATCH_EN: 0
; COMPUTE_PGM_RSRC2:USER_SGPR: 2
; COMPUTE_PGM_RSRC2:TRAP_HANDLER: 0
; COMPUTE_PGM_RSRC2:TGID_X_EN: 1
; COMPUTE_PGM_RSRC2:TGID_Y_EN: 1
; COMPUTE_PGM_RSRC2:TGID_Z_EN: 1
; COMPUTE_PGM_RSRC2:TIDIG_COMP_CNT: 1
; COMPUTE_PGM_RSRC3_GFX90A:ACCUM_OFFSET: 11
; COMPUTE_PGM_RSRC3_GFX90A:TG_SPLIT: 0
	.section	.text._ZN12_GLOBAL__N_127rocblas_gemm_batched_kernelIDF16_Li16ELi16ELi64ELi64ELi4ELi64ELi4ELi4ELi64ELc84ELc78EKPKDF16_S3_KPDF16_EEvlllT_PT11_llS8_llS6_PT12_llPT13_lli,"axG",@progbits,_ZN12_GLOBAL__N_127rocblas_gemm_batched_kernelIDF16_Li16ELi16ELi64ELi64ELi4ELi64ELi4ELi4ELi64ELc84ELc78EKPKDF16_S3_KPDF16_EEvlllT_PT11_llS8_llS6_PT12_llPT13_lli,comdat
	.globl	_ZN12_GLOBAL__N_127rocblas_gemm_batched_kernelIDF16_Li16ELi16ELi64ELi64ELi4ELi64ELi4ELi4ELi64ELc84ELc78EKPKDF16_S3_KPDF16_EEvlllT_PT11_llS8_llS6_PT12_llPT13_lli ; -- Begin function _ZN12_GLOBAL__N_127rocblas_gemm_batched_kernelIDF16_Li16ELi16ELi64ELi64ELi4ELi64ELi4ELi4ELi64ELc84ELc78EKPKDF16_S3_KPDF16_EEvlllT_PT11_llS8_llS6_PT12_llPT13_lli
	.p2align	8
	.type	_ZN12_GLOBAL__N_127rocblas_gemm_batched_kernelIDF16_Li16ELi16ELi64ELi64ELi4ELi64ELi4ELi4ELi64ELc84ELc78EKPKDF16_S3_KPDF16_EEvlllT_PT11_llS8_llS6_PT12_llPT13_lli,@function
_ZN12_GLOBAL__N_127rocblas_gemm_batched_kernelIDF16_Li16ELi16ELi64ELi64ELi4ELi64ELi4ELi4ELi64ELc84ELc78EKPKDF16_S3_KPDF16_EEvlllT_PT11_llS8_llS6_PT12_llPT13_lli: ; @_ZN12_GLOBAL__N_127rocblas_gemm_batched_kernelIDF16_Li16ELi16ELi64ELi64ELi4ELi64ELi4ELi4ELi64ELc84ELc78EKPKDF16_S3_KPDF16_EEvlllT_PT11_llS8_llS6_PT12_llPT13_lli
; %bb.0:
	s_load_dwordx2 s[28:29], s[0:1], 0x10
	s_load_dwordx4 s[24:27], s[0:1], 0x78
	s_load_dwordx8 s[8:15], s[0:1], 0x58
	s_mov_b32 s5, 0
	s_lshl_b64 s[30:31], s[4:5], 3
	s_mov_b32 s16, s3
	v_mov_b32_e32 v3, 0
	s_waitcnt lgkmcnt(0)
	s_add_u32 s4, s8, s30
	s_addc_u32 s5, s9, s31
	s_add_u32 s6, s14, s30
	s_addc_u32 s7, s15, s31
	s_load_dwordx2 s[4:5], s[4:5], 0x0
	s_ashr_i32 s3, s2, 31
	s_load_dwordx2 s[6:7], s[6:7], 0x0
	s_ashr_i32 s17, s16, 31
	v_cmp_lt_i64_e64 s[14:15], s[28:29], 1
	v_bfe_u32 v2, v0, 10, 10
	v_and_b32_e32 v0, 0x3ff, v0
	v_mov_b32_e32 v1, v3
	s_lshl_b64 s[2:3], s[2:3], 6
	s_lshl_b64 s[8:9], s[16:17], 6
	s_and_b64 vcc, exec, s[14:15]
	s_cbranch_vccnz .LBB148_3
; %bb.1:
	s_load_dwordx8 s[16:23], s[0:1], 0x20
	s_load_dwordx4 s[36:39], s[0:1], 0x40
	v_lshl_add_u32 v10, v2, 4, v0
	v_lshrrev_b32_e32 v4, 2, v10
	v_mov_b32_e32 v5, v3
	s_waitcnt lgkmcnt(0)
	s_add_u32 s14, s16, s30
	v_and_b32_e32 v8, 63, v10
	s_addc_u32 s15, s17, s31
	v_lshl_add_u64 v[6:7], v[4:5], 0, s[8:9]
	v_and_b32_e32 v5, 3, v0
	v_lshrrev_b32_e32 v12, 6, v10
	v_lshlrev_b32_e32 v10, 1, v8
	s_add_u32 s16, s22, s30
	v_lshl_or_b32 v18, v12, 7, v10
	v_lshlrev_b32_e32 v10, 1, v5
	s_addc_u32 s17, s23, s31
	v_lshl_or_b32 v4, v4, 3, v10
	s_load_dwordx2 s[16:17], s[16:17], 0x0
	v_add_u32_e32 v19, 0x200, v4
	v_mov_b32_e32 v4, 0x200
	v_lshl_add_u32 v21, v2, 3, v4
	v_mul_lo_u32 v11, s37, v6
	v_mul_lo_u32 v7, s36, v7
	v_mad_u64_u32 v[4:5], s[22:23], s36, v6, 0
	v_add3_u32 v5, v5, v7, v11
	s_lshl_b64 s[22:23], s[38:39], 1
	v_mov_b32_e32 v9, v3
	v_lshl_add_u64 v[4:5], v[4:5], 1, s[22:23]
	v_mov_b32_e32 v11, v3
	s_load_dwordx2 s[14:15], s[14:15], 0x0
	v_lshl_add_u64 v[4:5], v[4:5], 0, v[10:11]
	v_lshl_add_u64 v[6:7], s[2:3], 0, v[8:9]
	s_waitcnt lgkmcnt(0)
	v_lshl_add_u64 v[4:5], s[16:17], 0, v[4:5]
	v_mul_lo_u32 v8, s19, v6
	v_mul_lo_u32 v9, s18, v7
	v_mad_u64_u32 v[6:7], s[16:17], s18, v6, 0
	v_add3_u32 v7, v7, v9, v8
	s_lshl_b64 s[16:17], s[20:21], 1
	v_lshl_add_u64 v[6:7], v[6:7], 1, s[16:17]
	v_lshlrev_b32_e32 v8, 1, v12
	v_mov_b32_e32 v9, v3
	v_lshl_add_u64 v[6:7], v[6:7], 0, v[8:9]
	v_lshlrev_b32_e32 v20, 1, v0
	v_lshl_add_u64 v[6:7], s[14:15], 0, v[6:7]
	s_mov_b64 s[14:15], 0
	s_mov_b32 s16, 0x5040100
	v_mov_b64_e32 v[8:9], s[28:29]
	v_mov_b32_e32 v10, v3
	v_mov_b32_e32 v12, v3
	;; [unrolled: 1-line block ×7, first 2 shown]
.LBB148_2:                              ; =>This Inner Loop Header: Depth=1
	flat_load_ushort v22, v[6:7]
	s_add_u32 s14, s14, 4
	s_addc_u32 s15, s15, 0
	v_cmp_lt_i64_e32 vcc, s[14:15], v[8:9]
	v_lshl_add_u64 v[6:7], v[6:7], 0, 8
	s_and_b64 vcc, exec, vcc
	s_waitcnt vmcnt(0) lgkmcnt(0)
	ds_write_b16 v18, v22
	flat_load_ushort v22, v[4:5]
	v_lshl_add_u64 v[4:5], v[4:5], 0, 8
	s_waitcnt vmcnt(0) lgkmcnt(0)
	ds_write_b16 v19, v22
	s_waitcnt lgkmcnt(0)
	s_barrier
	ds_read2_b64 v[22:25], v21 offset1:16
	ds_read2_b64 v[26:29], v21 offset0:32 offset1:48
	ds_read_u16 v30, v20
	ds_read_u16 v31, v20 offset:32
	ds_read_u16 v32, v20 offset:64
	;; [unrolled: 1-line block ×15, first 2 shown]
	s_waitcnt lgkmcnt(14)
	v_perm_b32 v30, v30, v31, s16
	s_waitcnt lgkmcnt(12)
	v_perm_b32 v32, v32, v33, s16
	;; [unrolled: 2-line block ×4, first 2 shown]
	v_pk_fma_f16 v17, v30, v22, v17 op_sel_hi:[1,0,1]
	v_pk_fma_f16 v16, v32, v22, v16 op_sel_hi:[1,0,1]
	;; [unrolled: 1-line block ×8, first 2 shown]
	s_waitcnt lgkmcnt(6)
	v_perm_b32 v34, v38, v39, s16
	s_waitcnt lgkmcnt(4)
	v_perm_b32 v36, v40, v41, s16
	v_pk_fma_f16 v17, v31, v22, v17 op_sel:[0,1,0]
	v_pk_fma_f16 v16, v33, v22, v16 op_sel:[0,1,0]
	;; [unrolled: 1-line block ×8, first 2 shown]
	s_waitcnt lgkmcnt(2)
	v_perm_b32 v35, v42, v43, s16
	s_waitcnt lgkmcnt(0)
	v_perm_b32 v37, v44, v45, s16
	v_pk_fma_f16 v17, v34, v23, v17 op_sel_hi:[1,0,1]
	v_pk_fma_f16 v16, v36, v23, v16 op_sel_hi:[1,0,1]
	;; [unrolled: 1-line block ×8, first 2 shown]
	v_pk_fma_f16 v17, v35, v23, v17 op_sel:[0,1,0]
	v_pk_fma_f16 v16, v37, v23, v16 op_sel:[0,1,0]
	;; [unrolled: 1-line block ×8, first 2 shown]
	s_barrier
	s_cbranch_vccnz .LBB148_2
	s_branch .LBB148_4
.LBB148_3:
	v_mov_b32_e32 v17, v3
	v_mov_b32_e32 v16, v3
	;; [unrolled: 1-line block ×8, first 2 shown]
.LBB148_4:
	s_load_dword s14, s[0:1], 0x18
	s_load_dword s15, s[0:1], 0x50
	s_lshl_b64 s[0:1], s[26:27], 1
	s_waitcnt lgkmcnt(0)
	s_add_u32 s0, s6, s0
	s_addc_u32 s1, s7, s1
	v_lshl_add_u64 v[2:3], s[8:9], 0, v[2:3]
	v_cmp_neq_f16_e64 s[6:7], s15, 0
	v_lshl_add_u64 v[0:1], s[2:3], 0, v[0:1]
	s_and_b64 vcc, exec, s[6:7]
	v_mul_lo_u32 v20, v3, s24
	v_mul_lo_u32 v21, v2, s25
	v_lshrrev_b32_e32 v19, 16, v17
	v_lshlrev_b64 v[0:1], 1, v[0:1]
	v_lshrrev_b32_e32 v18, 16, v16
	v_lshrrev_b32_e32 v9, 16, v15
	;; [unrolled: 1-line block ×7, first 2 shown]
	s_cbranch_vccnz .LBB148_8
; %bb.5:
	v_mad_u64_u32 v[22:23], s[2:3], v2, s24, 0
	v_add3_u32 v23, v23, v21, v20
	v_lshl_add_u64 v[22:23], v[22:23], 1, s[0:1]
	v_mul_f16_sdwa v26, s14, v17 dst_sel:DWORD dst_unused:UNUSED_PAD src0_sel:DWORD src1_sel:WORD_1
	v_lshl_add_u64 v[24:25], v[22:23], 0, v[0:1]
	flat_store_short v[24:25], v26
	v_mul_f16_e32 v26, s14, v17
	flat_store_short v[24:25], v26 offset:32
	v_mul_f16_sdwa v26, s14, v16 dst_sel:DWORD dst_unused:UNUSED_PAD src0_sel:DWORD src1_sel:WORD_1
	s_lshl_b64 s[2:3], s[24:25], 5
	flat_store_short v[24:25], v26 offset:64
	v_mul_f16_e32 v26, s14, v16
	v_lshl_add_u64 v[22:23], v[22:23], 0, s[2:3]
	flat_store_short v[24:25], v26 offset:96
	v_mul_f16_sdwa v26, s14, v15 dst_sel:DWORD dst_unused:UNUSED_PAD src0_sel:DWORD src1_sel:WORD_1
	v_lshl_add_u64 v[24:25], v[22:23], 0, v[0:1]
	flat_store_short v[24:25], v26
	v_mul_f16_e32 v26, s14, v15
	flat_store_short v[24:25], v26 offset:32
	v_mul_f16_sdwa v26, s14, v14 dst_sel:DWORD dst_unused:UNUSED_PAD src0_sel:DWORD src1_sel:WORD_1
	flat_store_short v[24:25], v26 offset:64
	v_mul_f16_e32 v26, s14, v14
	v_lshl_add_u64 v[22:23], v[22:23], 0, s[2:3]
	flat_store_short v[24:25], v26 offset:96
	v_mul_f16_sdwa v26, s14, v13 dst_sel:DWORD dst_unused:UNUSED_PAD src0_sel:DWORD src1_sel:WORD_1
	v_lshl_add_u64 v[24:25], v[22:23], 0, v[0:1]
	flat_store_short v[24:25], v26
	v_mul_f16_e32 v26, s14, v13
	flat_store_short v[24:25], v26 offset:32
	v_mul_f16_sdwa v26, s14, v12 dst_sel:DWORD dst_unused:UNUSED_PAD src0_sel:DWORD src1_sel:WORD_1
	;; [unrolled: 10-line block ×3, first 2 shown]
	flat_store_short v[22:23], v24 offset:64
	v_mul_f16_e32 v24, s14, v10
	flat_store_short v[22:23], v24 offset:96
	s_cbranch_execnz .LBB148_7
.LBB148_6:
	s_lshl_b64 s[2:3], s[12:13], 1
	s_add_u32 s2, s4, s2
	s_addc_u32 s3, s5, s3
	v_mul_lo_u32 v3, v3, s10
	v_mul_lo_u32 v24, v2, s11
	v_mad_u64_u32 v[22:23], s[4:5], v2, s10, 0
	v_add3_u32 v23, v23, v24, v3
	v_lshl_add_u64 v[22:23], v[22:23], 1, s[2:3]
	v_lshl_add_u64 v[24:25], v[22:23], 0, v[0:1]
	flat_load_ushort v26, v[24:25]
	v_mad_u64_u32 v[2:3], s[2:3], v2, s24, 0
	v_add3_u32 v3, v3, v21, v20
	v_lshl_add_u64 v[2:3], v[2:3], 1, s[0:1]
	v_lshl_add_u64 v[20:21], v[2:3], 0, v[0:1]
	s_lshl_b64 s[0:1], s[10:11], 5
	s_lshl_b64 s[2:3], s[24:25], 5
	v_lshl_add_u64 v[2:3], v[2:3], 0, s[2:3]
	s_waitcnt vmcnt(0) lgkmcnt(0)
	v_mul_f16_e32 v26, s15, v26
	v_fma_f16 v19, s14, v19, v26
	flat_store_short v[20:21], v19
	flat_load_ushort v19, v[24:25] offset:32
	s_waitcnt vmcnt(0) lgkmcnt(0)
	v_mul_f16_e32 v19, s15, v19
	v_fma_f16 v17, s14, v17, v19
	flat_store_short v[20:21], v17 offset:32
	flat_load_ushort v17, v[24:25] offset:64
	s_waitcnt vmcnt(0) lgkmcnt(0)
	v_mul_f16_e32 v17, s15, v17
	v_fma_f16 v17, s14, v18, v17
	flat_store_short v[20:21], v17 offset:64
	flat_load_ushort v17, v[24:25] offset:96
	v_lshl_add_u64 v[18:19], v[22:23], 0, s[0:1]
	v_lshl_add_u64 v[22:23], v[18:19], 0, v[0:1]
	s_waitcnt vmcnt(0) lgkmcnt(0)
	v_mul_f16_e32 v17, s15, v17
	v_fma_f16 v16, s14, v16, v17
	flat_store_short v[20:21], v16 offset:96
	flat_load_ushort v20, v[22:23]
	v_lshl_add_u64 v[16:17], v[2:3], 0, v[0:1]
	v_lshl_add_u64 v[2:3], v[2:3], 0, s[2:3]
	s_waitcnt vmcnt(0) lgkmcnt(0)
	v_mul_f16_e32 v20, s15, v20
	v_fma_f16 v9, s14, v9, v20
	flat_store_short v[16:17], v9
	flat_load_ushort v9, v[22:23] offset:32
	s_waitcnt vmcnt(0) lgkmcnt(0)
	v_mul_f16_e32 v9, s15, v9
	v_fma_f16 v9, s14, v15, v9
	flat_store_short v[16:17], v9 offset:32
	flat_load_ushort v9, v[22:23] offset:64
	s_waitcnt vmcnt(0) lgkmcnt(0)
	v_mul_f16_e32 v9, s15, v9
	v_fma_f16 v8, s14, v8, v9
	flat_store_short v[16:17], v8 offset:64
	flat_load_ushort v15, v[22:23] offset:96
	v_lshl_add_u64 v[8:9], v[18:19], 0, s[0:1]
	v_lshl_add_u64 v[18:19], v[8:9], 0, v[0:1]
	s_waitcnt vmcnt(0) lgkmcnt(0)
	v_mul_f16_e32 v15, s15, v15
	v_fma_f16 v14, s14, v14, v15
	flat_store_short v[16:17], v14 offset:96
	flat_load_ushort v16, v[18:19]
	v_lshl_add_u64 v[14:15], v[2:3], 0, v[0:1]
	v_lshl_add_u64 v[2:3], v[2:3], 0, s[2:3]
	s_waitcnt vmcnt(0) lgkmcnt(0)
	v_mul_f16_e32 v16, s15, v16
	v_fma_f16 v7, s14, v7, v16
	flat_store_short v[14:15], v7
	flat_load_ushort v7, v[18:19] offset:32
	s_waitcnt vmcnt(0) lgkmcnt(0)
	v_mul_f16_e32 v7, s15, v7
	v_fma_f16 v7, s14, v13, v7
	flat_store_short v[14:15], v7 offset:32
	flat_load_ushort v7, v[18:19] offset:64
	s_waitcnt vmcnt(0) lgkmcnt(0)
	v_mul_f16_e32 v7, s15, v7
	v_fma_f16 v6, s14, v6, v7
	flat_store_short v[14:15], v6 offset:64
	flat_load_ushort v13, v[18:19] offset:96
	v_lshl_add_u64 v[6:7], v[8:9], 0, s[0:1]
	v_lshl_add_u64 v[6:7], v[6:7], 0, v[0:1]
	;; [unrolled: 1-line block ×3, first 2 shown]
	s_waitcnt vmcnt(0) lgkmcnt(0)
	v_mul_f16_e32 v8, s15, v13
	v_fma_f16 v8, s14, v12, v8
	flat_store_short v[14:15], v8 offset:96
	flat_load_ushort v8, v[6:7]
	s_waitcnt vmcnt(0) lgkmcnt(0)
	v_mul_f16_e32 v8, s15, v8
	v_fma_f16 v5, s14, v5, v8
	flat_store_short v[0:1], v5
	flat_load_ushort v2, v[6:7] offset:32
	s_waitcnt vmcnt(0) lgkmcnt(0)
	v_mul_f16_e32 v2, s15, v2
	v_fma_f16 v2, s14, v11, v2
	flat_store_short v[0:1], v2 offset:32
	flat_load_ushort v2, v[6:7] offset:64
	s_waitcnt vmcnt(0) lgkmcnt(0)
	v_mul_f16_e32 v2, s15, v2
	v_fma_f16 v2, s14, v4, v2
	flat_store_short v[0:1], v2 offset:64
	;; [unrolled: 5-line block ×3, first 2 shown]
.LBB148_7:
	s_endpgm
.LBB148_8:
	s_branch .LBB148_6
	.section	.rodata,"a",@progbits
	.p2align	6, 0x0
	.amdhsa_kernel _ZN12_GLOBAL__N_127rocblas_gemm_batched_kernelIDF16_Li16ELi16ELi64ELi64ELi4ELi64ELi4ELi4ELi64ELc84ELc78EKPKDF16_S3_KPDF16_EEvlllT_PT11_llS8_llS6_PT12_llPT13_lli
		.amdhsa_group_segment_fixed_size 1024
		.amdhsa_private_segment_fixed_size 0
		.amdhsa_kernarg_size 140
		.amdhsa_user_sgpr_count 2
		.amdhsa_user_sgpr_dispatch_ptr 0
		.amdhsa_user_sgpr_queue_ptr 0
		.amdhsa_user_sgpr_kernarg_segment_ptr 1
		.amdhsa_user_sgpr_dispatch_id 0
		.amdhsa_user_sgpr_kernarg_preload_length 0
		.amdhsa_user_sgpr_kernarg_preload_offset 0
		.amdhsa_user_sgpr_private_segment_size 0
		.amdhsa_uses_dynamic_stack 0
		.amdhsa_enable_private_segment 0
		.amdhsa_system_sgpr_workgroup_id_x 1
		.amdhsa_system_sgpr_workgroup_id_y 1
		.amdhsa_system_sgpr_workgroup_id_z 1
		.amdhsa_system_sgpr_workgroup_info 0
		.amdhsa_system_vgpr_workitem_id 1
		.amdhsa_next_free_vgpr 46
		.amdhsa_next_free_sgpr 40
		.amdhsa_accum_offset 48
		.amdhsa_reserve_vcc 1
		.amdhsa_float_round_mode_32 0
		.amdhsa_float_round_mode_16_64 0
		.amdhsa_float_denorm_mode_32 3
		.amdhsa_float_denorm_mode_16_64 3
		.amdhsa_dx10_clamp 1
		.amdhsa_ieee_mode 1
		.amdhsa_fp16_overflow 0
		.amdhsa_tg_split 0
		.amdhsa_exception_fp_ieee_invalid_op 0
		.amdhsa_exception_fp_denorm_src 0
		.amdhsa_exception_fp_ieee_div_zero 0
		.amdhsa_exception_fp_ieee_overflow 0
		.amdhsa_exception_fp_ieee_underflow 0
		.amdhsa_exception_fp_ieee_inexact 0
		.amdhsa_exception_int_div_zero 0
	.end_amdhsa_kernel
	.section	.text._ZN12_GLOBAL__N_127rocblas_gemm_batched_kernelIDF16_Li16ELi16ELi64ELi64ELi4ELi64ELi4ELi4ELi64ELc84ELc78EKPKDF16_S3_KPDF16_EEvlllT_PT11_llS8_llS6_PT12_llPT13_lli,"axG",@progbits,_ZN12_GLOBAL__N_127rocblas_gemm_batched_kernelIDF16_Li16ELi16ELi64ELi64ELi4ELi64ELi4ELi4ELi64ELc84ELc78EKPKDF16_S3_KPDF16_EEvlllT_PT11_llS8_llS6_PT12_llPT13_lli,comdat
.Lfunc_end148:
	.size	_ZN12_GLOBAL__N_127rocblas_gemm_batched_kernelIDF16_Li16ELi16ELi64ELi64ELi4ELi64ELi4ELi4ELi64ELc84ELc78EKPKDF16_S3_KPDF16_EEvlllT_PT11_llS8_llS6_PT12_llPT13_lli, .Lfunc_end148-_ZN12_GLOBAL__N_127rocblas_gemm_batched_kernelIDF16_Li16ELi16ELi64ELi64ELi4ELi64ELi4ELi4ELi64ELc84ELc78EKPKDF16_S3_KPDF16_EEvlllT_PT11_llS8_llS6_PT12_llPT13_lli
                                        ; -- End function
	.set _ZN12_GLOBAL__N_127rocblas_gemm_batched_kernelIDF16_Li16ELi16ELi64ELi64ELi4ELi64ELi4ELi4ELi64ELc84ELc78EKPKDF16_S3_KPDF16_EEvlllT_PT11_llS8_llS6_PT12_llPT13_lli.num_vgpr, 46
	.set _ZN12_GLOBAL__N_127rocblas_gemm_batched_kernelIDF16_Li16ELi16ELi64ELi64ELi4ELi64ELi4ELi4ELi64ELc84ELc78EKPKDF16_S3_KPDF16_EEvlllT_PT11_llS8_llS6_PT12_llPT13_lli.num_agpr, 0
	.set _ZN12_GLOBAL__N_127rocblas_gemm_batched_kernelIDF16_Li16ELi16ELi64ELi64ELi4ELi64ELi4ELi4ELi64ELc84ELc78EKPKDF16_S3_KPDF16_EEvlllT_PT11_llS8_llS6_PT12_llPT13_lli.numbered_sgpr, 40
	.set _ZN12_GLOBAL__N_127rocblas_gemm_batched_kernelIDF16_Li16ELi16ELi64ELi64ELi4ELi64ELi4ELi4ELi64ELc84ELc78EKPKDF16_S3_KPDF16_EEvlllT_PT11_llS8_llS6_PT12_llPT13_lli.num_named_barrier, 0
	.set _ZN12_GLOBAL__N_127rocblas_gemm_batched_kernelIDF16_Li16ELi16ELi64ELi64ELi4ELi64ELi4ELi4ELi64ELc84ELc78EKPKDF16_S3_KPDF16_EEvlllT_PT11_llS8_llS6_PT12_llPT13_lli.private_seg_size, 0
	.set _ZN12_GLOBAL__N_127rocblas_gemm_batched_kernelIDF16_Li16ELi16ELi64ELi64ELi4ELi64ELi4ELi4ELi64ELc84ELc78EKPKDF16_S3_KPDF16_EEvlllT_PT11_llS8_llS6_PT12_llPT13_lli.uses_vcc, 1
	.set _ZN12_GLOBAL__N_127rocblas_gemm_batched_kernelIDF16_Li16ELi16ELi64ELi64ELi4ELi64ELi4ELi4ELi64ELc84ELc78EKPKDF16_S3_KPDF16_EEvlllT_PT11_llS8_llS6_PT12_llPT13_lli.uses_flat_scratch, 0
	.set _ZN12_GLOBAL__N_127rocblas_gemm_batched_kernelIDF16_Li16ELi16ELi64ELi64ELi4ELi64ELi4ELi4ELi64ELc84ELc78EKPKDF16_S3_KPDF16_EEvlllT_PT11_llS8_llS6_PT12_llPT13_lli.has_dyn_sized_stack, 0
	.set _ZN12_GLOBAL__N_127rocblas_gemm_batched_kernelIDF16_Li16ELi16ELi64ELi64ELi4ELi64ELi4ELi4ELi64ELc84ELc78EKPKDF16_S3_KPDF16_EEvlllT_PT11_llS8_llS6_PT12_llPT13_lli.has_recursion, 0
	.set _ZN12_GLOBAL__N_127rocblas_gemm_batched_kernelIDF16_Li16ELi16ELi64ELi64ELi4ELi64ELi4ELi4ELi64ELc84ELc78EKPKDF16_S3_KPDF16_EEvlllT_PT11_llS8_llS6_PT12_llPT13_lli.has_indirect_call, 0
	.section	.AMDGPU.csdata,"",@progbits
; Kernel info:
; codeLenInByte = 2228
; TotalNumSgprs: 46
; NumVgprs: 46
; NumAgprs: 0
; TotalNumVgprs: 46
; ScratchSize: 0
; MemoryBound: 0
; FloatMode: 240
; IeeeMode: 1
; LDSByteSize: 1024 bytes/workgroup (compile time only)
; SGPRBlocks: 5
; VGPRBlocks: 5
; NumSGPRsForWavesPerEU: 46
; NumVGPRsForWavesPerEU: 46
; AccumOffset: 48
; Occupancy: 8
; WaveLimiterHint : 1
; COMPUTE_PGM_RSRC2:SCRATCH_EN: 0
; COMPUTE_PGM_RSRC2:USER_SGPR: 2
; COMPUTE_PGM_RSRC2:TRAP_HANDLER: 0
; COMPUTE_PGM_RSRC2:TGID_X_EN: 1
; COMPUTE_PGM_RSRC2:TGID_Y_EN: 1
; COMPUTE_PGM_RSRC2:TGID_Z_EN: 1
; COMPUTE_PGM_RSRC2:TIDIG_COMP_CNT: 1
; COMPUTE_PGM_RSRC3_GFX90A:ACCUM_OFFSET: 11
; COMPUTE_PGM_RSRC3_GFX90A:TG_SPLIT: 0
	.section	.text._ZN12_GLOBAL__N_127rocblas_gemm_batched_kernelIDF16_Li16ELi16ELi64ELi64ELi4ELi64ELi4ELi4ELi64ELc78ELc84EKPKDF16_S3_KPDF16_EEvlllT_PT11_llS8_llS6_PT12_llPT13_lli,"axG",@progbits,_ZN12_GLOBAL__N_127rocblas_gemm_batched_kernelIDF16_Li16ELi16ELi64ELi64ELi4ELi64ELi4ELi4ELi64ELc78ELc84EKPKDF16_S3_KPDF16_EEvlllT_PT11_llS8_llS6_PT12_llPT13_lli,comdat
	.globl	_ZN12_GLOBAL__N_127rocblas_gemm_batched_kernelIDF16_Li16ELi16ELi64ELi64ELi4ELi64ELi4ELi4ELi64ELc78ELc84EKPKDF16_S3_KPDF16_EEvlllT_PT11_llS8_llS6_PT12_llPT13_lli ; -- Begin function _ZN12_GLOBAL__N_127rocblas_gemm_batched_kernelIDF16_Li16ELi16ELi64ELi64ELi4ELi64ELi4ELi4ELi64ELc78ELc84EKPKDF16_S3_KPDF16_EEvlllT_PT11_llS8_llS6_PT12_llPT13_lli
	.p2align	8
	.type	_ZN12_GLOBAL__N_127rocblas_gemm_batched_kernelIDF16_Li16ELi16ELi64ELi64ELi4ELi64ELi4ELi4ELi64ELc78ELc84EKPKDF16_S3_KPDF16_EEvlllT_PT11_llS8_llS6_PT12_llPT13_lli,@function
_ZN12_GLOBAL__N_127rocblas_gemm_batched_kernelIDF16_Li16ELi16ELi64ELi64ELi4ELi64ELi4ELi4ELi64ELc78ELc84EKPKDF16_S3_KPDF16_EEvlllT_PT11_llS8_llS6_PT12_llPT13_lli: ; @_ZN12_GLOBAL__N_127rocblas_gemm_batched_kernelIDF16_Li16ELi16ELi64ELi64ELi4ELi64ELi4ELi4ELi64ELc78ELc84EKPKDF16_S3_KPDF16_EEvlllT_PT11_llS8_llS6_PT12_llPT13_lli
; %bb.0:
	s_load_dwordx2 s[30:31], s[0:1], 0x10
	s_load_dwordx4 s[24:27], s[0:1], 0x78
	s_load_dwordx8 s[8:15], s[0:1], 0x58
	s_mov_b32 s5, 0
	s_lshl_b64 s[34:35], s[4:5], 3
	s_mov_b32 s6, s3
	v_mov_b32_e32 v3, 0
	s_waitcnt lgkmcnt(0)
	s_add_u32 s4, s8, s34
	s_addc_u32 s5, s9, s35
	s_load_dwordx2 s[8:9], s[4:5], 0x0
	s_add_u32 s4, s14, s34
	s_addc_u32 s5, s15, s35
	s_load_dwordx2 s[14:15], s[4:5], 0x0
	s_ashr_i32 s3, s2, 31
	s_ashr_i32 s7, s6, 31
	v_cmp_lt_i64_e64 s[4:5], s[30:31], 1
	v_bfe_u32 v2, v0, 10, 10
	v_and_b32_e32 v0, 0x3ff, v0
	v_mov_b32_e32 v1, v3
	s_lshl_b64 s[2:3], s[2:3], 6
	s_lshl_b64 s[28:29], s[6:7], 6
	s_and_b64 vcc, exec, s[4:5]
	s_cbranch_vccnz .LBB149_3
; %bb.1:
	s_load_dwordx8 s[16:23], s[0:1], 0x20
	s_load_dwordx4 s[4:7], s[0:1], 0x40
	v_lshl_add_u32 v8, v2, 4, v0
	v_and_b32_e32 v6, 63, v8
	v_lshrrev_b32_e32 v4, 2, v8
	s_waitcnt lgkmcnt(0)
	s_add_u32 s16, s16, s34
	s_addc_u32 s17, s17, s35
	s_add_u32 s22, s22, s34
	s_addc_u32 s23, s23, s35
	v_and_b32_e32 v9, 3, v0
	v_lshrrev_b32_e32 v11, 6, v8
	v_lshlrev_b32_e32 v8, 1, v6
	s_load_dwordx2 s[22:23], s[22:23], 0x0
	v_lshl_or_b32 v18, v11, 7, v8
	v_lshlrev_b32_e32 v8, 1, v9
	v_mov_b32_e32 v5, v3
	v_lshl_or_b32 v8, v4, 3, v8
	v_add_u32_e32 v19, 0x200, v8
	v_mov_b32_e32 v8, 0x200
	v_mad_u64_u32 v[4:5], s[34:35], s4, v9, v[4:5]
	v_lshl_add_u32 v21, v2, 3, v8
	v_mov_b32_e32 v8, v5
	s_lshl_b64 s[6:7], s[6:7], 1
	v_mad_u64_u32 v[8:9], s[34:35], s5, v9, v[8:9]
	s_load_dwordx2 s[16:17], s[16:17], 0x0
	v_mov_b32_e32 v5, v8
	s_waitcnt lgkmcnt(0)
	s_add_u32 s6, s22, s6
	v_lshl_add_u64 v[4:5], v[4:5], 0, s[28:29]
	s_addc_u32 s7, s23, s7
	v_mov_b64_e32 v[8:9], s[2:3]
	v_lshl_add_u64 v[4:5], v[4:5], 1, s[6:7]
	s_lshl_b64 s[6:7], s[20:21], 1
	v_mad_u64_u32 v[8:9], s[20:21], s18, v11, v[8:9]
	v_mov_b32_e32 v10, v9
	s_lshl_b64 s[4:5], s[4:5], 3
	v_mad_u64_u32 v[10:11], s[20:21], s19, v11, v[10:11]
	v_mov_b32_e32 v7, v3
	v_mov_b32_e32 v9, v10
	s_add_u32 s6, s16, s6
	v_lshl_add_u64 v[6:7], v[8:9], 0, v[6:7]
	s_addc_u32 s7, s17, s7
	v_lshlrev_b32_e32 v20, 1, v0
	v_lshl_add_u64 v[6:7], v[6:7], 1, s[6:7]
	s_lshl_b64 s[6:7], s[18:19], 3
	s_mov_b64 s[16:17], 0
	s_mov_b32 s18, 0x5040100
	v_mov_b64_e32 v[8:9], s[30:31]
	v_mov_b32_e32 v10, v3
	v_mov_b32_e32 v11, v3
	;; [unrolled: 1-line block ×8, first 2 shown]
.LBB149_2:                              ; =>This Inner Loop Header: Depth=1
	flat_load_ushort v22, v[6:7]
	s_add_u32 s16, s16, 4
	s_addc_u32 s17, s17, 0
	v_cmp_lt_i64_e32 vcc, s[16:17], v[8:9]
	v_lshl_add_u64 v[6:7], v[6:7], 0, s[6:7]
	s_and_b64 vcc, exec, vcc
	s_waitcnt vmcnt(0) lgkmcnt(0)
	ds_write_b16 v18, v22
	flat_load_ushort v22, v[4:5]
	v_lshl_add_u64 v[4:5], v[4:5], 0, s[4:5]
	s_waitcnt vmcnt(0) lgkmcnt(0)
	ds_write_b16 v19, v22
	s_waitcnt lgkmcnt(0)
	s_barrier
	ds_read2_b64 v[22:25], v21 offset1:16
	ds_read2_b64 v[26:29], v21 offset0:32 offset1:48
	ds_read_u16 v30, v20
	ds_read_u16 v31, v20 offset:32
	ds_read_u16 v32, v20 offset:64
	;; [unrolled: 1-line block ×15, first 2 shown]
	s_waitcnt lgkmcnt(14)
	v_perm_b32 v30, v30, v31, s18
	s_waitcnt lgkmcnt(12)
	v_perm_b32 v32, v32, v33, s18
	;; [unrolled: 2-line block ×4, first 2 shown]
	v_pk_fma_f16 v17, v30, v22, v17 op_sel_hi:[1,0,1]
	v_pk_fma_f16 v16, v32, v22, v16 op_sel_hi:[1,0,1]
	;; [unrolled: 1-line block ×8, first 2 shown]
	s_waitcnt lgkmcnt(6)
	v_perm_b32 v34, v38, v39, s18
	s_waitcnt lgkmcnt(4)
	v_perm_b32 v36, v40, v41, s18
	v_pk_fma_f16 v17, v31, v22, v17 op_sel:[0,1,0]
	v_pk_fma_f16 v16, v33, v22, v16 op_sel:[0,1,0]
	;; [unrolled: 1-line block ×8, first 2 shown]
	s_waitcnt lgkmcnt(2)
	v_perm_b32 v35, v42, v43, s18
	s_waitcnt lgkmcnt(0)
	v_perm_b32 v37, v44, v45, s18
	v_pk_fma_f16 v17, v34, v23, v17 op_sel_hi:[1,0,1]
	v_pk_fma_f16 v16, v36, v23, v16 op_sel_hi:[1,0,1]
	v_pk_fma_f16 v15, v34, v25, v15 op_sel_hi:[1,0,1]
	v_pk_fma_f16 v14, v36, v25, v14 op_sel_hi:[1,0,1]
	v_pk_fma_f16 v13, v34, v27, v13 op_sel_hi:[1,0,1]
	v_pk_fma_f16 v12, v36, v27, v12 op_sel_hi:[1,0,1]
	v_pk_fma_f16 v11, v34, v29, v11 op_sel_hi:[1,0,1]
	v_pk_fma_f16 v10, v36, v29, v10 op_sel_hi:[1,0,1]
	v_pk_fma_f16 v17, v35, v23, v17 op_sel:[0,1,0]
	v_pk_fma_f16 v16, v37, v23, v16 op_sel:[0,1,0]
	;; [unrolled: 1-line block ×8, first 2 shown]
	s_barrier
	s_cbranch_vccnz .LBB149_2
	s_branch .LBB149_4
.LBB149_3:
	v_mov_b32_e32 v17, v3
	v_mov_b32_e32 v16, v3
	v_mov_b32_e32 v15, v3
	v_mov_b32_e32 v14, v3
	v_mov_b32_e32 v13, v3
	v_mov_b32_e32 v12, v3
	v_mov_b32_e32 v11, v3
	v_mov_b32_e32 v10, v3
.LBB149_4:
	s_load_dword s4, s[0:1], 0x18
	s_load_dword s5, s[0:1], 0x50
	s_lshl_b64 s[0:1], s[26:27], 1
	s_waitcnt lgkmcnt(0)
	s_add_u32 s0, s14, s0
	v_lshl_add_u64 v[2:3], s[28:29], 0, v[2:3]
	v_lshl_add_u64 v[0:1], s[2:3], 0, v[0:1]
	v_cmp_neq_f16_e64 s[6:7], s5, 0
	s_addc_u32 s1, s15, s1
	s_and_b64 vcc, exec, s[6:7]
	v_mul_lo_u32 v20, v3, s24
	v_mul_lo_u32 v21, v2, s25
	v_lshrrev_b32_e32 v19, 16, v17
	v_lshlrev_b64 v[0:1], 1, v[0:1]
	v_lshrrev_b32_e32 v18, 16, v16
	v_lshrrev_b32_e32 v9, 16, v15
	;; [unrolled: 1-line block ×7, first 2 shown]
	s_cbranch_vccnz .LBB149_8
; %bb.5:
	v_mad_u64_u32 v[22:23], s[2:3], v2, s24, 0
	v_add3_u32 v23, v23, v21, v20
	v_lshl_add_u64 v[22:23], v[22:23], 1, s[0:1]
	v_mul_f16_sdwa v26, s4, v17 dst_sel:DWORD dst_unused:UNUSED_PAD src0_sel:DWORD src1_sel:WORD_1
	v_lshl_add_u64 v[24:25], v[22:23], 0, v[0:1]
	flat_store_short v[24:25], v26
	v_mul_f16_e32 v26, s4, v17
	flat_store_short v[24:25], v26 offset:32
	v_mul_f16_sdwa v26, s4, v16 dst_sel:DWORD dst_unused:UNUSED_PAD src0_sel:DWORD src1_sel:WORD_1
	s_lshl_b64 s[2:3], s[24:25], 5
	flat_store_short v[24:25], v26 offset:64
	v_mul_f16_e32 v26, s4, v16
	v_lshl_add_u64 v[22:23], v[22:23], 0, s[2:3]
	flat_store_short v[24:25], v26 offset:96
	v_mul_f16_sdwa v26, s4, v15 dst_sel:DWORD dst_unused:UNUSED_PAD src0_sel:DWORD src1_sel:WORD_1
	v_lshl_add_u64 v[24:25], v[22:23], 0, v[0:1]
	flat_store_short v[24:25], v26
	v_mul_f16_e32 v26, s4, v15
	flat_store_short v[24:25], v26 offset:32
	v_mul_f16_sdwa v26, s4, v14 dst_sel:DWORD dst_unused:UNUSED_PAD src0_sel:DWORD src1_sel:WORD_1
	flat_store_short v[24:25], v26 offset:64
	v_mul_f16_e32 v26, s4, v14
	v_lshl_add_u64 v[22:23], v[22:23], 0, s[2:3]
	flat_store_short v[24:25], v26 offset:96
	v_mul_f16_sdwa v26, s4, v13 dst_sel:DWORD dst_unused:UNUSED_PAD src0_sel:DWORD src1_sel:WORD_1
	v_lshl_add_u64 v[24:25], v[22:23], 0, v[0:1]
	flat_store_short v[24:25], v26
	v_mul_f16_e32 v26, s4, v13
	flat_store_short v[24:25], v26 offset:32
	v_mul_f16_sdwa v26, s4, v12 dst_sel:DWORD dst_unused:UNUSED_PAD src0_sel:DWORD src1_sel:WORD_1
	;; [unrolled: 10-line block ×3, first 2 shown]
	flat_store_short v[22:23], v24 offset:64
	v_mul_f16_e32 v24, s4, v10
	flat_store_short v[22:23], v24 offset:96
	s_cbranch_execnz .LBB149_7
.LBB149_6:
	s_lshl_b64 s[2:3], s[12:13], 1
	s_add_u32 s2, s8, s2
	v_mul_lo_u32 v3, v3, s10
	v_mul_lo_u32 v24, v2, s11
	v_mad_u64_u32 v[22:23], s[6:7], v2, s10, 0
	s_addc_u32 s3, s9, s3
	v_add3_u32 v23, v23, v24, v3
	v_lshl_add_u64 v[22:23], v[22:23], 1, s[2:3]
	v_lshl_add_u64 v[24:25], v[22:23], 0, v[0:1]
	flat_load_ushort v26, v[24:25]
	v_mad_u64_u32 v[2:3], s[2:3], v2, s24, 0
	v_add3_u32 v3, v3, v21, v20
	v_lshl_add_u64 v[2:3], v[2:3], 1, s[0:1]
	v_lshl_add_u64 v[20:21], v[2:3], 0, v[0:1]
	s_lshl_b64 s[0:1], s[10:11], 5
	s_lshl_b64 s[2:3], s[24:25], 5
	v_lshl_add_u64 v[2:3], v[2:3], 0, s[2:3]
	s_waitcnt vmcnt(0) lgkmcnt(0)
	v_mul_f16_e32 v26, s5, v26
	v_fma_f16 v19, s4, v19, v26
	flat_store_short v[20:21], v19
	flat_load_ushort v19, v[24:25] offset:32
	s_waitcnt vmcnt(0) lgkmcnt(0)
	v_mul_f16_e32 v19, s5, v19
	v_fma_f16 v17, s4, v17, v19
	flat_store_short v[20:21], v17 offset:32
	flat_load_ushort v17, v[24:25] offset:64
	s_waitcnt vmcnt(0) lgkmcnt(0)
	v_mul_f16_e32 v17, s5, v17
	v_fma_f16 v17, s4, v18, v17
	flat_store_short v[20:21], v17 offset:64
	flat_load_ushort v17, v[24:25] offset:96
	v_lshl_add_u64 v[18:19], v[22:23], 0, s[0:1]
	v_lshl_add_u64 v[22:23], v[18:19], 0, v[0:1]
	s_waitcnt vmcnt(0) lgkmcnt(0)
	v_mul_f16_e32 v17, s5, v17
	v_fma_f16 v16, s4, v16, v17
	flat_store_short v[20:21], v16 offset:96
	flat_load_ushort v20, v[22:23]
	v_lshl_add_u64 v[16:17], v[2:3], 0, v[0:1]
	v_lshl_add_u64 v[2:3], v[2:3], 0, s[2:3]
	s_waitcnt vmcnt(0) lgkmcnt(0)
	v_mul_f16_e32 v20, s5, v20
	v_fma_f16 v9, s4, v9, v20
	flat_store_short v[16:17], v9
	flat_load_ushort v9, v[22:23] offset:32
	s_waitcnt vmcnt(0) lgkmcnt(0)
	v_mul_f16_e32 v9, s5, v9
	v_fma_f16 v9, s4, v15, v9
	flat_store_short v[16:17], v9 offset:32
	flat_load_ushort v9, v[22:23] offset:64
	s_waitcnt vmcnt(0) lgkmcnt(0)
	v_mul_f16_e32 v9, s5, v9
	v_fma_f16 v8, s4, v8, v9
	flat_store_short v[16:17], v8 offset:64
	flat_load_ushort v15, v[22:23] offset:96
	v_lshl_add_u64 v[8:9], v[18:19], 0, s[0:1]
	v_lshl_add_u64 v[18:19], v[8:9], 0, v[0:1]
	s_waitcnt vmcnt(0) lgkmcnt(0)
	v_mul_f16_e32 v15, s5, v15
	v_fma_f16 v14, s4, v14, v15
	flat_store_short v[16:17], v14 offset:96
	flat_load_ushort v16, v[18:19]
	v_lshl_add_u64 v[14:15], v[2:3], 0, v[0:1]
	v_lshl_add_u64 v[2:3], v[2:3], 0, s[2:3]
	s_waitcnt vmcnt(0) lgkmcnt(0)
	v_mul_f16_e32 v16, s5, v16
	v_fma_f16 v7, s4, v7, v16
	flat_store_short v[14:15], v7
	flat_load_ushort v7, v[18:19] offset:32
	s_waitcnt vmcnt(0) lgkmcnt(0)
	v_mul_f16_e32 v7, s5, v7
	v_fma_f16 v7, s4, v13, v7
	flat_store_short v[14:15], v7 offset:32
	flat_load_ushort v7, v[18:19] offset:64
	s_waitcnt vmcnt(0) lgkmcnt(0)
	v_mul_f16_e32 v7, s5, v7
	v_fma_f16 v6, s4, v6, v7
	flat_store_short v[14:15], v6 offset:64
	flat_load_ushort v13, v[18:19] offset:96
	v_lshl_add_u64 v[6:7], v[8:9], 0, s[0:1]
	v_lshl_add_u64 v[6:7], v[6:7], 0, v[0:1]
	;; [unrolled: 1-line block ×3, first 2 shown]
	s_waitcnt vmcnt(0) lgkmcnt(0)
	v_mul_f16_e32 v8, s5, v13
	v_fma_f16 v8, s4, v12, v8
	flat_store_short v[14:15], v8 offset:96
	flat_load_ushort v8, v[6:7]
	s_waitcnt vmcnt(0) lgkmcnt(0)
	v_mul_f16_e32 v8, s5, v8
	v_fma_f16 v5, s4, v5, v8
	flat_store_short v[0:1], v5
	flat_load_ushort v2, v[6:7] offset:32
	s_waitcnt vmcnt(0) lgkmcnt(0)
	v_mul_f16_e32 v2, s5, v2
	v_fma_f16 v2, s4, v11, v2
	flat_store_short v[0:1], v2 offset:32
	flat_load_ushort v2, v[6:7] offset:64
	s_waitcnt vmcnt(0) lgkmcnt(0)
	v_mul_f16_e32 v2, s5, v2
	v_fma_f16 v2, s4, v4, v2
	flat_store_short v[0:1], v2 offset:64
	;; [unrolled: 5-line block ×3, first 2 shown]
.LBB149_7:
	s_endpgm
.LBB149_8:
	s_branch .LBB149_6
	.section	.rodata,"a",@progbits
	.p2align	6, 0x0
	.amdhsa_kernel _ZN12_GLOBAL__N_127rocblas_gemm_batched_kernelIDF16_Li16ELi16ELi64ELi64ELi4ELi64ELi4ELi4ELi64ELc78ELc84EKPKDF16_S3_KPDF16_EEvlllT_PT11_llS8_llS6_PT12_llPT13_lli
		.amdhsa_group_segment_fixed_size 1024
		.amdhsa_private_segment_fixed_size 0
		.amdhsa_kernarg_size 140
		.amdhsa_user_sgpr_count 2
		.amdhsa_user_sgpr_dispatch_ptr 0
		.amdhsa_user_sgpr_queue_ptr 0
		.amdhsa_user_sgpr_kernarg_segment_ptr 1
		.amdhsa_user_sgpr_dispatch_id 0
		.amdhsa_user_sgpr_kernarg_preload_length 0
		.amdhsa_user_sgpr_kernarg_preload_offset 0
		.amdhsa_user_sgpr_private_segment_size 0
		.amdhsa_uses_dynamic_stack 0
		.amdhsa_enable_private_segment 0
		.amdhsa_system_sgpr_workgroup_id_x 1
		.amdhsa_system_sgpr_workgroup_id_y 1
		.amdhsa_system_sgpr_workgroup_id_z 1
		.amdhsa_system_sgpr_workgroup_info 0
		.amdhsa_system_vgpr_workitem_id 1
		.amdhsa_next_free_vgpr 46
		.amdhsa_next_free_sgpr 36
		.amdhsa_accum_offset 48
		.amdhsa_reserve_vcc 1
		.amdhsa_float_round_mode_32 0
		.amdhsa_float_round_mode_16_64 0
		.amdhsa_float_denorm_mode_32 3
		.amdhsa_float_denorm_mode_16_64 3
		.amdhsa_dx10_clamp 1
		.amdhsa_ieee_mode 1
		.amdhsa_fp16_overflow 0
		.amdhsa_tg_split 0
		.amdhsa_exception_fp_ieee_invalid_op 0
		.amdhsa_exception_fp_denorm_src 0
		.amdhsa_exception_fp_ieee_div_zero 0
		.amdhsa_exception_fp_ieee_overflow 0
		.amdhsa_exception_fp_ieee_underflow 0
		.amdhsa_exception_fp_ieee_inexact 0
		.amdhsa_exception_int_div_zero 0
	.end_amdhsa_kernel
	.section	.text._ZN12_GLOBAL__N_127rocblas_gemm_batched_kernelIDF16_Li16ELi16ELi64ELi64ELi4ELi64ELi4ELi4ELi64ELc78ELc84EKPKDF16_S3_KPDF16_EEvlllT_PT11_llS8_llS6_PT12_llPT13_lli,"axG",@progbits,_ZN12_GLOBAL__N_127rocblas_gemm_batched_kernelIDF16_Li16ELi16ELi64ELi64ELi4ELi64ELi4ELi4ELi64ELc78ELc84EKPKDF16_S3_KPDF16_EEvlllT_PT11_llS8_llS6_PT12_llPT13_lli,comdat
.Lfunc_end149:
	.size	_ZN12_GLOBAL__N_127rocblas_gemm_batched_kernelIDF16_Li16ELi16ELi64ELi64ELi4ELi64ELi4ELi4ELi64ELc78ELc84EKPKDF16_S3_KPDF16_EEvlllT_PT11_llS8_llS6_PT12_llPT13_lli, .Lfunc_end149-_ZN12_GLOBAL__N_127rocblas_gemm_batched_kernelIDF16_Li16ELi16ELi64ELi64ELi4ELi64ELi4ELi4ELi64ELc78ELc84EKPKDF16_S3_KPDF16_EEvlllT_PT11_llS8_llS6_PT12_llPT13_lli
                                        ; -- End function
	.set _ZN12_GLOBAL__N_127rocblas_gemm_batched_kernelIDF16_Li16ELi16ELi64ELi64ELi4ELi64ELi4ELi4ELi64ELc78ELc84EKPKDF16_S3_KPDF16_EEvlllT_PT11_llS8_llS6_PT12_llPT13_lli.num_vgpr, 46
	.set _ZN12_GLOBAL__N_127rocblas_gemm_batched_kernelIDF16_Li16ELi16ELi64ELi64ELi4ELi64ELi4ELi4ELi64ELc78ELc84EKPKDF16_S3_KPDF16_EEvlllT_PT11_llS8_llS6_PT12_llPT13_lli.num_agpr, 0
	.set _ZN12_GLOBAL__N_127rocblas_gemm_batched_kernelIDF16_Li16ELi16ELi64ELi64ELi4ELi64ELi4ELi4ELi64ELc78ELc84EKPKDF16_S3_KPDF16_EEvlllT_PT11_llS8_llS6_PT12_llPT13_lli.numbered_sgpr, 36
	.set _ZN12_GLOBAL__N_127rocblas_gemm_batched_kernelIDF16_Li16ELi16ELi64ELi64ELi4ELi64ELi4ELi4ELi64ELc78ELc84EKPKDF16_S3_KPDF16_EEvlllT_PT11_llS8_llS6_PT12_llPT13_lli.num_named_barrier, 0
	.set _ZN12_GLOBAL__N_127rocblas_gemm_batched_kernelIDF16_Li16ELi16ELi64ELi64ELi4ELi64ELi4ELi4ELi64ELc78ELc84EKPKDF16_S3_KPDF16_EEvlllT_PT11_llS8_llS6_PT12_llPT13_lli.private_seg_size, 0
	.set _ZN12_GLOBAL__N_127rocblas_gemm_batched_kernelIDF16_Li16ELi16ELi64ELi64ELi4ELi64ELi4ELi4ELi64ELc78ELc84EKPKDF16_S3_KPDF16_EEvlllT_PT11_llS8_llS6_PT12_llPT13_lli.uses_vcc, 1
	.set _ZN12_GLOBAL__N_127rocblas_gemm_batched_kernelIDF16_Li16ELi16ELi64ELi64ELi4ELi64ELi4ELi4ELi64ELc78ELc84EKPKDF16_S3_KPDF16_EEvlllT_PT11_llS8_llS6_PT12_llPT13_lli.uses_flat_scratch, 0
	.set _ZN12_GLOBAL__N_127rocblas_gemm_batched_kernelIDF16_Li16ELi16ELi64ELi64ELi4ELi64ELi4ELi4ELi64ELc78ELc84EKPKDF16_S3_KPDF16_EEvlllT_PT11_llS8_llS6_PT12_llPT13_lli.has_dyn_sized_stack, 0
	.set _ZN12_GLOBAL__N_127rocblas_gemm_batched_kernelIDF16_Li16ELi16ELi64ELi64ELi4ELi64ELi4ELi4ELi64ELc78ELc84EKPKDF16_S3_KPDF16_EEvlllT_PT11_llS8_llS6_PT12_llPT13_lli.has_recursion, 0
	.set _ZN12_GLOBAL__N_127rocblas_gemm_batched_kernelIDF16_Li16ELi16ELi64ELi64ELi4ELi64ELi4ELi4ELi64ELc78ELc84EKPKDF16_S3_KPDF16_EEvlllT_PT11_llS8_llS6_PT12_llPT13_lli.has_indirect_call, 0
	.section	.AMDGPU.csdata,"",@progbits
; Kernel info:
; codeLenInByte = 2200
; TotalNumSgprs: 42
; NumVgprs: 46
; NumAgprs: 0
; TotalNumVgprs: 46
; ScratchSize: 0
; MemoryBound: 0
; FloatMode: 240
; IeeeMode: 1
; LDSByteSize: 1024 bytes/workgroup (compile time only)
; SGPRBlocks: 5
; VGPRBlocks: 5
; NumSGPRsForWavesPerEU: 42
; NumVGPRsForWavesPerEU: 46
; AccumOffset: 48
; Occupancy: 8
; WaveLimiterHint : 1
; COMPUTE_PGM_RSRC2:SCRATCH_EN: 0
; COMPUTE_PGM_RSRC2:USER_SGPR: 2
; COMPUTE_PGM_RSRC2:TRAP_HANDLER: 0
; COMPUTE_PGM_RSRC2:TGID_X_EN: 1
; COMPUTE_PGM_RSRC2:TGID_Y_EN: 1
; COMPUTE_PGM_RSRC2:TGID_Z_EN: 1
; COMPUTE_PGM_RSRC2:TIDIG_COMP_CNT: 1
; COMPUTE_PGM_RSRC3_GFX90A:ACCUM_OFFSET: 11
; COMPUTE_PGM_RSRC3_GFX90A:TG_SPLIT: 0
	.section	.text._ZN12_GLOBAL__N_127rocblas_gemm_batched_kernelIDF16_Li16ELi16ELi64ELi64ELi4ELi64ELi4ELi4ELi64ELc84ELc84EKPKDF16_S3_KPDF16_EEvlllT_PT11_llS8_llS6_PT12_llPT13_lli,"axG",@progbits,_ZN12_GLOBAL__N_127rocblas_gemm_batched_kernelIDF16_Li16ELi16ELi64ELi64ELi4ELi64ELi4ELi4ELi64ELc84ELc84EKPKDF16_S3_KPDF16_EEvlllT_PT11_llS8_llS6_PT12_llPT13_lli,comdat
	.globl	_ZN12_GLOBAL__N_127rocblas_gemm_batched_kernelIDF16_Li16ELi16ELi64ELi64ELi4ELi64ELi4ELi4ELi64ELc84ELc84EKPKDF16_S3_KPDF16_EEvlllT_PT11_llS8_llS6_PT12_llPT13_lli ; -- Begin function _ZN12_GLOBAL__N_127rocblas_gemm_batched_kernelIDF16_Li16ELi16ELi64ELi64ELi4ELi64ELi4ELi4ELi64ELc84ELc84EKPKDF16_S3_KPDF16_EEvlllT_PT11_llS8_llS6_PT12_llPT13_lli
	.p2align	8
	.type	_ZN12_GLOBAL__N_127rocblas_gemm_batched_kernelIDF16_Li16ELi16ELi64ELi64ELi4ELi64ELi4ELi4ELi64ELc84ELc84EKPKDF16_S3_KPDF16_EEvlllT_PT11_llS8_llS6_PT12_llPT13_lli,@function
_ZN12_GLOBAL__N_127rocblas_gemm_batched_kernelIDF16_Li16ELi16ELi64ELi64ELi4ELi64ELi4ELi4ELi64ELc84ELc84EKPKDF16_S3_KPDF16_EEvlllT_PT11_llS8_llS6_PT12_llPT13_lli: ; @_ZN12_GLOBAL__N_127rocblas_gemm_batched_kernelIDF16_Li16ELi16ELi64ELi64ELi4ELi64ELi4ELi4ELi64ELc84ELc84EKPKDF16_S3_KPDF16_EEvlllT_PT11_llS8_llS6_PT12_llPT13_lli
; %bb.0:
	s_load_dwordx2 s[30:31], s[0:1], 0x10
	s_load_dwordx4 s[24:27], s[0:1], 0x78
	s_load_dwordx8 s[8:15], s[0:1], 0x58
	s_mov_b32 s5, 0
	s_lshl_b64 s[34:35], s[4:5], 3
	s_mov_b32 s6, s3
	v_mov_b32_e32 v3, 0
	s_waitcnt lgkmcnt(0)
	s_add_u32 s4, s8, s34
	s_addc_u32 s5, s9, s35
	s_load_dwordx2 s[8:9], s[4:5], 0x0
	s_add_u32 s4, s14, s34
	s_addc_u32 s5, s15, s35
	s_load_dwordx2 s[14:15], s[4:5], 0x0
	s_ashr_i32 s3, s2, 31
	s_ashr_i32 s7, s6, 31
	v_cmp_lt_i64_e64 s[4:5], s[30:31], 1
	v_bfe_u32 v2, v0, 10, 10
	v_and_b32_e32 v0, 0x3ff, v0
	v_mov_b32_e32 v1, v3
	s_lshl_b64 s[2:3], s[2:3], 6
	s_lshl_b64 s[28:29], s[6:7], 6
	s_and_b64 vcc, exec, s[4:5]
	s_cbranch_vccnz .LBB150_3
; %bb.1:
	s_load_dwordx8 s[16:23], s[0:1], 0x20
	s_load_dwordx4 s[4:7], s[0:1], 0x40
	v_lshl_add_u32 v8, v2, 4, v0
	v_and_b32_e32 v6, 63, v8
	v_lshrrev_b32_e32 v4, 2, v8
	s_waitcnt lgkmcnt(0)
	s_add_u32 s16, s16, s34
	s_addc_u32 s17, s17, s35
	s_add_u32 s22, s22, s34
	s_addc_u32 s23, s23, s35
	v_and_b32_e32 v9, 3, v0
	v_lshrrev_b32_e32 v10, 6, v8
	v_lshlrev_b32_e32 v8, 1, v6
	s_load_dwordx2 s[22:23], s[22:23], 0x0
	v_lshl_or_b32 v18, v10, 7, v8
	v_lshlrev_b32_e32 v8, 1, v9
	v_mov_b32_e32 v5, v3
	v_lshl_or_b32 v8, v4, 3, v8
	v_add_u32_e32 v19, 0x200, v8
	v_mov_b32_e32 v8, 0x200
	v_mad_u64_u32 v[4:5], s[34:35], s4, v9, v[4:5]
	v_lshl_add_u32 v21, v2, 3, v8
	v_mov_b32_e32 v8, v5
	s_lshl_b64 s[6:7], s[6:7], 1
	v_mad_u64_u32 v[8:9], s[34:35], s5, v9, v[8:9]
	v_mov_b32_e32 v7, v3
	v_mov_b32_e32 v5, v8
	s_waitcnt lgkmcnt(0)
	s_add_u32 s6, s22, s6
	s_load_dwordx2 s[16:17], s[16:17], 0x0
	v_lshl_add_u64 v[4:5], v[4:5], 0, s[28:29]
	s_addc_u32 s7, s23, s7
	v_lshl_add_u64 v[6:7], s[2:3], 0, v[6:7]
	v_lshl_add_u64 v[4:5], v[4:5], 1, s[6:7]
	v_mul_lo_u32 v8, s19, v6
	v_mul_lo_u32 v9, s18, v7
	v_mad_u64_u32 v[6:7], s[6:7], s18, v6, 0
	v_add3_u32 v7, v7, v9, v8
	s_lshl_b64 s[6:7], s[20:21], 1
	v_lshl_add_u64 v[6:7], v[6:7], 1, s[6:7]
	v_lshlrev_b32_e32 v8, 1, v10
	v_mov_b32_e32 v9, v3
	v_lshl_add_u64 v[6:7], v[6:7], 0, v[8:9]
	v_lshlrev_b32_e32 v20, 1, v0
	s_lshl_b64 s[4:5], s[4:5], 3
	s_waitcnt lgkmcnt(0)
	v_lshl_add_u64 v[6:7], s[16:17], 0, v[6:7]
	s_mov_b64 s[6:7], 0
	s_mov_b32 s16, 0x5040100
	v_mov_b64_e32 v[8:9], s[30:31]
	v_mov_b32_e32 v10, v3
	v_mov_b32_e32 v11, v3
	;; [unrolled: 1-line block ×8, first 2 shown]
.LBB150_2:                              ; =>This Inner Loop Header: Depth=1
	flat_load_ushort v22, v[6:7]
	s_add_u32 s6, s6, 4
	s_addc_u32 s7, s7, 0
	v_cmp_lt_i64_e32 vcc, s[6:7], v[8:9]
	v_lshl_add_u64 v[6:7], v[6:7], 0, 8
	s_and_b64 vcc, exec, vcc
	s_waitcnt vmcnt(0) lgkmcnt(0)
	ds_write_b16 v18, v22
	flat_load_ushort v22, v[4:5]
	v_lshl_add_u64 v[4:5], v[4:5], 0, s[4:5]
	s_waitcnt vmcnt(0) lgkmcnt(0)
	ds_write_b16 v19, v22
	s_waitcnt lgkmcnt(0)
	s_barrier
	ds_read2_b64 v[22:25], v21 offset1:16
	ds_read2_b64 v[26:29], v21 offset0:32 offset1:48
	ds_read_u16 v30, v20
	ds_read_u16 v31, v20 offset:32
	ds_read_u16 v32, v20 offset:64
	;; [unrolled: 1-line block ×15, first 2 shown]
	s_waitcnt lgkmcnt(14)
	v_perm_b32 v30, v30, v31, s16
	s_waitcnt lgkmcnt(12)
	v_perm_b32 v32, v32, v33, s16
	;; [unrolled: 2-line block ×4, first 2 shown]
	v_pk_fma_f16 v17, v30, v22, v17 op_sel_hi:[1,0,1]
	v_pk_fma_f16 v16, v32, v22, v16 op_sel_hi:[1,0,1]
	;; [unrolled: 1-line block ×8, first 2 shown]
	s_waitcnt lgkmcnt(6)
	v_perm_b32 v34, v38, v39, s16
	s_waitcnt lgkmcnt(4)
	v_perm_b32 v36, v40, v41, s16
	v_pk_fma_f16 v17, v31, v22, v17 op_sel:[0,1,0]
	v_pk_fma_f16 v16, v33, v22, v16 op_sel:[0,1,0]
	;; [unrolled: 1-line block ×8, first 2 shown]
	s_waitcnt lgkmcnt(2)
	v_perm_b32 v35, v42, v43, s16
	s_waitcnt lgkmcnt(0)
	v_perm_b32 v37, v44, v45, s16
	v_pk_fma_f16 v17, v34, v23, v17 op_sel_hi:[1,0,1]
	v_pk_fma_f16 v16, v36, v23, v16 op_sel_hi:[1,0,1]
	;; [unrolled: 1-line block ×8, first 2 shown]
	v_pk_fma_f16 v17, v35, v23, v17 op_sel:[0,1,0]
	v_pk_fma_f16 v16, v37, v23, v16 op_sel:[0,1,0]
	;; [unrolled: 1-line block ×8, first 2 shown]
	s_barrier
	s_cbranch_vccnz .LBB150_2
	s_branch .LBB150_4
.LBB150_3:
	v_mov_b32_e32 v17, v3
	v_mov_b32_e32 v16, v3
	;; [unrolled: 1-line block ×8, first 2 shown]
.LBB150_4:
	s_load_dword s4, s[0:1], 0x18
	s_load_dword s5, s[0:1], 0x50
	s_lshl_b64 s[0:1], s[26:27], 1
	s_waitcnt lgkmcnt(0)
	s_add_u32 s0, s14, s0
	v_lshl_add_u64 v[2:3], s[28:29], 0, v[2:3]
	v_lshl_add_u64 v[0:1], s[2:3], 0, v[0:1]
	v_cmp_neq_f16_e64 s[6:7], s5, 0
	s_addc_u32 s1, s15, s1
	s_and_b64 vcc, exec, s[6:7]
	v_mul_lo_u32 v20, v3, s24
	v_mul_lo_u32 v21, v2, s25
	v_lshrrev_b32_e32 v19, 16, v17
	v_lshlrev_b64 v[0:1], 1, v[0:1]
	v_lshrrev_b32_e32 v18, 16, v16
	v_lshrrev_b32_e32 v9, 16, v15
	;; [unrolled: 1-line block ×7, first 2 shown]
	s_cbranch_vccnz .LBB150_8
; %bb.5:
	v_mad_u64_u32 v[22:23], s[2:3], v2, s24, 0
	v_add3_u32 v23, v23, v21, v20
	v_lshl_add_u64 v[22:23], v[22:23], 1, s[0:1]
	v_mul_f16_sdwa v26, s4, v17 dst_sel:DWORD dst_unused:UNUSED_PAD src0_sel:DWORD src1_sel:WORD_1
	v_lshl_add_u64 v[24:25], v[22:23], 0, v[0:1]
	flat_store_short v[24:25], v26
	v_mul_f16_e32 v26, s4, v17
	flat_store_short v[24:25], v26 offset:32
	v_mul_f16_sdwa v26, s4, v16 dst_sel:DWORD dst_unused:UNUSED_PAD src0_sel:DWORD src1_sel:WORD_1
	s_lshl_b64 s[2:3], s[24:25], 5
	flat_store_short v[24:25], v26 offset:64
	v_mul_f16_e32 v26, s4, v16
	v_lshl_add_u64 v[22:23], v[22:23], 0, s[2:3]
	flat_store_short v[24:25], v26 offset:96
	v_mul_f16_sdwa v26, s4, v15 dst_sel:DWORD dst_unused:UNUSED_PAD src0_sel:DWORD src1_sel:WORD_1
	v_lshl_add_u64 v[24:25], v[22:23], 0, v[0:1]
	flat_store_short v[24:25], v26
	v_mul_f16_e32 v26, s4, v15
	flat_store_short v[24:25], v26 offset:32
	v_mul_f16_sdwa v26, s4, v14 dst_sel:DWORD dst_unused:UNUSED_PAD src0_sel:DWORD src1_sel:WORD_1
	flat_store_short v[24:25], v26 offset:64
	v_mul_f16_e32 v26, s4, v14
	v_lshl_add_u64 v[22:23], v[22:23], 0, s[2:3]
	flat_store_short v[24:25], v26 offset:96
	v_mul_f16_sdwa v26, s4, v13 dst_sel:DWORD dst_unused:UNUSED_PAD src0_sel:DWORD src1_sel:WORD_1
	v_lshl_add_u64 v[24:25], v[22:23], 0, v[0:1]
	flat_store_short v[24:25], v26
	v_mul_f16_e32 v26, s4, v13
	flat_store_short v[24:25], v26 offset:32
	v_mul_f16_sdwa v26, s4, v12 dst_sel:DWORD dst_unused:UNUSED_PAD src0_sel:DWORD src1_sel:WORD_1
	;; [unrolled: 10-line block ×3, first 2 shown]
	flat_store_short v[22:23], v24 offset:64
	v_mul_f16_e32 v24, s4, v10
	flat_store_short v[22:23], v24 offset:96
	s_cbranch_execnz .LBB150_7
.LBB150_6:
	s_lshl_b64 s[2:3], s[12:13], 1
	s_add_u32 s2, s8, s2
	v_mul_lo_u32 v3, v3, s10
	v_mul_lo_u32 v24, v2, s11
	v_mad_u64_u32 v[22:23], s[6:7], v2, s10, 0
	s_addc_u32 s3, s9, s3
	v_add3_u32 v23, v23, v24, v3
	v_lshl_add_u64 v[22:23], v[22:23], 1, s[2:3]
	v_lshl_add_u64 v[24:25], v[22:23], 0, v[0:1]
	flat_load_ushort v26, v[24:25]
	v_mad_u64_u32 v[2:3], s[2:3], v2, s24, 0
	v_add3_u32 v3, v3, v21, v20
	v_lshl_add_u64 v[2:3], v[2:3], 1, s[0:1]
	v_lshl_add_u64 v[20:21], v[2:3], 0, v[0:1]
	s_lshl_b64 s[0:1], s[10:11], 5
	s_lshl_b64 s[2:3], s[24:25], 5
	v_lshl_add_u64 v[2:3], v[2:3], 0, s[2:3]
	s_waitcnt vmcnt(0) lgkmcnt(0)
	v_mul_f16_e32 v26, s5, v26
	v_fma_f16 v19, s4, v19, v26
	flat_store_short v[20:21], v19
	flat_load_ushort v19, v[24:25] offset:32
	s_waitcnt vmcnt(0) lgkmcnt(0)
	v_mul_f16_e32 v19, s5, v19
	v_fma_f16 v17, s4, v17, v19
	flat_store_short v[20:21], v17 offset:32
	flat_load_ushort v17, v[24:25] offset:64
	s_waitcnt vmcnt(0) lgkmcnt(0)
	v_mul_f16_e32 v17, s5, v17
	v_fma_f16 v17, s4, v18, v17
	flat_store_short v[20:21], v17 offset:64
	flat_load_ushort v17, v[24:25] offset:96
	v_lshl_add_u64 v[18:19], v[22:23], 0, s[0:1]
	v_lshl_add_u64 v[22:23], v[18:19], 0, v[0:1]
	s_waitcnt vmcnt(0) lgkmcnt(0)
	v_mul_f16_e32 v17, s5, v17
	v_fma_f16 v16, s4, v16, v17
	flat_store_short v[20:21], v16 offset:96
	flat_load_ushort v20, v[22:23]
	v_lshl_add_u64 v[16:17], v[2:3], 0, v[0:1]
	v_lshl_add_u64 v[2:3], v[2:3], 0, s[2:3]
	s_waitcnt vmcnt(0) lgkmcnt(0)
	v_mul_f16_e32 v20, s5, v20
	v_fma_f16 v9, s4, v9, v20
	flat_store_short v[16:17], v9
	flat_load_ushort v9, v[22:23] offset:32
	s_waitcnt vmcnt(0) lgkmcnt(0)
	v_mul_f16_e32 v9, s5, v9
	v_fma_f16 v9, s4, v15, v9
	flat_store_short v[16:17], v9 offset:32
	flat_load_ushort v9, v[22:23] offset:64
	s_waitcnt vmcnt(0) lgkmcnt(0)
	v_mul_f16_e32 v9, s5, v9
	v_fma_f16 v8, s4, v8, v9
	flat_store_short v[16:17], v8 offset:64
	flat_load_ushort v15, v[22:23] offset:96
	v_lshl_add_u64 v[8:9], v[18:19], 0, s[0:1]
	v_lshl_add_u64 v[18:19], v[8:9], 0, v[0:1]
	s_waitcnt vmcnt(0) lgkmcnt(0)
	v_mul_f16_e32 v15, s5, v15
	v_fma_f16 v14, s4, v14, v15
	flat_store_short v[16:17], v14 offset:96
	flat_load_ushort v16, v[18:19]
	v_lshl_add_u64 v[14:15], v[2:3], 0, v[0:1]
	v_lshl_add_u64 v[2:3], v[2:3], 0, s[2:3]
	s_waitcnt vmcnt(0) lgkmcnt(0)
	v_mul_f16_e32 v16, s5, v16
	v_fma_f16 v7, s4, v7, v16
	flat_store_short v[14:15], v7
	flat_load_ushort v7, v[18:19] offset:32
	s_waitcnt vmcnt(0) lgkmcnt(0)
	v_mul_f16_e32 v7, s5, v7
	v_fma_f16 v7, s4, v13, v7
	flat_store_short v[14:15], v7 offset:32
	flat_load_ushort v7, v[18:19] offset:64
	s_waitcnt vmcnt(0) lgkmcnt(0)
	v_mul_f16_e32 v7, s5, v7
	v_fma_f16 v6, s4, v6, v7
	flat_store_short v[14:15], v6 offset:64
	flat_load_ushort v13, v[18:19] offset:96
	v_lshl_add_u64 v[6:7], v[8:9], 0, s[0:1]
	v_lshl_add_u64 v[6:7], v[6:7], 0, v[0:1]
	;; [unrolled: 1-line block ×3, first 2 shown]
	s_waitcnt vmcnt(0) lgkmcnt(0)
	v_mul_f16_e32 v8, s5, v13
	v_fma_f16 v8, s4, v12, v8
	flat_store_short v[14:15], v8 offset:96
	flat_load_ushort v8, v[6:7]
	s_waitcnt vmcnt(0) lgkmcnt(0)
	v_mul_f16_e32 v8, s5, v8
	v_fma_f16 v5, s4, v5, v8
	flat_store_short v[0:1], v5
	flat_load_ushort v2, v[6:7] offset:32
	s_waitcnt vmcnt(0) lgkmcnt(0)
	v_mul_f16_e32 v2, s5, v2
	v_fma_f16 v2, s4, v11, v2
	flat_store_short v[0:1], v2 offset:32
	flat_load_ushort v2, v[6:7] offset:64
	s_waitcnt vmcnt(0) lgkmcnt(0)
	v_mul_f16_e32 v2, s5, v2
	v_fma_f16 v2, s4, v4, v2
	flat_store_short v[0:1], v2 offset:64
	;; [unrolled: 5-line block ×3, first 2 shown]
.LBB150_7:
	s_endpgm
.LBB150_8:
	s_branch .LBB150_6
	.section	.rodata,"a",@progbits
	.p2align	6, 0x0
	.amdhsa_kernel _ZN12_GLOBAL__N_127rocblas_gemm_batched_kernelIDF16_Li16ELi16ELi64ELi64ELi4ELi64ELi4ELi4ELi64ELc84ELc84EKPKDF16_S3_KPDF16_EEvlllT_PT11_llS8_llS6_PT12_llPT13_lli
		.amdhsa_group_segment_fixed_size 1024
		.amdhsa_private_segment_fixed_size 0
		.amdhsa_kernarg_size 140
		.amdhsa_user_sgpr_count 2
		.amdhsa_user_sgpr_dispatch_ptr 0
		.amdhsa_user_sgpr_queue_ptr 0
		.amdhsa_user_sgpr_kernarg_segment_ptr 1
		.amdhsa_user_sgpr_dispatch_id 0
		.amdhsa_user_sgpr_kernarg_preload_length 0
		.amdhsa_user_sgpr_kernarg_preload_offset 0
		.amdhsa_user_sgpr_private_segment_size 0
		.amdhsa_uses_dynamic_stack 0
		.amdhsa_enable_private_segment 0
		.amdhsa_system_sgpr_workgroup_id_x 1
		.amdhsa_system_sgpr_workgroup_id_y 1
		.amdhsa_system_sgpr_workgroup_id_z 1
		.amdhsa_system_sgpr_workgroup_info 0
		.amdhsa_system_vgpr_workitem_id 1
		.amdhsa_next_free_vgpr 46
		.amdhsa_next_free_sgpr 36
		.amdhsa_accum_offset 48
		.amdhsa_reserve_vcc 1
		.amdhsa_float_round_mode_32 0
		.amdhsa_float_round_mode_16_64 0
		.amdhsa_float_denorm_mode_32 3
		.amdhsa_float_denorm_mode_16_64 3
		.amdhsa_dx10_clamp 1
		.amdhsa_ieee_mode 1
		.amdhsa_fp16_overflow 0
		.amdhsa_tg_split 0
		.amdhsa_exception_fp_ieee_invalid_op 0
		.amdhsa_exception_fp_denorm_src 0
		.amdhsa_exception_fp_ieee_div_zero 0
		.amdhsa_exception_fp_ieee_overflow 0
		.amdhsa_exception_fp_ieee_underflow 0
		.amdhsa_exception_fp_ieee_inexact 0
		.amdhsa_exception_int_div_zero 0
	.end_amdhsa_kernel
	.section	.text._ZN12_GLOBAL__N_127rocblas_gemm_batched_kernelIDF16_Li16ELi16ELi64ELi64ELi4ELi64ELi4ELi4ELi64ELc84ELc84EKPKDF16_S3_KPDF16_EEvlllT_PT11_llS8_llS6_PT12_llPT13_lli,"axG",@progbits,_ZN12_GLOBAL__N_127rocblas_gemm_batched_kernelIDF16_Li16ELi16ELi64ELi64ELi4ELi64ELi4ELi4ELi64ELc84ELc84EKPKDF16_S3_KPDF16_EEvlllT_PT11_llS8_llS6_PT12_llPT13_lli,comdat
.Lfunc_end150:
	.size	_ZN12_GLOBAL__N_127rocblas_gemm_batched_kernelIDF16_Li16ELi16ELi64ELi64ELi4ELi64ELi4ELi4ELi64ELc84ELc84EKPKDF16_S3_KPDF16_EEvlllT_PT11_llS8_llS6_PT12_llPT13_lli, .Lfunc_end150-_ZN12_GLOBAL__N_127rocblas_gemm_batched_kernelIDF16_Li16ELi16ELi64ELi64ELi4ELi64ELi4ELi4ELi64ELc84ELc84EKPKDF16_S3_KPDF16_EEvlllT_PT11_llS8_llS6_PT12_llPT13_lli
                                        ; -- End function
	.set _ZN12_GLOBAL__N_127rocblas_gemm_batched_kernelIDF16_Li16ELi16ELi64ELi64ELi4ELi64ELi4ELi4ELi64ELc84ELc84EKPKDF16_S3_KPDF16_EEvlllT_PT11_llS8_llS6_PT12_llPT13_lli.num_vgpr, 46
	.set _ZN12_GLOBAL__N_127rocblas_gemm_batched_kernelIDF16_Li16ELi16ELi64ELi64ELi4ELi64ELi4ELi4ELi64ELc84ELc84EKPKDF16_S3_KPDF16_EEvlllT_PT11_llS8_llS6_PT12_llPT13_lli.num_agpr, 0
	.set _ZN12_GLOBAL__N_127rocblas_gemm_batched_kernelIDF16_Li16ELi16ELi64ELi64ELi4ELi64ELi4ELi4ELi64ELc84ELc84EKPKDF16_S3_KPDF16_EEvlllT_PT11_llS8_llS6_PT12_llPT13_lli.numbered_sgpr, 36
	.set _ZN12_GLOBAL__N_127rocblas_gemm_batched_kernelIDF16_Li16ELi16ELi64ELi64ELi4ELi64ELi4ELi4ELi64ELc84ELc84EKPKDF16_S3_KPDF16_EEvlllT_PT11_llS8_llS6_PT12_llPT13_lli.num_named_barrier, 0
	.set _ZN12_GLOBAL__N_127rocblas_gemm_batched_kernelIDF16_Li16ELi16ELi64ELi64ELi4ELi64ELi4ELi4ELi64ELc84ELc84EKPKDF16_S3_KPDF16_EEvlllT_PT11_llS8_llS6_PT12_llPT13_lli.private_seg_size, 0
	.set _ZN12_GLOBAL__N_127rocblas_gemm_batched_kernelIDF16_Li16ELi16ELi64ELi64ELi4ELi64ELi4ELi4ELi64ELc84ELc84EKPKDF16_S3_KPDF16_EEvlllT_PT11_llS8_llS6_PT12_llPT13_lli.uses_vcc, 1
	.set _ZN12_GLOBAL__N_127rocblas_gemm_batched_kernelIDF16_Li16ELi16ELi64ELi64ELi4ELi64ELi4ELi4ELi64ELc84ELc84EKPKDF16_S3_KPDF16_EEvlllT_PT11_llS8_llS6_PT12_llPT13_lli.uses_flat_scratch, 0
	.set _ZN12_GLOBAL__N_127rocblas_gemm_batched_kernelIDF16_Li16ELi16ELi64ELi64ELi4ELi64ELi4ELi4ELi64ELc84ELc84EKPKDF16_S3_KPDF16_EEvlllT_PT11_llS8_llS6_PT12_llPT13_lli.has_dyn_sized_stack, 0
	.set _ZN12_GLOBAL__N_127rocblas_gemm_batched_kernelIDF16_Li16ELi16ELi64ELi64ELi4ELi64ELi4ELi4ELi64ELc84ELc84EKPKDF16_S3_KPDF16_EEvlllT_PT11_llS8_llS6_PT12_llPT13_lli.has_recursion, 0
	.set _ZN12_GLOBAL__N_127rocblas_gemm_batched_kernelIDF16_Li16ELi16ELi64ELi64ELi4ELi64ELi4ELi4ELi64ELc84ELc84EKPKDF16_S3_KPDF16_EEvlllT_PT11_llS8_llS6_PT12_llPT13_lli.has_indirect_call, 0
	.section	.AMDGPU.csdata,"",@progbits
; Kernel info:
; codeLenInByte = 2220
; TotalNumSgprs: 42
; NumVgprs: 46
; NumAgprs: 0
; TotalNumVgprs: 46
; ScratchSize: 0
; MemoryBound: 0
; FloatMode: 240
; IeeeMode: 1
; LDSByteSize: 1024 bytes/workgroup (compile time only)
; SGPRBlocks: 5
; VGPRBlocks: 5
; NumSGPRsForWavesPerEU: 42
; NumVGPRsForWavesPerEU: 46
; AccumOffset: 48
; Occupancy: 8
; WaveLimiterHint : 1
; COMPUTE_PGM_RSRC2:SCRATCH_EN: 0
; COMPUTE_PGM_RSRC2:USER_SGPR: 2
; COMPUTE_PGM_RSRC2:TRAP_HANDLER: 0
; COMPUTE_PGM_RSRC2:TGID_X_EN: 1
; COMPUTE_PGM_RSRC2:TGID_Y_EN: 1
; COMPUTE_PGM_RSRC2:TGID_Z_EN: 1
; COMPUTE_PGM_RSRC2:TIDIG_COMP_CNT: 1
; COMPUTE_PGM_RSRC3_GFX90A:ACCUM_OFFSET: 11
; COMPUTE_PGM_RSRC3_GFX90A:TG_SPLIT: 0
	.section	.text._ZN12_GLOBAL__N_127rocblas_gemm_batched_kernelIDF16_Li16ELi16ELi64ELi64ELi4ELi64ELi4ELi4ELi64ELc67ELc67EKPKDF16_S3_KPDF16_EEvlllT_PT11_llS8_llS6_PT12_llPT13_lli,"axG",@progbits,_ZN12_GLOBAL__N_127rocblas_gemm_batched_kernelIDF16_Li16ELi16ELi64ELi64ELi4ELi64ELi4ELi4ELi64ELc67ELc67EKPKDF16_S3_KPDF16_EEvlllT_PT11_llS8_llS6_PT12_llPT13_lli,comdat
	.globl	_ZN12_GLOBAL__N_127rocblas_gemm_batched_kernelIDF16_Li16ELi16ELi64ELi64ELi4ELi64ELi4ELi4ELi64ELc67ELc67EKPKDF16_S3_KPDF16_EEvlllT_PT11_llS8_llS6_PT12_llPT13_lli ; -- Begin function _ZN12_GLOBAL__N_127rocblas_gemm_batched_kernelIDF16_Li16ELi16ELi64ELi64ELi4ELi64ELi4ELi4ELi64ELc67ELc67EKPKDF16_S3_KPDF16_EEvlllT_PT11_llS8_llS6_PT12_llPT13_lli
	.p2align	8
	.type	_ZN12_GLOBAL__N_127rocblas_gemm_batched_kernelIDF16_Li16ELi16ELi64ELi64ELi4ELi64ELi4ELi4ELi64ELc67ELc67EKPKDF16_S3_KPDF16_EEvlllT_PT11_llS8_llS6_PT12_llPT13_lli,@function
_ZN12_GLOBAL__N_127rocblas_gemm_batched_kernelIDF16_Li16ELi16ELi64ELi64ELi4ELi64ELi4ELi4ELi64ELc67ELc67EKPKDF16_S3_KPDF16_EEvlllT_PT11_llS8_llS6_PT12_llPT13_lli: ; @_ZN12_GLOBAL__N_127rocblas_gemm_batched_kernelIDF16_Li16ELi16ELi64ELi64ELi4ELi64ELi4ELi4ELi64ELc67ELc67EKPKDF16_S3_KPDF16_EEvlllT_PT11_llS8_llS6_PT12_llPT13_lli
; %bb.0:
	s_load_dwordx2 s[30:31], s[0:1], 0x10
	s_load_dwordx4 s[24:27], s[0:1], 0x78
	s_load_dwordx8 s[8:15], s[0:1], 0x58
	s_mov_b32 s5, 0
	s_lshl_b64 s[34:35], s[4:5], 3
	s_mov_b32 s6, s3
	v_mov_b32_e32 v3, 0
	s_waitcnt lgkmcnt(0)
	s_add_u32 s4, s8, s34
	s_addc_u32 s5, s9, s35
	s_load_dwordx2 s[8:9], s[4:5], 0x0
	s_add_u32 s4, s14, s34
	s_addc_u32 s5, s15, s35
	s_load_dwordx2 s[14:15], s[4:5], 0x0
	s_ashr_i32 s3, s2, 31
	s_ashr_i32 s7, s6, 31
	v_cmp_lt_i64_e64 s[4:5], s[30:31], 1
	v_bfe_u32 v2, v0, 10, 10
	v_and_b32_e32 v0, 0x3ff, v0
	v_mov_b32_e32 v1, v3
	s_lshl_b64 s[2:3], s[2:3], 6
	s_lshl_b64 s[28:29], s[6:7], 6
	s_and_b64 vcc, exec, s[4:5]
	s_cbranch_vccnz .LBB151_3
; %bb.1:
	s_load_dwordx8 s[16:23], s[0:1], 0x20
	s_load_dwordx4 s[4:7], s[0:1], 0x40
	v_lshl_add_u32 v8, v2, 4, v0
	v_and_b32_e32 v6, 63, v8
	v_lshrrev_b32_e32 v4, 2, v8
	s_waitcnt lgkmcnt(0)
	s_add_u32 s16, s16, s34
	s_addc_u32 s17, s17, s35
	s_add_u32 s22, s22, s34
	s_addc_u32 s23, s23, s35
	v_and_b32_e32 v9, 3, v0
	v_lshrrev_b32_e32 v10, 6, v8
	v_lshlrev_b32_e32 v8, 1, v6
	s_load_dwordx2 s[22:23], s[22:23], 0x0
	v_lshl_or_b32 v18, v10, 7, v8
	v_lshlrev_b32_e32 v8, 1, v9
	v_mov_b32_e32 v5, v3
	v_lshl_or_b32 v8, v4, 3, v8
	v_add_u32_e32 v19, 0x200, v8
	v_mov_b32_e32 v8, 0x200
	v_mad_u64_u32 v[4:5], s[34:35], s4, v9, v[4:5]
	v_lshl_add_u32 v21, v2, 3, v8
	v_mov_b32_e32 v8, v5
	s_lshl_b64 s[6:7], s[6:7], 1
	v_mad_u64_u32 v[8:9], s[34:35], s5, v9, v[8:9]
	v_mov_b32_e32 v7, v3
	v_mov_b32_e32 v5, v8
	s_waitcnt lgkmcnt(0)
	s_add_u32 s6, s22, s6
	s_load_dwordx2 s[16:17], s[16:17], 0x0
	v_lshl_add_u64 v[4:5], v[4:5], 0, s[28:29]
	s_addc_u32 s7, s23, s7
	v_lshl_add_u64 v[6:7], s[2:3], 0, v[6:7]
	v_lshl_add_u64 v[4:5], v[4:5], 1, s[6:7]
	v_mul_lo_u32 v8, s19, v6
	v_mul_lo_u32 v9, s18, v7
	v_mad_u64_u32 v[6:7], s[6:7], s18, v6, 0
	v_add3_u32 v7, v7, v9, v8
	s_lshl_b64 s[6:7], s[20:21], 1
	v_lshl_add_u64 v[6:7], v[6:7], 1, s[6:7]
	v_lshlrev_b32_e32 v8, 1, v10
	v_mov_b32_e32 v9, v3
	v_lshl_add_u64 v[6:7], v[6:7], 0, v[8:9]
	v_lshlrev_b32_e32 v20, 1, v0
	s_lshl_b64 s[4:5], s[4:5], 3
	s_waitcnt lgkmcnt(0)
	v_lshl_add_u64 v[6:7], s[16:17], 0, v[6:7]
	s_mov_b64 s[6:7], 0
	s_mov_b32 s16, 0x5040100
	v_mov_b64_e32 v[8:9], s[30:31]
	v_mov_b32_e32 v10, v3
	v_mov_b32_e32 v11, v3
	;; [unrolled: 1-line block ×8, first 2 shown]
.LBB151_2:                              ; =>This Inner Loop Header: Depth=1
	flat_load_ushort v22, v[6:7]
	s_add_u32 s6, s6, 4
	s_addc_u32 s7, s7, 0
	v_cmp_lt_i64_e32 vcc, s[6:7], v[8:9]
	v_lshl_add_u64 v[6:7], v[6:7], 0, 8
	s_and_b64 vcc, exec, vcc
	s_waitcnt vmcnt(0) lgkmcnt(0)
	ds_write_b16 v18, v22
	flat_load_ushort v22, v[4:5]
	v_lshl_add_u64 v[4:5], v[4:5], 0, s[4:5]
	s_waitcnt vmcnt(0) lgkmcnt(0)
	ds_write_b16 v19, v22
	s_waitcnt lgkmcnt(0)
	s_barrier
	ds_read2_b64 v[22:25], v21 offset1:16
	ds_read2_b64 v[26:29], v21 offset0:32 offset1:48
	ds_read_u16 v30, v20
	ds_read_u16 v31, v20 offset:32
	ds_read_u16 v32, v20 offset:64
	;; [unrolled: 1-line block ×15, first 2 shown]
	s_waitcnt lgkmcnt(14)
	v_perm_b32 v30, v30, v31, s16
	s_waitcnt lgkmcnt(12)
	v_perm_b32 v32, v32, v33, s16
	;; [unrolled: 2-line block ×4, first 2 shown]
	v_pk_fma_f16 v17, v30, v22, v17 op_sel_hi:[1,0,1]
	v_pk_fma_f16 v16, v32, v22, v16 op_sel_hi:[1,0,1]
	;; [unrolled: 1-line block ×8, first 2 shown]
	s_waitcnt lgkmcnt(6)
	v_perm_b32 v34, v38, v39, s16
	s_waitcnt lgkmcnt(4)
	v_perm_b32 v36, v40, v41, s16
	v_pk_fma_f16 v17, v31, v22, v17 op_sel:[0,1,0]
	v_pk_fma_f16 v16, v33, v22, v16 op_sel:[0,1,0]
	;; [unrolled: 1-line block ×8, first 2 shown]
	s_waitcnt lgkmcnt(2)
	v_perm_b32 v35, v42, v43, s16
	s_waitcnt lgkmcnt(0)
	v_perm_b32 v37, v44, v45, s16
	v_pk_fma_f16 v17, v34, v23, v17 op_sel_hi:[1,0,1]
	v_pk_fma_f16 v16, v36, v23, v16 op_sel_hi:[1,0,1]
	;; [unrolled: 1-line block ×8, first 2 shown]
	v_pk_fma_f16 v17, v35, v23, v17 op_sel:[0,1,0]
	v_pk_fma_f16 v16, v37, v23, v16 op_sel:[0,1,0]
	;; [unrolled: 1-line block ×8, first 2 shown]
	s_barrier
	s_cbranch_vccnz .LBB151_2
	s_branch .LBB151_4
.LBB151_3:
	v_mov_b32_e32 v17, v3
	v_mov_b32_e32 v16, v3
	;; [unrolled: 1-line block ×8, first 2 shown]
.LBB151_4:
	s_load_dword s4, s[0:1], 0x18
	s_load_dword s5, s[0:1], 0x50
	s_lshl_b64 s[0:1], s[26:27], 1
	s_waitcnt lgkmcnt(0)
	s_add_u32 s0, s14, s0
	v_lshl_add_u64 v[2:3], s[28:29], 0, v[2:3]
	v_lshl_add_u64 v[0:1], s[2:3], 0, v[0:1]
	v_cmp_neq_f16_e64 s[6:7], s5, 0
	s_addc_u32 s1, s15, s1
	s_and_b64 vcc, exec, s[6:7]
	v_mul_lo_u32 v20, v3, s24
	v_mul_lo_u32 v21, v2, s25
	v_lshrrev_b32_e32 v19, 16, v17
	v_lshlrev_b64 v[0:1], 1, v[0:1]
	v_lshrrev_b32_e32 v18, 16, v16
	v_lshrrev_b32_e32 v9, 16, v15
	;; [unrolled: 1-line block ×7, first 2 shown]
	s_cbranch_vccnz .LBB151_8
; %bb.5:
	v_mad_u64_u32 v[22:23], s[2:3], v2, s24, 0
	v_add3_u32 v23, v23, v21, v20
	v_lshl_add_u64 v[22:23], v[22:23], 1, s[0:1]
	v_mul_f16_sdwa v26, s4, v17 dst_sel:DWORD dst_unused:UNUSED_PAD src0_sel:DWORD src1_sel:WORD_1
	v_lshl_add_u64 v[24:25], v[22:23], 0, v[0:1]
	flat_store_short v[24:25], v26
	v_mul_f16_e32 v26, s4, v17
	flat_store_short v[24:25], v26 offset:32
	v_mul_f16_sdwa v26, s4, v16 dst_sel:DWORD dst_unused:UNUSED_PAD src0_sel:DWORD src1_sel:WORD_1
	s_lshl_b64 s[2:3], s[24:25], 5
	flat_store_short v[24:25], v26 offset:64
	v_mul_f16_e32 v26, s4, v16
	v_lshl_add_u64 v[22:23], v[22:23], 0, s[2:3]
	flat_store_short v[24:25], v26 offset:96
	v_mul_f16_sdwa v26, s4, v15 dst_sel:DWORD dst_unused:UNUSED_PAD src0_sel:DWORD src1_sel:WORD_1
	v_lshl_add_u64 v[24:25], v[22:23], 0, v[0:1]
	flat_store_short v[24:25], v26
	v_mul_f16_e32 v26, s4, v15
	flat_store_short v[24:25], v26 offset:32
	v_mul_f16_sdwa v26, s4, v14 dst_sel:DWORD dst_unused:UNUSED_PAD src0_sel:DWORD src1_sel:WORD_1
	flat_store_short v[24:25], v26 offset:64
	v_mul_f16_e32 v26, s4, v14
	v_lshl_add_u64 v[22:23], v[22:23], 0, s[2:3]
	flat_store_short v[24:25], v26 offset:96
	v_mul_f16_sdwa v26, s4, v13 dst_sel:DWORD dst_unused:UNUSED_PAD src0_sel:DWORD src1_sel:WORD_1
	v_lshl_add_u64 v[24:25], v[22:23], 0, v[0:1]
	flat_store_short v[24:25], v26
	v_mul_f16_e32 v26, s4, v13
	flat_store_short v[24:25], v26 offset:32
	v_mul_f16_sdwa v26, s4, v12 dst_sel:DWORD dst_unused:UNUSED_PAD src0_sel:DWORD src1_sel:WORD_1
	;; [unrolled: 10-line block ×3, first 2 shown]
	flat_store_short v[22:23], v24 offset:64
	v_mul_f16_e32 v24, s4, v10
	flat_store_short v[22:23], v24 offset:96
	s_cbranch_execnz .LBB151_7
.LBB151_6:
	s_lshl_b64 s[2:3], s[12:13], 1
	s_add_u32 s2, s8, s2
	v_mul_lo_u32 v3, v3, s10
	v_mul_lo_u32 v24, v2, s11
	v_mad_u64_u32 v[22:23], s[6:7], v2, s10, 0
	s_addc_u32 s3, s9, s3
	v_add3_u32 v23, v23, v24, v3
	v_lshl_add_u64 v[22:23], v[22:23], 1, s[2:3]
	v_lshl_add_u64 v[24:25], v[22:23], 0, v[0:1]
	flat_load_ushort v26, v[24:25]
	v_mad_u64_u32 v[2:3], s[2:3], v2, s24, 0
	v_add3_u32 v3, v3, v21, v20
	v_lshl_add_u64 v[2:3], v[2:3], 1, s[0:1]
	v_lshl_add_u64 v[20:21], v[2:3], 0, v[0:1]
	s_lshl_b64 s[0:1], s[10:11], 5
	s_lshl_b64 s[2:3], s[24:25], 5
	v_lshl_add_u64 v[2:3], v[2:3], 0, s[2:3]
	s_waitcnt vmcnt(0) lgkmcnt(0)
	v_mul_f16_e32 v26, s5, v26
	v_fma_f16 v19, s4, v19, v26
	flat_store_short v[20:21], v19
	flat_load_ushort v19, v[24:25] offset:32
	s_waitcnt vmcnt(0) lgkmcnt(0)
	v_mul_f16_e32 v19, s5, v19
	v_fma_f16 v17, s4, v17, v19
	flat_store_short v[20:21], v17 offset:32
	flat_load_ushort v17, v[24:25] offset:64
	s_waitcnt vmcnt(0) lgkmcnt(0)
	v_mul_f16_e32 v17, s5, v17
	v_fma_f16 v17, s4, v18, v17
	flat_store_short v[20:21], v17 offset:64
	flat_load_ushort v17, v[24:25] offset:96
	v_lshl_add_u64 v[18:19], v[22:23], 0, s[0:1]
	v_lshl_add_u64 v[22:23], v[18:19], 0, v[0:1]
	s_waitcnt vmcnt(0) lgkmcnt(0)
	v_mul_f16_e32 v17, s5, v17
	v_fma_f16 v16, s4, v16, v17
	flat_store_short v[20:21], v16 offset:96
	flat_load_ushort v20, v[22:23]
	v_lshl_add_u64 v[16:17], v[2:3], 0, v[0:1]
	v_lshl_add_u64 v[2:3], v[2:3], 0, s[2:3]
	s_waitcnt vmcnt(0) lgkmcnt(0)
	v_mul_f16_e32 v20, s5, v20
	v_fma_f16 v9, s4, v9, v20
	flat_store_short v[16:17], v9
	flat_load_ushort v9, v[22:23] offset:32
	s_waitcnt vmcnt(0) lgkmcnt(0)
	v_mul_f16_e32 v9, s5, v9
	v_fma_f16 v9, s4, v15, v9
	flat_store_short v[16:17], v9 offset:32
	flat_load_ushort v9, v[22:23] offset:64
	s_waitcnt vmcnt(0) lgkmcnt(0)
	v_mul_f16_e32 v9, s5, v9
	v_fma_f16 v8, s4, v8, v9
	flat_store_short v[16:17], v8 offset:64
	flat_load_ushort v15, v[22:23] offset:96
	v_lshl_add_u64 v[8:9], v[18:19], 0, s[0:1]
	v_lshl_add_u64 v[18:19], v[8:9], 0, v[0:1]
	s_waitcnt vmcnt(0) lgkmcnt(0)
	v_mul_f16_e32 v15, s5, v15
	v_fma_f16 v14, s4, v14, v15
	flat_store_short v[16:17], v14 offset:96
	flat_load_ushort v16, v[18:19]
	v_lshl_add_u64 v[14:15], v[2:3], 0, v[0:1]
	v_lshl_add_u64 v[2:3], v[2:3], 0, s[2:3]
	s_waitcnt vmcnt(0) lgkmcnt(0)
	v_mul_f16_e32 v16, s5, v16
	v_fma_f16 v7, s4, v7, v16
	flat_store_short v[14:15], v7
	flat_load_ushort v7, v[18:19] offset:32
	s_waitcnt vmcnt(0) lgkmcnt(0)
	v_mul_f16_e32 v7, s5, v7
	v_fma_f16 v7, s4, v13, v7
	flat_store_short v[14:15], v7 offset:32
	flat_load_ushort v7, v[18:19] offset:64
	s_waitcnt vmcnt(0) lgkmcnt(0)
	v_mul_f16_e32 v7, s5, v7
	v_fma_f16 v6, s4, v6, v7
	flat_store_short v[14:15], v6 offset:64
	flat_load_ushort v13, v[18:19] offset:96
	v_lshl_add_u64 v[6:7], v[8:9], 0, s[0:1]
	v_lshl_add_u64 v[6:7], v[6:7], 0, v[0:1]
	;; [unrolled: 1-line block ×3, first 2 shown]
	s_waitcnt vmcnt(0) lgkmcnt(0)
	v_mul_f16_e32 v8, s5, v13
	v_fma_f16 v8, s4, v12, v8
	flat_store_short v[14:15], v8 offset:96
	flat_load_ushort v8, v[6:7]
	s_waitcnt vmcnt(0) lgkmcnt(0)
	v_mul_f16_e32 v8, s5, v8
	v_fma_f16 v5, s4, v5, v8
	flat_store_short v[0:1], v5
	flat_load_ushort v2, v[6:7] offset:32
	s_waitcnt vmcnt(0) lgkmcnt(0)
	v_mul_f16_e32 v2, s5, v2
	v_fma_f16 v2, s4, v11, v2
	flat_store_short v[0:1], v2 offset:32
	flat_load_ushort v2, v[6:7] offset:64
	s_waitcnt vmcnt(0) lgkmcnt(0)
	v_mul_f16_e32 v2, s5, v2
	v_fma_f16 v2, s4, v4, v2
	flat_store_short v[0:1], v2 offset:64
	;; [unrolled: 5-line block ×3, first 2 shown]
.LBB151_7:
	s_endpgm
.LBB151_8:
	s_branch .LBB151_6
	.section	.rodata,"a",@progbits
	.p2align	6, 0x0
	.amdhsa_kernel _ZN12_GLOBAL__N_127rocblas_gemm_batched_kernelIDF16_Li16ELi16ELi64ELi64ELi4ELi64ELi4ELi4ELi64ELc67ELc67EKPKDF16_S3_KPDF16_EEvlllT_PT11_llS8_llS6_PT12_llPT13_lli
		.amdhsa_group_segment_fixed_size 1024
		.amdhsa_private_segment_fixed_size 0
		.amdhsa_kernarg_size 140
		.amdhsa_user_sgpr_count 2
		.amdhsa_user_sgpr_dispatch_ptr 0
		.amdhsa_user_sgpr_queue_ptr 0
		.amdhsa_user_sgpr_kernarg_segment_ptr 1
		.amdhsa_user_sgpr_dispatch_id 0
		.amdhsa_user_sgpr_kernarg_preload_length 0
		.amdhsa_user_sgpr_kernarg_preload_offset 0
		.amdhsa_user_sgpr_private_segment_size 0
		.amdhsa_uses_dynamic_stack 0
		.amdhsa_enable_private_segment 0
		.amdhsa_system_sgpr_workgroup_id_x 1
		.amdhsa_system_sgpr_workgroup_id_y 1
		.amdhsa_system_sgpr_workgroup_id_z 1
		.amdhsa_system_sgpr_workgroup_info 0
		.amdhsa_system_vgpr_workitem_id 1
		.amdhsa_next_free_vgpr 46
		.amdhsa_next_free_sgpr 36
		.amdhsa_accum_offset 48
		.amdhsa_reserve_vcc 1
		.amdhsa_float_round_mode_32 0
		.amdhsa_float_round_mode_16_64 0
		.amdhsa_float_denorm_mode_32 3
		.amdhsa_float_denorm_mode_16_64 3
		.amdhsa_dx10_clamp 1
		.amdhsa_ieee_mode 1
		.amdhsa_fp16_overflow 0
		.amdhsa_tg_split 0
		.amdhsa_exception_fp_ieee_invalid_op 0
		.amdhsa_exception_fp_denorm_src 0
		.amdhsa_exception_fp_ieee_div_zero 0
		.amdhsa_exception_fp_ieee_overflow 0
		.amdhsa_exception_fp_ieee_underflow 0
		.amdhsa_exception_fp_ieee_inexact 0
		.amdhsa_exception_int_div_zero 0
	.end_amdhsa_kernel
	.section	.text._ZN12_GLOBAL__N_127rocblas_gemm_batched_kernelIDF16_Li16ELi16ELi64ELi64ELi4ELi64ELi4ELi4ELi64ELc67ELc67EKPKDF16_S3_KPDF16_EEvlllT_PT11_llS8_llS6_PT12_llPT13_lli,"axG",@progbits,_ZN12_GLOBAL__N_127rocblas_gemm_batched_kernelIDF16_Li16ELi16ELi64ELi64ELi4ELi64ELi4ELi4ELi64ELc67ELc67EKPKDF16_S3_KPDF16_EEvlllT_PT11_llS8_llS6_PT12_llPT13_lli,comdat
.Lfunc_end151:
	.size	_ZN12_GLOBAL__N_127rocblas_gemm_batched_kernelIDF16_Li16ELi16ELi64ELi64ELi4ELi64ELi4ELi4ELi64ELc67ELc67EKPKDF16_S3_KPDF16_EEvlllT_PT11_llS8_llS6_PT12_llPT13_lli, .Lfunc_end151-_ZN12_GLOBAL__N_127rocblas_gemm_batched_kernelIDF16_Li16ELi16ELi64ELi64ELi4ELi64ELi4ELi4ELi64ELc67ELc67EKPKDF16_S3_KPDF16_EEvlllT_PT11_llS8_llS6_PT12_llPT13_lli
                                        ; -- End function
	.set _ZN12_GLOBAL__N_127rocblas_gemm_batched_kernelIDF16_Li16ELi16ELi64ELi64ELi4ELi64ELi4ELi4ELi64ELc67ELc67EKPKDF16_S3_KPDF16_EEvlllT_PT11_llS8_llS6_PT12_llPT13_lli.num_vgpr, 46
	.set _ZN12_GLOBAL__N_127rocblas_gemm_batched_kernelIDF16_Li16ELi16ELi64ELi64ELi4ELi64ELi4ELi4ELi64ELc67ELc67EKPKDF16_S3_KPDF16_EEvlllT_PT11_llS8_llS6_PT12_llPT13_lli.num_agpr, 0
	.set _ZN12_GLOBAL__N_127rocblas_gemm_batched_kernelIDF16_Li16ELi16ELi64ELi64ELi4ELi64ELi4ELi4ELi64ELc67ELc67EKPKDF16_S3_KPDF16_EEvlllT_PT11_llS8_llS6_PT12_llPT13_lli.numbered_sgpr, 36
	.set _ZN12_GLOBAL__N_127rocblas_gemm_batched_kernelIDF16_Li16ELi16ELi64ELi64ELi4ELi64ELi4ELi4ELi64ELc67ELc67EKPKDF16_S3_KPDF16_EEvlllT_PT11_llS8_llS6_PT12_llPT13_lli.num_named_barrier, 0
	.set _ZN12_GLOBAL__N_127rocblas_gemm_batched_kernelIDF16_Li16ELi16ELi64ELi64ELi4ELi64ELi4ELi4ELi64ELc67ELc67EKPKDF16_S3_KPDF16_EEvlllT_PT11_llS8_llS6_PT12_llPT13_lli.private_seg_size, 0
	.set _ZN12_GLOBAL__N_127rocblas_gemm_batched_kernelIDF16_Li16ELi16ELi64ELi64ELi4ELi64ELi4ELi4ELi64ELc67ELc67EKPKDF16_S3_KPDF16_EEvlllT_PT11_llS8_llS6_PT12_llPT13_lli.uses_vcc, 1
	.set _ZN12_GLOBAL__N_127rocblas_gemm_batched_kernelIDF16_Li16ELi16ELi64ELi64ELi4ELi64ELi4ELi4ELi64ELc67ELc67EKPKDF16_S3_KPDF16_EEvlllT_PT11_llS8_llS6_PT12_llPT13_lli.uses_flat_scratch, 0
	.set _ZN12_GLOBAL__N_127rocblas_gemm_batched_kernelIDF16_Li16ELi16ELi64ELi64ELi4ELi64ELi4ELi4ELi64ELc67ELc67EKPKDF16_S3_KPDF16_EEvlllT_PT11_llS8_llS6_PT12_llPT13_lli.has_dyn_sized_stack, 0
	.set _ZN12_GLOBAL__N_127rocblas_gemm_batched_kernelIDF16_Li16ELi16ELi64ELi64ELi4ELi64ELi4ELi4ELi64ELc67ELc67EKPKDF16_S3_KPDF16_EEvlllT_PT11_llS8_llS6_PT12_llPT13_lli.has_recursion, 0
	.set _ZN12_GLOBAL__N_127rocblas_gemm_batched_kernelIDF16_Li16ELi16ELi64ELi64ELi4ELi64ELi4ELi4ELi64ELc67ELc67EKPKDF16_S3_KPDF16_EEvlllT_PT11_llS8_llS6_PT12_llPT13_lli.has_indirect_call, 0
	.section	.AMDGPU.csdata,"",@progbits
; Kernel info:
; codeLenInByte = 2220
; TotalNumSgprs: 42
; NumVgprs: 46
; NumAgprs: 0
; TotalNumVgprs: 46
; ScratchSize: 0
; MemoryBound: 0
; FloatMode: 240
; IeeeMode: 1
; LDSByteSize: 1024 bytes/workgroup (compile time only)
; SGPRBlocks: 5
; VGPRBlocks: 5
; NumSGPRsForWavesPerEU: 42
; NumVGPRsForWavesPerEU: 46
; AccumOffset: 48
; Occupancy: 8
; WaveLimiterHint : 1
; COMPUTE_PGM_RSRC2:SCRATCH_EN: 0
; COMPUTE_PGM_RSRC2:USER_SGPR: 2
; COMPUTE_PGM_RSRC2:TRAP_HANDLER: 0
; COMPUTE_PGM_RSRC2:TGID_X_EN: 1
; COMPUTE_PGM_RSRC2:TGID_Y_EN: 1
; COMPUTE_PGM_RSRC2:TGID_Z_EN: 1
; COMPUTE_PGM_RSRC2:TIDIG_COMP_CNT: 1
; COMPUTE_PGM_RSRC3_GFX90A:ACCUM_OFFSET: 11
; COMPUTE_PGM_RSRC3_GFX90A:TG_SPLIT: 0
	.section	.text._ZN12_GLOBAL__N_127rocblas_gemm_batched_kernelIDF16_Li16ELi16ELi64ELi64ELi4ELi64ELi4ELi4ELi64ELc67ELc78EKPKDF16_S3_KPDF16_EEvlllT_PT11_llS8_llS6_PT12_llPT13_lli,"axG",@progbits,_ZN12_GLOBAL__N_127rocblas_gemm_batched_kernelIDF16_Li16ELi16ELi64ELi64ELi4ELi64ELi4ELi4ELi64ELc67ELc78EKPKDF16_S3_KPDF16_EEvlllT_PT11_llS8_llS6_PT12_llPT13_lli,comdat
	.globl	_ZN12_GLOBAL__N_127rocblas_gemm_batched_kernelIDF16_Li16ELi16ELi64ELi64ELi4ELi64ELi4ELi4ELi64ELc67ELc78EKPKDF16_S3_KPDF16_EEvlllT_PT11_llS8_llS6_PT12_llPT13_lli ; -- Begin function _ZN12_GLOBAL__N_127rocblas_gemm_batched_kernelIDF16_Li16ELi16ELi64ELi64ELi4ELi64ELi4ELi4ELi64ELc67ELc78EKPKDF16_S3_KPDF16_EEvlllT_PT11_llS8_llS6_PT12_llPT13_lli
	.p2align	8
	.type	_ZN12_GLOBAL__N_127rocblas_gemm_batched_kernelIDF16_Li16ELi16ELi64ELi64ELi4ELi64ELi4ELi4ELi64ELc67ELc78EKPKDF16_S3_KPDF16_EEvlllT_PT11_llS8_llS6_PT12_llPT13_lli,@function
_ZN12_GLOBAL__N_127rocblas_gemm_batched_kernelIDF16_Li16ELi16ELi64ELi64ELi4ELi64ELi4ELi4ELi64ELc67ELc78EKPKDF16_S3_KPDF16_EEvlllT_PT11_llS8_llS6_PT12_llPT13_lli: ; @_ZN12_GLOBAL__N_127rocblas_gemm_batched_kernelIDF16_Li16ELi16ELi64ELi64ELi4ELi64ELi4ELi4ELi64ELc67ELc78EKPKDF16_S3_KPDF16_EEvlllT_PT11_llS8_llS6_PT12_llPT13_lli
; %bb.0:
	s_load_dwordx2 s[28:29], s[0:1], 0x10
	s_load_dwordx4 s[24:27], s[0:1], 0x78
	s_load_dwordx8 s[8:15], s[0:1], 0x58
	s_mov_b32 s5, 0
	s_lshl_b64 s[30:31], s[4:5], 3
	s_mov_b32 s16, s3
	v_mov_b32_e32 v3, 0
	s_waitcnt lgkmcnt(0)
	s_add_u32 s4, s8, s30
	s_addc_u32 s5, s9, s31
	s_add_u32 s6, s14, s30
	s_addc_u32 s7, s15, s31
	s_load_dwordx2 s[4:5], s[4:5], 0x0
	s_ashr_i32 s3, s2, 31
	s_load_dwordx2 s[6:7], s[6:7], 0x0
	s_ashr_i32 s17, s16, 31
	v_cmp_lt_i64_e64 s[14:15], s[28:29], 1
	v_bfe_u32 v2, v0, 10, 10
	v_and_b32_e32 v0, 0x3ff, v0
	v_mov_b32_e32 v1, v3
	s_lshl_b64 s[2:3], s[2:3], 6
	s_lshl_b64 s[8:9], s[16:17], 6
	s_and_b64 vcc, exec, s[14:15]
	s_cbranch_vccnz .LBB152_3
; %bb.1:
	s_load_dwordx8 s[16:23], s[0:1], 0x20
	s_load_dwordx4 s[36:39], s[0:1], 0x40
	v_lshl_add_u32 v10, v2, 4, v0
	v_lshrrev_b32_e32 v4, 2, v10
	v_mov_b32_e32 v5, v3
	s_waitcnt lgkmcnt(0)
	s_add_u32 s14, s16, s30
	v_and_b32_e32 v8, 63, v10
	s_addc_u32 s15, s17, s31
	v_lshl_add_u64 v[6:7], v[4:5], 0, s[8:9]
	v_and_b32_e32 v5, 3, v0
	v_lshrrev_b32_e32 v12, 6, v10
	v_lshlrev_b32_e32 v10, 1, v8
	s_add_u32 s16, s22, s30
	v_lshl_or_b32 v18, v12, 7, v10
	v_lshlrev_b32_e32 v10, 1, v5
	s_addc_u32 s17, s23, s31
	v_lshl_or_b32 v4, v4, 3, v10
	s_load_dwordx2 s[16:17], s[16:17], 0x0
	v_add_u32_e32 v19, 0x200, v4
	v_mov_b32_e32 v4, 0x200
	v_lshl_add_u32 v21, v2, 3, v4
	v_mul_lo_u32 v11, s37, v6
	v_mul_lo_u32 v7, s36, v7
	v_mad_u64_u32 v[4:5], s[22:23], s36, v6, 0
	v_add3_u32 v5, v5, v7, v11
	s_lshl_b64 s[22:23], s[38:39], 1
	v_mov_b32_e32 v9, v3
	v_lshl_add_u64 v[4:5], v[4:5], 1, s[22:23]
	v_mov_b32_e32 v11, v3
	s_load_dwordx2 s[14:15], s[14:15], 0x0
	v_lshl_add_u64 v[4:5], v[4:5], 0, v[10:11]
	v_lshl_add_u64 v[6:7], s[2:3], 0, v[8:9]
	s_waitcnt lgkmcnt(0)
	v_lshl_add_u64 v[4:5], s[16:17], 0, v[4:5]
	v_mul_lo_u32 v8, s19, v6
	v_mul_lo_u32 v9, s18, v7
	v_mad_u64_u32 v[6:7], s[16:17], s18, v6, 0
	v_add3_u32 v7, v7, v9, v8
	s_lshl_b64 s[16:17], s[20:21], 1
	v_lshl_add_u64 v[6:7], v[6:7], 1, s[16:17]
	v_lshlrev_b32_e32 v8, 1, v12
	v_mov_b32_e32 v9, v3
	v_lshl_add_u64 v[6:7], v[6:7], 0, v[8:9]
	v_lshlrev_b32_e32 v20, 1, v0
	v_lshl_add_u64 v[6:7], s[14:15], 0, v[6:7]
	s_mov_b64 s[14:15], 0
	s_mov_b32 s16, 0x5040100
	v_mov_b64_e32 v[8:9], s[28:29]
	v_mov_b32_e32 v10, v3
	v_mov_b32_e32 v12, v3
	;; [unrolled: 1-line block ×7, first 2 shown]
.LBB152_2:                              ; =>This Inner Loop Header: Depth=1
	flat_load_ushort v22, v[6:7]
	s_add_u32 s14, s14, 4
	s_addc_u32 s15, s15, 0
	v_cmp_lt_i64_e32 vcc, s[14:15], v[8:9]
	v_lshl_add_u64 v[6:7], v[6:7], 0, 8
	s_and_b64 vcc, exec, vcc
	s_waitcnt vmcnt(0) lgkmcnt(0)
	ds_write_b16 v18, v22
	flat_load_ushort v22, v[4:5]
	v_lshl_add_u64 v[4:5], v[4:5], 0, 8
	s_waitcnt vmcnt(0) lgkmcnt(0)
	ds_write_b16 v19, v22
	s_waitcnt lgkmcnt(0)
	s_barrier
	ds_read2_b64 v[22:25], v21 offset1:16
	ds_read2_b64 v[26:29], v21 offset0:32 offset1:48
	ds_read_u16 v30, v20
	ds_read_u16 v31, v20 offset:32
	ds_read_u16 v32, v20 offset:64
	ds_read_u16 v33, v20 offset:96
	ds_read_u16 v34, v20 offset:128
	ds_read_u16 v35, v20 offset:160
	ds_read_u16 v36, v20 offset:192
	ds_read_u16 v37, v20 offset:224
	ds_read_u16 v38, v20 offset:256
	ds_read_u16 v39, v20 offset:288
	ds_read_u16 v40, v20 offset:320
	ds_read_u16 v41, v20 offset:352
	ds_read_u16 v42, v20 offset:384
	ds_read_u16 v43, v20 offset:416
	ds_read_u16 v44, v20 offset:448
	ds_read_u16 v45, v20 offset:480
	s_waitcnt lgkmcnt(14)
	v_perm_b32 v30, v30, v31, s16
	s_waitcnt lgkmcnt(12)
	v_perm_b32 v32, v32, v33, s16
	;; [unrolled: 2-line block ×4, first 2 shown]
	v_pk_fma_f16 v17, v30, v22, v17 op_sel_hi:[1,0,1]
	v_pk_fma_f16 v16, v32, v22, v16 op_sel_hi:[1,0,1]
	;; [unrolled: 1-line block ×8, first 2 shown]
	s_waitcnt lgkmcnt(6)
	v_perm_b32 v34, v38, v39, s16
	s_waitcnt lgkmcnt(4)
	v_perm_b32 v36, v40, v41, s16
	v_pk_fma_f16 v17, v31, v22, v17 op_sel:[0,1,0]
	v_pk_fma_f16 v16, v33, v22, v16 op_sel:[0,1,0]
	;; [unrolled: 1-line block ×8, first 2 shown]
	s_waitcnt lgkmcnt(2)
	v_perm_b32 v35, v42, v43, s16
	s_waitcnt lgkmcnt(0)
	v_perm_b32 v37, v44, v45, s16
	v_pk_fma_f16 v17, v34, v23, v17 op_sel_hi:[1,0,1]
	v_pk_fma_f16 v16, v36, v23, v16 op_sel_hi:[1,0,1]
	;; [unrolled: 1-line block ×8, first 2 shown]
	v_pk_fma_f16 v17, v35, v23, v17 op_sel:[0,1,0]
	v_pk_fma_f16 v16, v37, v23, v16 op_sel:[0,1,0]
	;; [unrolled: 1-line block ×8, first 2 shown]
	s_barrier
	s_cbranch_vccnz .LBB152_2
	s_branch .LBB152_4
.LBB152_3:
	v_mov_b32_e32 v17, v3
	v_mov_b32_e32 v16, v3
	;; [unrolled: 1-line block ×8, first 2 shown]
.LBB152_4:
	s_load_dword s14, s[0:1], 0x18
	s_load_dword s15, s[0:1], 0x50
	s_lshl_b64 s[0:1], s[26:27], 1
	s_waitcnt lgkmcnt(0)
	s_add_u32 s0, s6, s0
	s_addc_u32 s1, s7, s1
	v_lshl_add_u64 v[2:3], s[8:9], 0, v[2:3]
	v_cmp_neq_f16_e64 s[6:7], s15, 0
	v_lshl_add_u64 v[0:1], s[2:3], 0, v[0:1]
	s_and_b64 vcc, exec, s[6:7]
	v_mul_lo_u32 v20, v3, s24
	v_mul_lo_u32 v21, v2, s25
	v_lshrrev_b32_e32 v19, 16, v17
	v_lshlrev_b64 v[0:1], 1, v[0:1]
	v_lshrrev_b32_e32 v18, 16, v16
	v_lshrrev_b32_e32 v9, 16, v15
	;; [unrolled: 1-line block ×7, first 2 shown]
	s_cbranch_vccnz .LBB152_8
; %bb.5:
	v_mad_u64_u32 v[22:23], s[2:3], v2, s24, 0
	v_add3_u32 v23, v23, v21, v20
	v_lshl_add_u64 v[22:23], v[22:23], 1, s[0:1]
	v_mul_f16_sdwa v26, s14, v17 dst_sel:DWORD dst_unused:UNUSED_PAD src0_sel:DWORD src1_sel:WORD_1
	v_lshl_add_u64 v[24:25], v[22:23], 0, v[0:1]
	flat_store_short v[24:25], v26
	v_mul_f16_e32 v26, s14, v17
	flat_store_short v[24:25], v26 offset:32
	v_mul_f16_sdwa v26, s14, v16 dst_sel:DWORD dst_unused:UNUSED_PAD src0_sel:DWORD src1_sel:WORD_1
	s_lshl_b64 s[2:3], s[24:25], 5
	flat_store_short v[24:25], v26 offset:64
	v_mul_f16_e32 v26, s14, v16
	v_lshl_add_u64 v[22:23], v[22:23], 0, s[2:3]
	flat_store_short v[24:25], v26 offset:96
	v_mul_f16_sdwa v26, s14, v15 dst_sel:DWORD dst_unused:UNUSED_PAD src0_sel:DWORD src1_sel:WORD_1
	v_lshl_add_u64 v[24:25], v[22:23], 0, v[0:1]
	flat_store_short v[24:25], v26
	v_mul_f16_e32 v26, s14, v15
	flat_store_short v[24:25], v26 offset:32
	v_mul_f16_sdwa v26, s14, v14 dst_sel:DWORD dst_unused:UNUSED_PAD src0_sel:DWORD src1_sel:WORD_1
	flat_store_short v[24:25], v26 offset:64
	v_mul_f16_e32 v26, s14, v14
	v_lshl_add_u64 v[22:23], v[22:23], 0, s[2:3]
	flat_store_short v[24:25], v26 offset:96
	v_mul_f16_sdwa v26, s14, v13 dst_sel:DWORD dst_unused:UNUSED_PAD src0_sel:DWORD src1_sel:WORD_1
	v_lshl_add_u64 v[24:25], v[22:23], 0, v[0:1]
	flat_store_short v[24:25], v26
	v_mul_f16_e32 v26, s14, v13
	flat_store_short v[24:25], v26 offset:32
	v_mul_f16_sdwa v26, s14, v12 dst_sel:DWORD dst_unused:UNUSED_PAD src0_sel:DWORD src1_sel:WORD_1
	;; [unrolled: 10-line block ×3, first 2 shown]
	flat_store_short v[22:23], v24 offset:64
	v_mul_f16_e32 v24, s14, v10
	flat_store_short v[22:23], v24 offset:96
	s_cbranch_execnz .LBB152_7
.LBB152_6:
	s_lshl_b64 s[2:3], s[12:13], 1
	s_add_u32 s2, s4, s2
	s_addc_u32 s3, s5, s3
	v_mul_lo_u32 v3, v3, s10
	v_mul_lo_u32 v24, v2, s11
	v_mad_u64_u32 v[22:23], s[4:5], v2, s10, 0
	v_add3_u32 v23, v23, v24, v3
	v_lshl_add_u64 v[22:23], v[22:23], 1, s[2:3]
	v_lshl_add_u64 v[24:25], v[22:23], 0, v[0:1]
	flat_load_ushort v26, v[24:25]
	v_mad_u64_u32 v[2:3], s[2:3], v2, s24, 0
	v_add3_u32 v3, v3, v21, v20
	v_lshl_add_u64 v[2:3], v[2:3], 1, s[0:1]
	v_lshl_add_u64 v[20:21], v[2:3], 0, v[0:1]
	s_lshl_b64 s[0:1], s[10:11], 5
	s_lshl_b64 s[2:3], s[24:25], 5
	v_lshl_add_u64 v[2:3], v[2:3], 0, s[2:3]
	s_waitcnt vmcnt(0) lgkmcnt(0)
	v_mul_f16_e32 v26, s15, v26
	v_fma_f16 v19, s14, v19, v26
	flat_store_short v[20:21], v19
	flat_load_ushort v19, v[24:25] offset:32
	s_waitcnt vmcnt(0) lgkmcnt(0)
	v_mul_f16_e32 v19, s15, v19
	v_fma_f16 v17, s14, v17, v19
	flat_store_short v[20:21], v17 offset:32
	flat_load_ushort v17, v[24:25] offset:64
	s_waitcnt vmcnt(0) lgkmcnt(0)
	v_mul_f16_e32 v17, s15, v17
	v_fma_f16 v17, s14, v18, v17
	flat_store_short v[20:21], v17 offset:64
	flat_load_ushort v17, v[24:25] offset:96
	v_lshl_add_u64 v[18:19], v[22:23], 0, s[0:1]
	v_lshl_add_u64 v[22:23], v[18:19], 0, v[0:1]
	s_waitcnt vmcnt(0) lgkmcnt(0)
	v_mul_f16_e32 v17, s15, v17
	v_fma_f16 v16, s14, v16, v17
	flat_store_short v[20:21], v16 offset:96
	flat_load_ushort v20, v[22:23]
	v_lshl_add_u64 v[16:17], v[2:3], 0, v[0:1]
	v_lshl_add_u64 v[2:3], v[2:3], 0, s[2:3]
	s_waitcnt vmcnt(0) lgkmcnt(0)
	v_mul_f16_e32 v20, s15, v20
	v_fma_f16 v9, s14, v9, v20
	flat_store_short v[16:17], v9
	flat_load_ushort v9, v[22:23] offset:32
	s_waitcnt vmcnt(0) lgkmcnt(0)
	v_mul_f16_e32 v9, s15, v9
	v_fma_f16 v9, s14, v15, v9
	flat_store_short v[16:17], v9 offset:32
	flat_load_ushort v9, v[22:23] offset:64
	s_waitcnt vmcnt(0) lgkmcnt(0)
	v_mul_f16_e32 v9, s15, v9
	v_fma_f16 v8, s14, v8, v9
	flat_store_short v[16:17], v8 offset:64
	flat_load_ushort v15, v[22:23] offset:96
	v_lshl_add_u64 v[8:9], v[18:19], 0, s[0:1]
	v_lshl_add_u64 v[18:19], v[8:9], 0, v[0:1]
	s_waitcnt vmcnt(0) lgkmcnt(0)
	v_mul_f16_e32 v15, s15, v15
	v_fma_f16 v14, s14, v14, v15
	flat_store_short v[16:17], v14 offset:96
	flat_load_ushort v16, v[18:19]
	v_lshl_add_u64 v[14:15], v[2:3], 0, v[0:1]
	v_lshl_add_u64 v[2:3], v[2:3], 0, s[2:3]
	s_waitcnt vmcnt(0) lgkmcnt(0)
	v_mul_f16_e32 v16, s15, v16
	v_fma_f16 v7, s14, v7, v16
	flat_store_short v[14:15], v7
	flat_load_ushort v7, v[18:19] offset:32
	s_waitcnt vmcnt(0) lgkmcnt(0)
	v_mul_f16_e32 v7, s15, v7
	v_fma_f16 v7, s14, v13, v7
	flat_store_short v[14:15], v7 offset:32
	flat_load_ushort v7, v[18:19] offset:64
	s_waitcnt vmcnt(0) lgkmcnt(0)
	v_mul_f16_e32 v7, s15, v7
	v_fma_f16 v6, s14, v6, v7
	flat_store_short v[14:15], v6 offset:64
	flat_load_ushort v13, v[18:19] offset:96
	v_lshl_add_u64 v[6:7], v[8:9], 0, s[0:1]
	v_lshl_add_u64 v[6:7], v[6:7], 0, v[0:1]
	;; [unrolled: 1-line block ×3, first 2 shown]
	s_waitcnt vmcnt(0) lgkmcnt(0)
	v_mul_f16_e32 v8, s15, v13
	v_fma_f16 v8, s14, v12, v8
	flat_store_short v[14:15], v8 offset:96
	flat_load_ushort v8, v[6:7]
	s_waitcnt vmcnt(0) lgkmcnt(0)
	v_mul_f16_e32 v8, s15, v8
	v_fma_f16 v5, s14, v5, v8
	flat_store_short v[0:1], v5
	flat_load_ushort v2, v[6:7] offset:32
	s_waitcnt vmcnt(0) lgkmcnt(0)
	v_mul_f16_e32 v2, s15, v2
	v_fma_f16 v2, s14, v11, v2
	flat_store_short v[0:1], v2 offset:32
	flat_load_ushort v2, v[6:7] offset:64
	s_waitcnt vmcnt(0) lgkmcnt(0)
	v_mul_f16_e32 v2, s15, v2
	v_fma_f16 v2, s14, v4, v2
	flat_store_short v[0:1], v2 offset:64
	;; [unrolled: 5-line block ×3, first 2 shown]
.LBB152_7:
	s_endpgm
.LBB152_8:
	s_branch .LBB152_6
	.section	.rodata,"a",@progbits
	.p2align	6, 0x0
	.amdhsa_kernel _ZN12_GLOBAL__N_127rocblas_gemm_batched_kernelIDF16_Li16ELi16ELi64ELi64ELi4ELi64ELi4ELi4ELi64ELc67ELc78EKPKDF16_S3_KPDF16_EEvlllT_PT11_llS8_llS6_PT12_llPT13_lli
		.amdhsa_group_segment_fixed_size 1024
		.amdhsa_private_segment_fixed_size 0
		.amdhsa_kernarg_size 140
		.amdhsa_user_sgpr_count 2
		.amdhsa_user_sgpr_dispatch_ptr 0
		.amdhsa_user_sgpr_queue_ptr 0
		.amdhsa_user_sgpr_kernarg_segment_ptr 1
		.amdhsa_user_sgpr_dispatch_id 0
		.amdhsa_user_sgpr_kernarg_preload_length 0
		.amdhsa_user_sgpr_kernarg_preload_offset 0
		.amdhsa_user_sgpr_private_segment_size 0
		.amdhsa_uses_dynamic_stack 0
		.amdhsa_enable_private_segment 0
		.amdhsa_system_sgpr_workgroup_id_x 1
		.amdhsa_system_sgpr_workgroup_id_y 1
		.amdhsa_system_sgpr_workgroup_id_z 1
		.amdhsa_system_sgpr_workgroup_info 0
		.amdhsa_system_vgpr_workitem_id 1
		.amdhsa_next_free_vgpr 46
		.amdhsa_next_free_sgpr 40
		.amdhsa_accum_offset 48
		.amdhsa_reserve_vcc 1
		.amdhsa_float_round_mode_32 0
		.amdhsa_float_round_mode_16_64 0
		.amdhsa_float_denorm_mode_32 3
		.amdhsa_float_denorm_mode_16_64 3
		.amdhsa_dx10_clamp 1
		.amdhsa_ieee_mode 1
		.amdhsa_fp16_overflow 0
		.amdhsa_tg_split 0
		.amdhsa_exception_fp_ieee_invalid_op 0
		.amdhsa_exception_fp_denorm_src 0
		.amdhsa_exception_fp_ieee_div_zero 0
		.amdhsa_exception_fp_ieee_overflow 0
		.amdhsa_exception_fp_ieee_underflow 0
		.amdhsa_exception_fp_ieee_inexact 0
		.amdhsa_exception_int_div_zero 0
	.end_amdhsa_kernel
	.section	.text._ZN12_GLOBAL__N_127rocblas_gemm_batched_kernelIDF16_Li16ELi16ELi64ELi64ELi4ELi64ELi4ELi4ELi64ELc67ELc78EKPKDF16_S3_KPDF16_EEvlllT_PT11_llS8_llS6_PT12_llPT13_lli,"axG",@progbits,_ZN12_GLOBAL__N_127rocblas_gemm_batched_kernelIDF16_Li16ELi16ELi64ELi64ELi4ELi64ELi4ELi4ELi64ELc67ELc78EKPKDF16_S3_KPDF16_EEvlllT_PT11_llS8_llS6_PT12_llPT13_lli,comdat
.Lfunc_end152:
	.size	_ZN12_GLOBAL__N_127rocblas_gemm_batched_kernelIDF16_Li16ELi16ELi64ELi64ELi4ELi64ELi4ELi4ELi64ELc67ELc78EKPKDF16_S3_KPDF16_EEvlllT_PT11_llS8_llS6_PT12_llPT13_lli, .Lfunc_end152-_ZN12_GLOBAL__N_127rocblas_gemm_batched_kernelIDF16_Li16ELi16ELi64ELi64ELi4ELi64ELi4ELi4ELi64ELc67ELc78EKPKDF16_S3_KPDF16_EEvlllT_PT11_llS8_llS6_PT12_llPT13_lli
                                        ; -- End function
	.set _ZN12_GLOBAL__N_127rocblas_gemm_batched_kernelIDF16_Li16ELi16ELi64ELi64ELi4ELi64ELi4ELi4ELi64ELc67ELc78EKPKDF16_S3_KPDF16_EEvlllT_PT11_llS8_llS6_PT12_llPT13_lli.num_vgpr, 46
	.set _ZN12_GLOBAL__N_127rocblas_gemm_batched_kernelIDF16_Li16ELi16ELi64ELi64ELi4ELi64ELi4ELi4ELi64ELc67ELc78EKPKDF16_S3_KPDF16_EEvlllT_PT11_llS8_llS6_PT12_llPT13_lli.num_agpr, 0
	.set _ZN12_GLOBAL__N_127rocblas_gemm_batched_kernelIDF16_Li16ELi16ELi64ELi64ELi4ELi64ELi4ELi4ELi64ELc67ELc78EKPKDF16_S3_KPDF16_EEvlllT_PT11_llS8_llS6_PT12_llPT13_lli.numbered_sgpr, 40
	.set _ZN12_GLOBAL__N_127rocblas_gemm_batched_kernelIDF16_Li16ELi16ELi64ELi64ELi4ELi64ELi4ELi4ELi64ELc67ELc78EKPKDF16_S3_KPDF16_EEvlllT_PT11_llS8_llS6_PT12_llPT13_lli.num_named_barrier, 0
	.set _ZN12_GLOBAL__N_127rocblas_gemm_batched_kernelIDF16_Li16ELi16ELi64ELi64ELi4ELi64ELi4ELi4ELi64ELc67ELc78EKPKDF16_S3_KPDF16_EEvlllT_PT11_llS8_llS6_PT12_llPT13_lli.private_seg_size, 0
	.set _ZN12_GLOBAL__N_127rocblas_gemm_batched_kernelIDF16_Li16ELi16ELi64ELi64ELi4ELi64ELi4ELi4ELi64ELc67ELc78EKPKDF16_S3_KPDF16_EEvlllT_PT11_llS8_llS6_PT12_llPT13_lli.uses_vcc, 1
	.set _ZN12_GLOBAL__N_127rocblas_gemm_batched_kernelIDF16_Li16ELi16ELi64ELi64ELi4ELi64ELi4ELi4ELi64ELc67ELc78EKPKDF16_S3_KPDF16_EEvlllT_PT11_llS8_llS6_PT12_llPT13_lli.uses_flat_scratch, 0
	.set _ZN12_GLOBAL__N_127rocblas_gemm_batched_kernelIDF16_Li16ELi16ELi64ELi64ELi4ELi64ELi4ELi4ELi64ELc67ELc78EKPKDF16_S3_KPDF16_EEvlllT_PT11_llS8_llS6_PT12_llPT13_lli.has_dyn_sized_stack, 0
	.set _ZN12_GLOBAL__N_127rocblas_gemm_batched_kernelIDF16_Li16ELi16ELi64ELi64ELi4ELi64ELi4ELi4ELi64ELc67ELc78EKPKDF16_S3_KPDF16_EEvlllT_PT11_llS8_llS6_PT12_llPT13_lli.has_recursion, 0
	.set _ZN12_GLOBAL__N_127rocblas_gemm_batched_kernelIDF16_Li16ELi16ELi64ELi64ELi4ELi64ELi4ELi4ELi64ELc67ELc78EKPKDF16_S3_KPDF16_EEvlllT_PT11_llS8_llS6_PT12_llPT13_lli.has_indirect_call, 0
	.section	.AMDGPU.csdata,"",@progbits
; Kernel info:
; codeLenInByte = 2228
; TotalNumSgprs: 46
; NumVgprs: 46
; NumAgprs: 0
; TotalNumVgprs: 46
; ScratchSize: 0
; MemoryBound: 0
; FloatMode: 240
; IeeeMode: 1
; LDSByteSize: 1024 bytes/workgroup (compile time only)
; SGPRBlocks: 5
; VGPRBlocks: 5
; NumSGPRsForWavesPerEU: 46
; NumVGPRsForWavesPerEU: 46
; AccumOffset: 48
; Occupancy: 8
; WaveLimiterHint : 1
; COMPUTE_PGM_RSRC2:SCRATCH_EN: 0
; COMPUTE_PGM_RSRC2:USER_SGPR: 2
; COMPUTE_PGM_RSRC2:TRAP_HANDLER: 0
; COMPUTE_PGM_RSRC2:TGID_X_EN: 1
; COMPUTE_PGM_RSRC2:TGID_Y_EN: 1
; COMPUTE_PGM_RSRC2:TGID_Z_EN: 1
; COMPUTE_PGM_RSRC2:TIDIG_COMP_CNT: 1
; COMPUTE_PGM_RSRC3_GFX90A:ACCUM_OFFSET: 11
; COMPUTE_PGM_RSRC3_GFX90A:TG_SPLIT: 0
	.section	.text._ZN12_GLOBAL__N_127rocblas_gemm_batched_kernelIDF16_Li16ELi16ELi64ELi64ELi4ELi64ELi4ELi4ELi64ELc67ELc84EKPKDF16_S3_KPDF16_EEvlllT_PT11_llS8_llS6_PT12_llPT13_lli,"axG",@progbits,_ZN12_GLOBAL__N_127rocblas_gemm_batched_kernelIDF16_Li16ELi16ELi64ELi64ELi4ELi64ELi4ELi4ELi64ELc67ELc84EKPKDF16_S3_KPDF16_EEvlllT_PT11_llS8_llS6_PT12_llPT13_lli,comdat
	.globl	_ZN12_GLOBAL__N_127rocblas_gemm_batched_kernelIDF16_Li16ELi16ELi64ELi64ELi4ELi64ELi4ELi4ELi64ELc67ELc84EKPKDF16_S3_KPDF16_EEvlllT_PT11_llS8_llS6_PT12_llPT13_lli ; -- Begin function _ZN12_GLOBAL__N_127rocblas_gemm_batched_kernelIDF16_Li16ELi16ELi64ELi64ELi4ELi64ELi4ELi4ELi64ELc67ELc84EKPKDF16_S3_KPDF16_EEvlllT_PT11_llS8_llS6_PT12_llPT13_lli
	.p2align	8
	.type	_ZN12_GLOBAL__N_127rocblas_gemm_batched_kernelIDF16_Li16ELi16ELi64ELi64ELi4ELi64ELi4ELi4ELi64ELc67ELc84EKPKDF16_S3_KPDF16_EEvlllT_PT11_llS8_llS6_PT12_llPT13_lli,@function
_ZN12_GLOBAL__N_127rocblas_gemm_batched_kernelIDF16_Li16ELi16ELi64ELi64ELi4ELi64ELi4ELi4ELi64ELc67ELc84EKPKDF16_S3_KPDF16_EEvlllT_PT11_llS8_llS6_PT12_llPT13_lli: ; @_ZN12_GLOBAL__N_127rocblas_gemm_batched_kernelIDF16_Li16ELi16ELi64ELi64ELi4ELi64ELi4ELi4ELi64ELc67ELc84EKPKDF16_S3_KPDF16_EEvlllT_PT11_llS8_llS6_PT12_llPT13_lli
; %bb.0:
	s_load_dwordx2 s[30:31], s[0:1], 0x10
	s_load_dwordx4 s[24:27], s[0:1], 0x78
	s_load_dwordx8 s[8:15], s[0:1], 0x58
	s_mov_b32 s5, 0
	s_lshl_b64 s[34:35], s[4:5], 3
	s_mov_b32 s6, s3
	v_mov_b32_e32 v3, 0
	s_waitcnt lgkmcnt(0)
	s_add_u32 s4, s8, s34
	s_addc_u32 s5, s9, s35
	s_load_dwordx2 s[8:9], s[4:5], 0x0
	s_add_u32 s4, s14, s34
	s_addc_u32 s5, s15, s35
	s_load_dwordx2 s[14:15], s[4:5], 0x0
	s_ashr_i32 s3, s2, 31
	s_ashr_i32 s7, s6, 31
	v_cmp_lt_i64_e64 s[4:5], s[30:31], 1
	v_bfe_u32 v2, v0, 10, 10
	v_and_b32_e32 v0, 0x3ff, v0
	v_mov_b32_e32 v1, v3
	s_lshl_b64 s[2:3], s[2:3], 6
	s_lshl_b64 s[28:29], s[6:7], 6
	s_and_b64 vcc, exec, s[4:5]
	s_cbranch_vccnz .LBB153_3
; %bb.1:
	s_load_dwordx8 s[16:23], s[0:1], 0x20
	s_load_dwordx4 s[4:7], s[0:1], 0x40
	v_lshl_add_u32 v8, v2, 4, v0
	v_and_b32_e32 v6, 63, v8
	v_lshrrev_b32_e32 v4, 2, v8
	s_waitcnt lgkmcnt(0)
	s_add_u32 s16, s16, s34
	s_addc_u32 s17, s17, s35
	s_add_u32 s22, s22, s34
	s_addc_u32 s23, s23, s35
	v_and_b32_e32 v9, 3, v0
	v_lshrrev_b32_e32 v10, 6, v8
	v_lshlrev_b32_e32 v8, 1, v6
	s_load_dwordx2 s[22:23], s[22:23], 0x0
	v_lshl_or_b32 v18, v10, 7, v8
	v_lshlrev_b32_e32 v8, 1, v9
	v_mov_b32_e32 v5, v3
	v_lshl_or_b32 v8, v4, 3, v8
	v_add_u32_e32 v19, 0x200, v8
	v_mov_b32_e32 v8, 0x200
	v_mad_u64_u32 v[4:5], s[34:35], s4, v9, v[4:5]
	v_lshl_add_u32 v21, v2, 3, v8
	v_mov_b32_e32 v8, v5
	s_lshl_b64 s[6:7], s[6:7], 1
	v_mad_u64_u32 v[8:9], s[34:35], s5, v9, v[8:9]
	v_mov_b32_e32 v7, v3
	v_mov_b32_e32 v5, v8
	s_waitcnt lgkmcnt(0)
	s_add_u32 s6, s22, s6
	s_load_dwordx2 s[16:17], s[16:17], 0x0
	v_lshl_add_u64 v[4:5], v[4:5], 0, s[28:29]
	s_addc_u32 s7, s23, s7
	v_lshl_add_u64 v[6:7], s[2:3], 0, v[6:7]
	v_lshl_add_u64 v[4:5], v[4:5], 1, s[6:7]
	v_mul_lo_u32 v8, s19, v6
	v_mul_lo_u32 v9, s18, v7
	v_mad_u64_u32 v[6:7], s[6:7], s18, v6, 0
	v_add3_u32 v7, v7, v9, v8
	s_lshl_b64 s[6:7], s[20:21], 1
	v_lshl_add_u64 v[6:7], v[6:7], 1, s[6:7]
	v_lshlrev_b32_e32 v8, 1, v10
	v_mov_b32_e32 v9, v3
	v_lshl_add_u64 v[6:7], v[6:7], 0, v[8:9]
	v_lshlrev_b32_e32 v20, 1, v0
	s_lshl_b64 s[4:5], s[4:5], 3
	s_waitcnt lgkmcnt(0)
	v_lshl_add_u64 v[6:7], s[16:17], 0, v[6:7]
	s_mov_b64 s[6:7], 0
	s_mov_b32 s16, 0x5040100
	v_mov_b64_e32 v[8:9], s[30:31]
	v_mov_b32_e32 v10, v3
	v_mov_b32_e32 v11, v3
	;; [unrolled: 1-line block ×8, first 2 shown]
.LBB153_2:                              ; =>This Inner Loop Header: Depth=1
	flat_load_ushort v22, v[6:7]
	s_add_u32 s6, s6, 4
	s_addc_u32 s7, s7, 0
	v_cmp_lt_i64_e32 vcc, s[6:7], v[8:9]
	v_lshl_add_u64 v[6:7], v[6:7], 0, 8
	s_and_b64 vcc, exec, vcc
	s_waitcnt vmcnt(0) lgkmcnt(0)
	ds_write_b16 v18, v22
	flat_load_ushort v22, v[4:5]
	v_lshl_add_u64 v[4:5], v[4:5], 0, s[4:5]
	s_waitcnt vmcnt(0) lgkmcnt(0)
	ds_write_b16 v19, v22
	s_waitcnt lgkmcnt(0)
	s_barrier
	ds_read2_b64 v[22:25], v21 offset1:16
	ds_read2_b64 v[26:29], v21 offset0:32 offset1:48
	ds_read_u16 v30, v20
	ds_read_u16 v31, v20 offset:32
	ds_read_u16 v32, v20 offset:64
	;; [unrolled: 1-line block ×15, first 2 shown]
	s_waitcnt lgkmcnt(14)
	v_perm_b32 v30, v30, v31, s16
	s_waitcnt lgkmcnt(12)
	v_perm_b32 v32, v32, v33, s16
	;; [unrolled: 2-line block ×4, first 2 shown]
	v_pk_fma_f16 v17, v30, v22, v17 op_sel_hi:[1,0,1]
	v_pk_fma_f16 v16, v32, v22, v16 op_sel_hi:[1,0,1]
	v_pk_fma_f16 v15, v30, v24, v15 op_sel_hi:[1,0,1]
	v_pk_fma_f16 v14, v32, v24, v14 op_sel_hi:[1,0,1]
	v_pk_fma_f16 v13, v30, v26, v13 op_sel_hi:[1,0,1]
	v_pk_fma_f16 v12, v32, v26, v12 op_sel_hi:[1,0,1]
	v_pk_fma_f16 v11, v30, v28, v11 op_sel_hi:[1,0,1]
	v_pk_fma_f16 v10, v32, v28, v10 op_sel_hi:[1,0,1]
	s_waitcnt lgkmcnt(6)
	v_perm_b32 v34, v38, v39, s16
	s_waitcnt lgkmcnt(4)
	v_perm_b32 v36, v40, v41, s16
	v_pk_fma_f16 v17, v31, v22, v17 op_sel:[0,1,0]
	v_pk_fma_f16 v16, v33, v22, v16 op_sel:[0,1,0]
	;; [unrolled: 1-line block ×8, first 2 shown]
	s_waitcnt lgkmcnt(2)
	v_perm_b32 v35, v42, v43, s16
	s_waitcnt lgkmcnt(0)
	v_perm_b32 v37, v44, v45, s16
	v_pk_fma_f16 v17, v34, v23, v17 op_sel_hi:[1,0,1]
	v_pk_fma_f16 v16, v36, v23, v16 op_sel_hi:[1,0,1]
	;; [unrolled: 1-line block ×8, first 2 shown]
	v_pk_fma_f16 v17, v35, v23, v17 op_sel:[0,1,0]
	v_pk_fma_f16 v16, v37, v23, v16 op_sel:[0,1,0]
	;; [unrolled: 1-line block ×8, first 2 shown]
	s_barrier
	s_cbranch_vccnz .LBB153_2
	s_branch .LBB153_4
.LBB153_3:
	v_mov_b32_e32 v17, v3
	v_mov_b32_e32 v16, v3
	;; [unrolled: 1-line block ×8, first 2 shown]
.LBB153_4:
	s_load_dword s4, s[0:1], 0x18
	s_load_dword s5, s[0:1], 0x50
	s_lshl_b64 s[0:1], s[26:27], 1
	s_waitcnt lgkmcnt(0)
	s_add_u32 s0, s14, s0
	v_lshl_add_u64 v[2:3], s[28:29], 0, v[2:3]
	v_lshl_add_u64 v[0:1], s[2:3], 0, v[0:1]
	v_cmp_neq_f16_e64 s[6:7], s5, 0
	s_addc_u32 s1, s15, s1
	s_and_b64 vcc, exec, s[6:7]
	v_mul_lo_u32 v20, v3, s24
	v_mul_lo_u32 v21, v2, s25
	v_lshrrev_b32_e32 v19, 16, v17
	v_lshlrev_b64 v[0:1], 1, v[0:1]
	v_lshrrev_b32_e32 v18, 16, v16
	v_lshrrev_b32_e32 v9, 16, v15
	;; [unrolled: 1-line block ×7, first 2 shown]
	s_cbranch_vccnz .LBB153_8
; %bb.5:
	v_mad_u64_u32 v[22:23], s[2:3], v2, s24, 0
	v_add3_u32 v23, v23, v21, v20
	v_lshl_add_u64 v[22:23], v[22:23], 1, s[0:1]
	v_mul_f16_sdwa v26, s4, v17 dst_sel:DWORD dst_unused:UNUSED_PAD src0_sel:DWORD src1_sel:WORD_1
	v_lshl_add_u64 v[24:25], v[22:23], 0, v[0:1]
	flat_store_short v[24:25], v26
	v_mul_f16_e32 v26, s4, v17
	flat_store_short v[24:25], v26 offset:32
	v_mul_f16_sdwa v26, s4, v16 dst_sel:DWORD dst_unused:UNUSED_PAD src0_sel:DWORD src1_sel:WORD_1
	s_lshl_b64 s[2:3], s[24:25], 5
	flat_store_short v[24:25], v26 offset:64
	v_mul_f16_e32 v26, s4, v16
	v_lshl_add_u64 v[22:23], v[22:23], 0, s[2:3]
	flat_store_short v[24:25], v26 offset:96
	v_mul_f16_sdwa v26, s4, v15 dst_sel:DWORD dst_unused:UNUSED_PAD src0_sel:DWORD src1_sel:WORD_1
	v_lshl_add_u64 v[24:25], v[22:23], 0, v[0:1]
	flat_store_short v[24:25], v26
	v_mul_f16_e32 v26, s4, v15
	flat_store_short v[24:25], v26 offset:32
	v_mul_f16_sdwa v26, s4, v14 dst_sel:DWORD dst_unused:UNUSED_PAD src0_sel:DWORD src1_sel:WORD_1
	flat_store_short v[24:25], v26 offset:64
	v_mul_f16_e32 v26, s4, v14
	v_lshl_add_u64 v[22:23], v[22:23], 0, s[2:3]
	flat_store_short v[24:25], v26 offset:96
	v_mul_f16_sdwa v26, s4, v13 dst_sel:DWORD dst_unused:UNUSED_PAD src0_sel:DWORD src1_sel:WORD_1
	v_lshl_add_u64 v[24:25], v[22:23], 0, v[0:1]
	flat_store_short v[24:25], v26
	v_mul_f16_e32 v26, s4, v13
	flat_store_short v[24:25], v26 offset:32
	v_mul_f16_sdwa v26, s4, v12 dst_sel:DWORD dst_unused:UNUSED_PAD src0_sel:DWORD src1_sel:WORD_1
	;; [unrolled: 10-line block ×3, first 2 shown]
	flat_store_short v[22:23], v24 offset:64
	v_mul_f16_e32 v24, s4, v10
	flat_store_short v[22:23], v24 offset:96
	s_cbranch_execnz .LBB153_7
.LBB153_6:
	s_lshl_b64 s[2:3], s[12:13], 1
	s_add_u32 s2, s8, s2
	v_mul_lo_u32 v3, v3, s10
	v_mul_lo_u32 v24, v2, s11
	v_mad_u64_u32 v[22:23], s[6:7], v2, s10, 0
	s_addc_u32 s3, s9, s3
	v_add3_u32 v23, v23, v24, v3
	v_lshl_add_u64 v[22:23], v[22:23], 1, s[2:3]
	v_lshl_add_u64 v[24:25], v[22:23], 0, v[0:1]
	flat_load_ushort v26, v[24:25]
	v_mad_u64_u32 v[2:3], s[2:3], v2, s24, 0
	v_add3_u32 v3, v3, v21, v20
	v_lshl_add_u64 v[2:3], v[2:3], 1, s[0:1]
	v_lshl_add_u64 v[20:21], v[2:3], 0, v[0:1]
	s_lshl_b64 s[0:1], s[10:11], 5
	s_lshl_b64 s[2:3], s[24:25], 5
	v_lshl_add_u64 v[2:3], v[2:3], 0, s[2:3]
	s_waitcnt vmcnt(0) lgkmcnt(0)
	v_mul_f16_e32 v26, s5, v26
	v_fma_f16 v19, s4, v19, v26
	flat_store_short v[20:21], v19
	flat_load_ushort v19, v[24:25] offset:32
	s_waitcnt vmcnt(0) lgkmcnt(0)
	v_mul_f16_e32 v19, s5, v19
	v_fma_f16 v17, s4, v17, v19
	flat_store_short v[20:21], v17 offset:32
	flat_load_ushort v17, v[24:25] offset:64
	s_waitcnt vmcnt(0) lgkmcnt(0)
	v_mul_f16_e32 v17, s5, v17
	v_fma_f16 v17, s4, v18, v17
	flat_store_short v[20:21], v17 offset:64
	flat_load_ushort v17, v[24:25] offset:96
	v_lshl_add_u64 v[18:19], v[22:23], 0, s[0:1]
	v_lshl_add_u64 v[22:23], v[18:19], 0, v[0:1]
	s_waitcnt vmcnt(0) lgkmcnt(0)
	v_mul_f16_e32 v17, s5, v17
	v_fma_f16 v16, s4, v16, v17
	flat_store_short v[20:21], v16 offset:96
	flat_load_ushort v20, v[22:23]
	v_lshl_add_u64 v[16:17], v[2:3], 0, v[0:1]
	v_lshl_add_u64 v[2:3], v[2:3], 0, s[2:3]
	s_waitcnt vmcnt(0) lgkmcnt(0)
	v_mul_f16_e32 v20, s5, v20
	v_fma_f16 v9, s4, v9, v20
	flat_store_short v[16:17], v9
	flat_load_ushort v9, v[22:23] offset:32
	s_waitcnt vmcnt(0) lgkmcnt(0)
	v_mul_f16_e32 v9, s5, v9
	v_fma_f16 v9, s4, v15, v9
	flat_store_short v[16:17], v9 offset:32
	flat_load_ushort v9, v[22:23] offset:64
	s_waitcnt vmcnt(0) lgkmcnt(0)
	v_mul_f16_e32 v9, s5, v9
	v_fma_f16 v8, s4, v8, v9
	flat_store_short v[16:17], v8 offset:64
	flat_load_ushort v15, v[22:23] offset:96
	v_lshl_add_u64 v[8:9], v[18:19], 0, s[0:1]
	v_lshl_add_u64 v[18:19], v[8:9], 0, v[0:1]
	s_waitcnt vmcnt(0) lgkmcnt(0)
	v_mul_f16_e32 v15, s5, v15
	v_fma_f16 v14, s4, v14, v15
	flat_store_short v[16:17], v14 offset:96
	flat_load_ushort v16, v[18:19]
	v_lshl_add_u64 v[14:15], v[2:3], 0, v[0:1]
	v_lshl_add_u64 v[2:3], v[2:3], 0, s[2:3]
	s_waitcnt vmcnt(0) lgkmcnt(0)
	v_mul_f16_e32 v16, s5, v16
	v_fma_f16 v7, s4, v7, v16
	flat_store_short v[14:15], v7
	flat_load_ushort v7, v[18:19] offset:32
	s_waitcnt vmcnt(0) lgkmcnt(0)
	v_mul_f16_e32 v7, s5, v7
	v_fma_f16 v7, s4, v13, v7
	flat_store_short v[14:15], v7 offset:32
	flat_load_ushort v7, v[18:19] offset:64
	s_waitcnt vmcnt(0) lgkmcnt(0)
	v_mul_f16_e32 v7, s5, v7
	v_fma_f16 v6, s4, v6, v7
	flat_store_short v[14:15], v6 offset:64
	flat_load_ushort v13, v[18:19] offset:96
	v_lshl_add_u64 v[6:7], v[8:9], 0, s[0:1]
	v_lshl_add_u64 v[6:7], v[6:7], 0, v[0:1]
	;; [unrolled: 1-line block ×3, first 2 shown]
	s_waitcnt vmcnt(0) lgkmcnt(0)
	v_mul_f16_e32 v8, s5, v13
	v_fma_f16 v8, s4, v12, v8
	flat_store_short v[14:15], v8 offset:96
	flat_load_ushort v8, v[6:7]
	s_waitcnt vmcnt(0) lgkmcnt(0)
	v_mul_f16_e32 v8, s5, v8
	v_fma_f16 v5, s4, v5, v8
	flat_store_short v[0:1], v5
	flat_load_ushort v2, v[6:7] offset:32
	s_waitcnt vmcnt(0) lgkmcnt(0)
	v_mul_f16_e32 v2, s5, v2
	v_fma_f16 v2, s4, v11, v2
	flat_store_short v[0:1], v2 offset:32
	flat_load_ushort v2, v[6:7] offset:64
	s_waitcnt vmcnt(0) lgkmcnt(0)
	v_mul_f16_e32 v2, s5, v2
	v_fma_f16 v2, s4, v4, v2
	flat_store_short v[0:1], v2 offset:64
	;; [unrolled: 5-line block ×3, first 2 shown]
.LBB153_7:
	s_endpgm
.LBB153_8:
	s_branch .LBB153_6
	.section	.rodata,"a",@progbits
	.p2align	6, 0x0
	.amdhsa_kernel _ZN12_GLOBAL__N_127rocblas_gemm_batched_kernelIDF16_Li16ELi16ELi64ELi64ELi4ELi64ELi4ELi4ELi64ELc67ELc84EKPKDF16_S3_KPDF16_EEvlllT_PT11_llS8_llS6_PT12_llPT13_lli
		.amdhsa_group_segment_fixed_size 1024
		.amdhsa_private_segment_fixed_size 0
		.amdhsa_kernarg_size 140
		.amdhsa_user_sgpr_count 2
		.amdhsa_user_sgpr_dispatch_ptr 0
		.amdhsa_user_sgpr_queue_ptr 0
		.amdhsa_user_sgpr_kernarg_segment_ptr 1
		.amdhsa_user_sgpr_dispatch_id 0
		.amdhsa_user_sgpr_kernarg_preload_length 0
		.amdhsa_user_sgpr_kernarg_preload_offset 0
		.amdhsa_user_sgpr_private_segment_size 0
		.amdhsa_uses_dynamic_stack 0
		.amdhsa_enable_private_segment 0
		.amdhsa_system_sgpr_workgroup_id_x 1
		.amdhsa_system_sgpr_workgroup_id_y 1
		.amdhsa_system_sgpr_workgroup_id_z 1
		.amdhsa_system_sgpr_workgroup_info 0
		.amdhsa_system_vgpr_workitem_id 1
		.amdhsa_next_free_vgpr 46
		.amdhsa_next_free_sgpr 36
		.amdhsa_accum_offset 48
		.amdhsa_reserve_vcc 1
		.amdhsa_float_round_mode_32 0
		.amdhsa_float_round_mode_16_64 0
		.amdhsa_float_denorm_mode_32 3
		.amdhsa_float_denorm_mode_16_64 3
		.amdhsa_dx10_clamp 1
		.amdhsa_ieee_mode 1
		.amdhsa_fp16_overflow 0
		.amdhsa_tg_split 0
		.amdhsa_exception_fp_ieee_invalid_op 0
		.amdhsa_exception_fp_denorm_src 0
		.amdhsa_exception_fp_ieee_div_zero 0
		.amdhsa_exception_fp_ieee_overflow 0
		.amdhsa_exception_fp_ieee_underflow 0
		.amdhsa_exception_fp_ieee_inexact 0
		.amdhsa_exception_int_div_zero 0
	.end_amdhsa_kernel
	.section	.text._ZN12_GLOBAL__N_127rocblas_gemm_batched_kernelIDF16_Li16ELi16ELi64ELi64ELi4ELi64ELi4ELi4ELi64ELc67ELc84EKPKDF16_S3_KPDF16_EEvlllT_PT11_llS8_llS6_PT12_llPT13_lli,"axG",@progbits,_ZN12_GLOBAL__N_127rocblas_gemm_batched_kernelIDF16_Li16ELi16ELi64ELi64ELi4ELi64ELi4ELi4ELi64ELc67ELc84EKPKDF16_S3_KPDF16_EEvlllT_PT11_llS8_llS6_PT12_llPT13_lli,comdat
.Lfunc_end153:
	.size	_ZN12_GLOBAL__N_127rocblas_gemm_batched_kernelIDF16_Li16ELi16ELi64ELi64ELi4ELi64ELi4ELi4ELi64ELc67ELc84EKPKDF16_S3_KPDF16_EEvlllT_PT11_llS8_llS6_PT12_llPT13_lli, .Lfunc_end153-_ZN12_GLOBAL__N_127rocblas_gemm_batched_kernelIDF16_Li16ELi16ELi64ELi64ELi4ELi64ELi4ELi4ELi64ELc67ELc84EKPKDF16_S3_KPDF16_EEvlllT_PT11_llS8_llS6_PT12_llPT13_lli
                                        ; -- End function
	.set _ZN12_GLOBAL__N_127rocblas_gemm_batched_kernelIDF16_Li16ELi16ELi64ELi64ELi4ELi64ELi4ELi4ELi64ELc67ELc84EKPKDF16_S3_KPDF16_EEvlllT_PT11_llS8_llS6_PT12_llPT13_lli.num_vgpr, 46
	.set _ZN12_GLOBAL__N_127rocblas_gemm_batched_kernelIDF16_Li16ELi16ELi64ELi64ELi4ELi64ELi4ELi4ELi64ELc67ELc84EKPKDF16_S3_KPDF16_EEvlllT_PT11_llS8_llS6_PT12_llPT13_lli.num_agpr, 0
	.set _ZN12_GLOBAL__N_127rocblas_gemm_batched_kernelIDF16_Li16ELi16ELi64ELi64ELi4ELi64ELi4ELi4ELi64ELc67ELc84EKPKDF16_S3_KPDF16_EEvlllT_PT11_llS8_llS6_PT12_llPT13_lli.numbered_sgpr, 36
	.set _ZN12_GLOBAL__N_127rocblas_gemm_batched_kernelIDF16_Li16ELi16ELi64ELi64ELi4ELi64ELi4ELi4ELi64ELc67ELc84EKPKDF16_S3_KPDF16_EEvlllT_PT11_llS8_llS6_PT12_llPT13_lli.num_named_barrier, 0
	.set _ZN12_GLOBAL__N_127rocblas_gemm_batched_kernelIDF16_Li16ELi16ELi64ELi64ELi4ELi64ELi4ELi4ELi64ELc67ELc84EKPKDF16_S3_KPDF16_EEvlllT_PT11_llS8_llS6_PT12_llPT13_lli.private_seg_size, 0
	.set _ZN12_GLOBAL__N_127rocblas_gemm_batched_kernelIDF16_Li16ELi16ELi64ELi64ELi4ELi64ELi4ELi4ELi64ELc67ELc84EKPKDF16_S3_KPDF16_EEvlllT_PT11_llS8_llS6_PT12_llPT13_lli.uses_vcc, 1
	.set _ZN12_GLOBAL__N_127rocblas_gemm_batched_kernelIDF16_Li16ELi16ELi64ELi64ELi4ELi64ELi4ELi4ELi64ELc67ELc84EKPKDF16_S3_KPDF16_EEvlllT_PT11_llS8_llS6_PT12_llPT13_lli.uses_flat_scratch, 0
	.set _ZN12_GLOBAL__N_127rocblas_gemm_batched_kernelIDF16_Li16ELi16ELi64ELi64ELi4ELi64ELi4ELi4ELi64ELc67ELc84EKPKDF16_S3_KPDF16_EEvlllT_PT11_llS8_llS6_PT12_llPT13_lli.has_dyn_sized_stack, 0
	.set _ZN12_GLOBAL__N_127rocblas_gemm_batched_kernelIDF16_Li16ELi16ELi64ELi64ELi4ELi64ELi4ELi4ELi64ELc67ELc84EKPKDF16_S3_KPDF16_EEvlllT_PT11_llS8_llS6_PT12_llPT13_lli.has_recursion, 0
	.set _ZN12_GLOBAL__N_127rocblas_gemm_batched_kernelIDF16_Li16ELi16ELi64ELi64ELi4ELi64ELi4ELi4ELi64ELc67ELc84EKPKDF16_S3_KPDF16_EEvlllT_PT11_llS8_llS6_PT12_llPT13_lli.has_indirect_call, 0
	.section	.AMDGPU.csdata,"",@progbits
; Kernel info:
; codeLenInByte = 2220
; TotalNumSgprs: 42
; NumVgprs: 46
; NumAgprs: 0
; TotalNumVgprs: 46
; ScratchSize: 0
; MemoryBound: 0
; FloatMode: 240
; IeeeMode: 1
; LDSByteSize: 1024 bytes/workgroup (compile time only)
; SGPRBlocks: 5
; VGPRBlocks: 5
; NumSGPRsForWavesPerEU: 42
; NumVGPRsForWavesPerEU: 46
; AccumOffset: 48
; Occupancy: 8
; WaveLimiterHint : 1
; COMPUTE_PGM_RSRC2:SCRATCH_EN: 0
; COMPUTE_PGM_RSRC2:USER_SGPR: 2
; COMPUTE_PGM_RSRC2:TRAP_HANDLER: 0
; COMPUTE_PGM_RSRC2:TGID_X_EN: 1
; COMPUTE_PGM_RSRC2:TGID_Y_EN: 1
; COMPUTE_PGM_RSRC2:TGID_Z_EN: 1
; COMPUTE_PGM_RSRC2:TIDIG_COMP_CNT: 1
; COMPUTE_PGM_RSRC3_GFX90A:ACCUM_OFFSET: 11
; COMPUTE_PGM_RSRC3_GFX90A:TG_SPLIT: 0
	.section	.text._ZN12_GLOBAL__N_127rocblas_gemm_batched_kernelIDF16_Li16ELi16ELi64ELi64ELi4ELi64ELi4ELi4ELi64ELc78ELc67EKPKDF16_S3_KPDF16_EEvlllT_PT11_llS8_llS6_PT12_llPT13_lli,"axG",@progbits,_ZN12_GLOBAL__N_127rocblas_gemm_batched_kernelIDF16_Li16ELi16ELi64ELi64ELi4ELi64ELi4ELi4ELi64ELc78ELc67EKPKDF16_S3_KPDF16_EEvlllT_PT11_llS8_llS6_PT12_llPT13_lli,comdat
	.globl	_ZN12_GLOBAL__N_127rocblas_gemm_batched_kernelIDF16_Li16ELi16ELi64ELi64ELi4ELi64ELi4ELi4ELi64ELc78ELc67EKPKDF16_S3_KPDF16_EEvlllT_PT11_llS8_llS6_PT12_llPT13_lli ; -- Begin function _ZN12_GLOBAL__N_127rocblas_gemm_batched_kernelIDF16_Li16ELi16ELi64ELi64ELi4ELi64ELi4ELi4ELi64ELc78ELc67EKPKDF16_S3_KPDF16_EEvlllT_PT11_llS8_llS6_PT12_llPT13_lli
	.p2align	8
	.type	_ZN12_GLOBAL__N_127rocblas_gemm_batched_kernelIDF16_Li16ELi16ELi64ELi64ELi4ELi64ELi4ELi4ELi64ELc78ELc67EKPKDF16_S3_KPDF16_EEvlllT_PT11_llS8_llS6_PT12_llPT13_lli,@function
_ZN12_GLOBAL__N_127rocblas_gemm_batched_kernelIDF16_Li16ELi16ELi64ELi64ELi4ELi64ELi4ELi4ELi64ELc78ELc67EKPKDF16_S3_KPDF16_EEvlllT_PT11_llS8_llS6_PT12_llPT13_lli: ; @_ZN12_GLOBAL__N_127rocblas_gemm_batched_kernelIDF16_Li16ELi16ELi64ELi64ELi4ELi64ELi4ELi4ELi64ELc78ELc67EKPKDF16_S3_KPDF16_EEvlllT_PT11_llS8_llS6_PT12_llPT13_lli
; %bb.0:
	s_load_dwordx2 s[30:31], s[0:1], 0x10
	s_load_dwordx4 s[24:27], s[0:1], 0x78
	s_load_dwordx8 s[8:15], s[0:1], 0x58
	s_mov_b32 s5, 0
	s_lshl_b64 s[34:35], s[4:5], 3
	s_mov_b32 s6, s3
	v_mov_b32_e32 v3, 0
	s_waitcnt lgkmcnt(0)
	s_add_u32 s4, s8, s34
	s_addc_u32 s5, s9, s35
	s_load_dwordx2 s[8:9], s[4:5], 0x0
	s_add_u32 s4, s14, s34
	s_addc_u32 s5, s15, s35
	s_load_dwordx2 s[14:15], s[4:5], 0x0
	s_ashr_i32 s3, s2, 31
	s_ashr_i32 s7, s6, 31
	v_cmp_lt_i64_e64 s[4:5], s[30:31], 1
	v_bfe_u32 v2, v0, 10, 10
	v_and_b32_e32 v0, 0x3ff, v0
	v_mov_b32_e32 v1, v3
	s_lshl_b64 s[2:3], s[2:3], 6
	s_lshl_b64 s[28:29], s[6:7], 6
	s_and_b64 vcc, exec, s[4:5]
	s_cbranch_vccnz .LBB154_3
; %bb.1:
	s_load_dwordx8 s[16:23], s[0:1], 0x20
	s_load_dwordx4 s[4:7], s[0:1], 0x40
	v_lshl_add_u32 v8, v2, 4, v0
	v_and_b32_e32 v6, 63, v8
	v_lshrrev_b32_e32 v4, 2, v8
	s_waitcnt lgkmcnt(0)
	s_add_u32 s16, s16, s34
	s_addc_u32 s17, s17, s35
	s_add_u32 s22, s22, s34
	s_addc_u32 s23, s23, s35
	v_and_b32_e32 v9, 3, v0
	v_lshrrev_b32_e32 v11, 6, v8
	v_lshlrev_b32_e32 v8, 1, v6
	s_load_dwordx2 s[22:23], s[22:23], 0x0
	v_lshl_or_b32 v18, v11, 7, v8
	v_lshlrev_b32_e32 v8, 1, v9
	v_mov_b32_e32 v5, v3
	v_lshl_or_b32 v8, v4, 3, v8
	v_add_u32_e32 v19, 0x200, v8
	v_mov_b32_e32 v8, 0x200
	v_mad_u64_u32 v[4:5], s[34:35], s4, v9, v[4:5]
	v_lshl_add_u32 v21, v2, 3, v8
	v_mov_b32_e32 v8, v5
	s_lshl_b64 s[6:7], s[6:7], 1
	v_mad_u64_u32 v[8:9], s[34:35], s5, v9, v[8:9]
	s_load_dwordx2 s[16:17], s[16:17], 0x0
	v_mov_b32_e32 v5, v8
	s_waitcnt lgkmcnt(0)
	s_add_u32 s6, s22, s6
	v_lshl_add_u64 v[4:5], v[4:5], 0, s[28:29]
	s_addc_u32 s7, s23, s7
	v_mov_b64_e32 v[8:9], s[2:3]
	v_lshl_add_u64 v[4:5], v[4:5], 1, s[6:7]
	s_lshl_b64 s[6:7], s[20:21], 1
	v_mad_u64_u32 v[8:9], s[20:21], s18, v11, v[8:9]
	v_mov_b32_e32 v10, v9
	s_lshl_b64 s[4:5], s[4:5], 3
	v_mad_u64_u32 v[10:11], s[20:21], s19, v11, v[10:11]
	v_mov_b32_e32 v7, v3
	v_mov_b32_e32 v9, v10
	s_add_u32 s6, s16, s6
	v_lshl_add_u64 v[6:7], v[8:9], 0, v[6:7]
	s_addc_u32 s7, s17, s7
	v_lshlrev_b32_e32 v20, 1, v0
	v_lshl_add_u64 v[6:7], v[6:7], 1, s[6:7]
	s_lshl_b64 s[6:7], s[18:19], 3
	s_mov_b64 s[16:17], 0
	s_mov_b32 s18, 0x5040100
	v_mov_b64_e32 v[8:9], s[30:31]
	v_mov_b32_e32 v10, v3
	v_mov_b32_e32 v11, v3
	;; [unrolled: 1-line block ×8, first 2 shown]
.LBB154_2:                              ; =>This Inner Loop Header: Depth=1
	flat_load_ushort v22, v[6:7]
	s_add_u32 s16, s16, 4
	s_addc_u32 s17, s17, 0
	v_cmp_lt_i64_e32 vcc, s[16:17], v[8:9]
	v_lshl_add_u64 v[6:7], v[6:7], 0, s[6:7]
	s_and_b64 vcc, exec, vcc
	s_waitcnt vmcnt(0) lgkmcnt(0)
	ds_write_b16 v18, v22
	flat_load_ushort v22, v[4:5]
	v_lshl_add_u64 v[4:5], v[4:5], 0, s[4:5]
	s_waitcnt vmcnt(0) lgkmcnt(0)
	ds_write_b16 v19, v22
	s_waitcnt lgkmcnt(0)
	s_barrier
	ds_read2_b64 v[22:25], v21 offset1:16
	ds_read2_b64 v[26:29], v21 offset0:32 offset1:48
	ds_read_u16 v30, v20
	ds_read_u16 v31, v20 offset:32
	ds_read_u16 v32, v20 offset:64
	;; [unrolled: 1-line block ×15, first 2 shown]
	s_waitcnt lgkmcnt(14)
	v_perm_b32 v30, v30, v31, s18
	s_waitcnt lgkmcnt(12)
	v_perm_b32 v32, v32, v33, s18
	;; [unrolled: 2-line block ×4, first 2 shown]
	v_pk_fma_f16 v17, v30, v22, v17 op_sel_hi:[1,0,1]
	v_pk_fma_f16 v16, v32, v22, v16 op_sel_hi:[1,0,1]
	v_pk_fma_f16 v15, v30, v24, v15 op_sel_hi:[1,0,1]
	v_pk_fma_f16 v14, v32, v24, v14 op_sel_hi:[1,0,1]
	v_pk_fma_f16 v13, v30, v26, v13 op_sel_hi:[1,0,1]
	v_pk_fma_f16 v12, v32, v26, v12 op_sel_hi:[1,0,1]
	v_pk_fma_f16 v11, v30, v28, v11 op_sel_hi:[1,0,1]
	v_pk_fma_f16 v10, v32, v28, v10 op_sel_hi:[1,0,1]
	s_waitcnt lgkmcnt(6)
	v_perm_b32 v34, v38, v39, s18
	s_waitcnt lgkmcnt(4)
	v_perm_b32 v36, v40, v41, s18
	v_pk_fma_f16 v17, v31, v22, v17 op_sel:[0,1,0]
	v_pk_fma_f16 v16, v33, v22, v16 op_sel:[0,1,0]
	v_pk_fma_f16 v15, v31, v24, v15 op_sel:[0,1,0]
	v_pk_fma_f16 v14, v33, v24, v14 op_sel:[0,1,0]
	v_pk_fma_f16 v13, v31, v26, v13 op_sel:[0,1,0]
	v_pk_fma_f16 v12, v33, v26, v12 op_sel:[0,1,0]
	v_pk_fma_f16 v11, v31, v28, v11 op_sel:[0,1,0]
	v_pk_fma_f16 v10, v33, v28, v10 op_sel:[0,1,0]
	s_waitcnt lgkmcnt(2)
	v_perm_b32 v35, v42, v43, s18
	s_waitcnt lgkmcnt(0)
	v_perm_b32 v37, v44, v45, s18
	v_pk_fma_f16 v17, v34, v23, v17 op_sel_hi:[1,0,1]
	v_pk_fma_f16 v16, v36, v23, v16 op_sel_hi:[1,0,1]
	;; [unrolled: 1-line block ×8, first 2 shown]
	v_pk_fma_f16 v17, v35, v23, v17 op_sel:[0,1,0]
	v_pk_fma_f16 v16, v37, v23, v16 op_sel:[0,1,0]
	;; [unrolled: 1-line block ×8, first 2 shown]
	s_barrier
	s_cbranch_vccnz .LBB154_2
	s_branch .LBB154_4
.LBB154_3:
	v_mov_b32_e32 v17, v3
	v_mov_b32_e32 v16, v3
	;; [unrolled: 1-line block ×8, first 2 shown]
.LBB154_4:
	s_load_dword s4, s[0:1], 0x18
	s_load_dword s5, s[0:1], 0x50
	s_lshl_b64 s[0:1], s[26:27], 1
	s_waitcnt lgkmcnt(0)
	s_add_u32 s0, s14, s0
	v_lshl_add_u64 v[2:3], s[28:29], 0, v[2:3]
	v_lshl_add_u64 v[0:1], s[2:3], 0, v[0:1]
	v_cmp_neq_f16_e64 s[6:7], s5, 0
	s_addc_u32 s1, s15, s1
	s_and_b64 vcc, exec, s[6:7]
	v_mul_lo_u32 v20, v3, s24
	v_mul_lo_u32 v21, v2, s25
	v_lshrrev_b32_e32 v19, 16, v17
	v_lshlrev_b64 v[0:1], 1, v[0:1]
	v_lshrrev_b32_e32 v18, 16, v16
	v_lshrrev_b32_e32 v9, 16, v15
	;; [unrolled: 1-line block ×7, first 2 shown]
	s_cbranch_vccnz .LBB154_8
; %bb.5:
	v_mad_u64_u32 v[22:23], s[2:3], v2, s24, 0
	v_add3_u32 v23, v23, v21, v20
	v_lshl_add_u64 v[22:23], v[22:23], 1, s[0:1]
	v_mul_f16_sdwa v26, s4, v17 dst_sel:DWORD dst_unused:UNUSED_PAD src0_sel:DWORD src1_sel:WORD_1
	v_lshl_add_u64 v[24:25], v[22:23], 0, v[0:1]
	flat_store_short v[24:25], v26
	v_mul_f16_e32 v26, s4, v17
	flat_store_short v[24:25], v26 offset:32
	v_mul_f16_sdwa v26, s4, v16 dst_sel:DWORD dst_unused:UNUSED_PAD src0_sel:DWORD src1_sel:WORD_1
	s_lshl_b64 s[2:3], s[24:25], 5
	flat_store_short v[24:25], v26 offset:64
	v_mul_f16_e32 v26, s4, v16
	v_lshl_add_u64 v[22:23], v[22:23], 0, s[2:3]
	flat_store_short v[24:25], v26 offset:96
	v_mul_f16_sdwa v26, s4, v15 dst_sel:DWORD dst_unused:UNUSED_PAD src0_sel:DWORD src1_sel:WORD_1
	v_lshl_add_u64 v[24:25], v[22:23], 0, v[0:1]
	flat_store_short v[24:25], v26
	v_mul_f16_e32 v26, s4, v15
	flat_store_short v[24:25], v26 offset:32
	v_mul_f16_sdwa v26, s4, v14 dst_sel:DWORD dst_unused:UNUSED_PAD src0_sel:DWORD src1_sel:WORD_1
	flat_store_short v[24:25], v26 offset:64
	v_mul_f16_e32 v26, s4, v14
	v_lshl_add_u64 v[22:23], v[22:23], 0, s[2:3]
	flat_store_short v[24:25], v26 offset:96
	v_mul_f16_sdwa v26, s4, v13 dst_sel:DWORD dst_unused:UNUSED_PAD src0_sel:DWORD src1_sel:WORD_1
	v_lshl_add_u64 v[24:25], v[22:23], 0, v[0:1]
	flat_store_short v[24:25], v26
	v_mul_f16_e32 v26, s4, v13
	flat_store_short v[24:25], v26 offset:32
	v_mul_f16_sdwa v26, s4, v12 dst_sel:DWORD dst_unused:UNUSED_PAD src0_sel:DWORD src1_sel:WORD_1
	;; [unrolled: 10-line block ×3, first 2 shown]
	flat_store_short v[22:23], v24 offset:64
	v_mul_f16_e32 v24, s4, v10
	flat_store_short v[22:23], v24 offset:96
	s_cbranch_execnz .LBB154_7
.LBB154_6:
	s_lshl_b64 s[2:3], s[12:13], 1
	s_add_u32 s2, s8, s2
	v_mul_lo_u32 v3, v3, s10
	v_mul_lo_u32 v24, v2, s11
	v_mad_u64_u32 v[22:23], s[6:7], v2, s10, 0
	s_addc_u32 s3, s9, s3
	v_add3_u32 v23, v23, v24, v3
	v_lshl_add_u64 v[22:23], v[22:23], 1, s[2:3]
	v_lshl_add_u64 v[24:25], v[22:23], 0, v[0:1]
	flat_load_ushort v26, v[24:25]
	v_mad_u64_u32 v[2:3], s[2:3], v2, s24, 0
	v_add3_u32 v3, v3, v21, v20
	v_lshl_add_u64 v[2:3], v[2:3], 1, s[0:1]
	v_lshl_add_u64 v[20:21], v[2:3], 0, v[0:1]
	s_lshl_b64 s[0:1], s[10:11], 5
	s_lshl_b64 s[2:3], s[24:25], 5
	v_lshl_add_u64 v[2:3], v[2:3], 0, s[2:3]
	s_waitcnt vmcnt(0) lgkmcnt(0)
	v_mul_f16_e32 v26, s5, v26
	v_fma_f16 v19, s4, v19, v26
	flat_store_short v[20:21], v19
	flat_load_ushort v19, v[24:25] offset:32
	s_waitcnt vmcnt(0) lgkmcnt(0)
	v_mul_f16_e32 v19, s5, v19
	v_fma_f16 v17, s4, v17, v19
	flat_store_short v[20:21], v17 offset:32
	flat_load_ushort v17, v[24:25] offset:64
	s_waitcnt vmcnt(0) lgkmcnt(0)
	v_mul_f16_e32 v17, s5, v17
	v_fma_f16 v17, s4, v18, v17
	flat_store_short v[20:21], v17 offset:64
	flat_load_ushort v17, v[24:25] offset:96
	v_lshl_add_u64 v[18:19], v[22:23], 0, s[0:1]
	v_lshl_add_u64 v[22:23], v[18:19], 0, v[0:1]
	s_waitcnt vmcnt(0) lgkmcnt(0)
	v_mul_f16_e32 v17, s5, v17
	v_fma_f16 v16, s4, v16, v17
	flat_store_short v[20:21], v16 offset:96
	flat_load_ushort v20, v[22:23]
	v_lshl_add_u64 v[16:17], v[2:3], 0, v[0:1]
	v_lshl_add_u64 v[2:3], v[2:3], 0, s[2:3]
	s_waitcnt vmcnt(0) lgkmcnt(0)
	v_mul_f16_e32 v20, s5, v20
	v_fma_f16 v9, s4, v9, v20
	flat_store_short v[16:17], v9
	flat_load_ushort v9, v[22:23] offset:32
	s_waitcnt vmcnt(0) lgkmcnt(0)
	v_mul_f16_e32 v9, s5, v9
	v_fma_f16 v9, s4, v15, v9
	flat_store_short v[16:17], v9 offset:32
	flat_load_ushort v9, v[22:23] offset:64
	s_waitcnt vmcnt(0) lgkmcnt(0)
	v_mul_f16_e32 v9, s5, v9
	v_fma_f16 v8, s4, v8, v9
	flat_store_short v[16:17], v8 offset:64
	flat_load_ushort v15, v[22:23] offset:96
	v_lshl_add_u64 v[8:9], v[18:19], 0, s[0:1]
	v_lshl_add_u64 v[18:19], v[8:9], 0, v[0:1]
	s_waitcnt vmcnt(0) lgkmcnt(0)
	v_mul_f16_e32 v15, s5, v15
	v_fma_f16 v14, s4, v14, v15
	flat_store_short v[16:17], v14 offset:96
	flat_load_ushort v16, v[18:19]
	v_lshl_add_u64 v[14:15], v[2:3], 0, v[0:1]
	v_lshl_add_u64 v[2:3], v[2:3], 0, s[2:3]
	s_waitcnt vmcnt(0) lgkmcnt(0)
	v_mul_f16_e32 v16, s5, v16
	v_fma_f16 v7, s4, v7, v16
	flat_store_short v[14:15], v7
	flat_load_ushort v7, v[18:19] offset:32
	s_waitcnt vmcnt(0) lgkmcnt(0)
	v_mul_f16_e32 v7, s5, v7
	v_fma_f16 v7, s4, v13, v7
	flat_store_short v[14:15], v7 offset:32
	flat_load_ushort v7, v[18:19] offset:64
	s_waitcnt vmcnt(0) lgkmcnt(0)
	v_mul_f16_e32 v7, s5, v7
	v_fma_f16 v6, s4, v6, v7
	flat_store_short v[14:15], v6 offset:64
	flat_load_ushort v13, v[18:19] offset:96
	v_lshl_add_u64 v[6:7], v[8:9], 0, s[0:1]
	v_lshl_add_u64 v[6:7], v[6:7], 0, v[0:1]
	;; [unrolled: 1-line block ×3, first 2 shown]
	s_waitcnt vmcnt(0) lgkmcnt(0)
	v_mul_f16_e32 v8, s5, v13
	v_fma_f16 v8, s4, v12, v8
	flat_store_short v[14:15], v8 offset:96
	flat_load_ushort v8, v[6:7]
	s_waitcnt vmcnt(0) lgkmcnt(0)
	v_mul_f16_e32 v8, s5, v8
	v_fma_f16 v5, s4, v5, v8
	flat_store_short v[0:1], v5
	flat_load_ushort v2, v[6:7] offset:32
	s_waitcnt vmcnt(0) lgkmcnt(0)
	v_mul_f16_e32 v2, s5, v2
	v_fma_f16 v2, s4, v11, v2
	flat_store_short v[0:1], v2 offset:32
	flat_load_ushort v2, v[6:7] offset:64
	s_waitcnt vmcnt(0) lgkmcnt(0)
	v_mul_f16_e32 v2, s5, v2
	v_fma_f16 v2, s4, v4, v2
	flat_store_short v[0:1], v2 offset:64
	flat_load_ushort v2, v[6:7] offset:96
	s_waitcnt vmcnt(0) lgkmcnt(0)
	v_mul_f16_e32 v2, s5, v2
	v_fma_f16 v2, s4, v10, v2
	flat_store_short v[0:1], v2 offset:96
.LBB154_7:
	s_endpgm
.LBB154_8:
	s_branch .LBB154_6
	.section	.rodata,"a",@progbits
	.p2align	6, 0x0
	.amdhsa_kernel _ZN12_GLOBAL__N_127rocblas_gemm_batched_kernelIDF16_Li16ELi16ELi64ELi64ELi4ELi64ELi4ELi4ELi64ELc78ELc67EKPKDF16_S3_KPDF16_EEvlllT_PT11_llS8_llS6_PT12_llPT13_lli
		.amdhsa_group_segment_fixed_size 1024
		.amdhsa_private_segment_fixed_size 0
		.amdhsa_kernarg_size 140
		.amdhsa_user_sgpr_count 2
		.amdhsa_user_sgpr_dispatch_ptr 0
		.amdhsa_user_sgpr_queue_ptr 0
		.amdhsa_user_sgpr_kernarg_segment_ptr 1
		.amdhsa_user_sgpr_dispatch_id 0
		.amdhsa_user_sgpr_kernarg_preload_length 0
		.amdhsa_user_sgpr_kernarg_preload_offset 0
		.amdhsa_user_sgpr_private_segment_size 0
		.amdhsa_uses_dynamic_stack 0
		.amdhsa_enable_private_segment 0
		.amdhsa_system_sgpr_workgroup_id_x 1
		.amdhsa_system_sgpr_workgroup_id_y 1
		.amdhsa_system_sgpr_workgroup_id_z 1
		.amdhsa_system_sgpr_workgroup_info 0
		.amdhsa_system_vgpr_workitem_id 1
		.amdhsa_next_free_vgpr 46
		.amdhsa_next_free_sgpr 36
		.amdhsa_accum_offset 48
		.amdhsa_reserve_vcc 1
		.amdhsa_float_round_mode_32 0
		.amdhsa_float_round_mode_16_64 0
		.amdhsa_float_denorm_mode_32 3
		.amdhsa_float_denorm_mode_16_64 3
		.amdhsa_dx10_clamp 1
		.amdhsa_ieee_mode 1
		.amdhsa_fp16_overflow 0
		.amdhsa_tg_split 0
		.amdhsa_exception_fp_ieee_invalid_op 0
		.amdhsa_exception_fp_denorm_src 0
		.amdhsa_exception_fp_ieee_div_zero 0
		.amdhsa_exception_fp_ieee_overflow 0
		.amdhsa_exception_fp_ieee_underflow 0
		.amdhsa_exception_fp_ieee_inexact 0
		.amdhsa_exception_int_div_zero 0
	.end_amdhsa_kernel
	.section	.text._ZN12_GLOBAL__N_127rocblas_gemm_batched_kernelIDF16_Li16ELi16ELi64ELi64ELi4ELi64ELi4ELi4ELi64ELc78ELc67EKPKDF16_S3_KPDF16_EEvlllT_PT11_llS8_llS6_PT12_llPT13_lli,"axG",@progbits,_ZN12_GLOBAL__N_127rocblas_gemm_batched_kernelIDF16_Li16ELi16ELi64ELi64ELi4ELi64ELi4ELi4ELi64ELc78ELc67EKPKDF16_S3_KPDF16_EEvlllT_PT11_llS8_llS6_PT12_llPT13_lli,comdat
.Lfunc_end154:
	.size	_ZN12_GLOBAL__N_127rocblas_gemm_batched_kernelIDF16_Li16ELi16ELi64ELi64ELi4ELi64ELi4ELi4ELi64ELc78ELc67EKPKDF16_S3_KPDF16_EEvlllT_PT11_llS8_llS6_PT12_llPT13_lli, .Lfunc_end154-_ZN12_GLOBAL__N_127rocblas_gemm_batched_kernelIDF16_Li16ELi16ELi64ELi64ELi4ELi64ELi4ELi4ELi64ELc78ELc67EKPKDF16_S3_KPDF16_EEvlllT_PT11_llS8_llS6_PT12_llPT13_lli
                                        ; -- End function
	.set _ZN12_GLOBAL__N_127rocblas_gemm_batched_kernelIDF16_Li16ELi16ELi64ELi64ELi4ELi64ELi4ELi4ELi64ELc78ELc67EKPKDF16_S3_KPDF16_EEvlllT_PT11_llS8_llS6_PT12_llPT13_lli.num_vgpr, 46
	.set _ZN12_GLOBAL__N_127rocblas_gemm_batched_kernelIDF16_Li16ELi16ELi64ELi64ELi4ELi64ELi4ELi4ELi64ELc78ELc67EKPKDF16_S3_KPDF16_EEvlllT_PT11_llS8_llS6_PT12_llPT13_lli.num_agpr, 0
	.set _ZN12_GLOBAL__N_127rocblas_gemm_batched_kernelIDF16_Li16ELi16ELi64ELi64ELi4ELi64ELi4ELi4ELi64ELc78ELc67EKPKDF16_S3_KPDF16_EEvlllT_PT11_llS8_llS6_PT12_llPT13_lli.numbered_sgpr, 36
	.set _ZN12_GLOBAL__N_127rocblas_gemm_batched_kernelIDF16_Li16ELi16ELi64ELi64ELi4ELi64ELi4ELi4ELi64ELc78ELc67EKPKDF16_S3_KPDF16_EEvlllT_PT11_llS8_llS6_PT12_llPT13_lli.num_named_barrier, 0
	.set _ZN12_GLOBAL__N_127rocblas_gemm_batched_kernelIDF16_Li16ELi16ELi64ELi64ELi4ELi64ELi4ELi4ELi64ELc78ELc67EKPKDF16_S3_KPDF16_EEvlllT_PT11_llS8_llS6_PT12_llPT13_lli.private_seg_size, 0
	.set _ZN12_GLOBAL__N_127rocblas_gemm_batched_kernelIDF16_Li16ELi16ELi64ELi64ELi4ELi64ELi4ELi4ELi64ELc78ELc67EKPKDF16_S3_KPDF16_EEvlllT_PT11_llS8_llS6_PT12_llPT13_lli.uses_vcc, 1
	.set _ZN12_GLOBAL__N_127rocblas_gemm_batched_kernelIDF16_Li16ELi16ELi64ELi64ELi4ELi64ELi4ELi4ELi64ELc78ELc67EKPKDF16_S3_KPDF16_EEvlllT_PT11_llS8_llS6_PT12_llPT13_lli.uses_flat_scratch, 0
	.set _ZN12_GLOBAL__N_127rocblas_gemm_batched_kernelIDF16_Li16ELi16ELi64ELi64ELi4ELi64ELi4ELi4ELi64ELc78ELc67EKPKDF16_S3_KPDF16_EEvlllT_PT11_llS8_llS6_PT12_llPT13_lli.has_dyn_sized_stack, 0
	.set _ZN12_GLOBAL__N_127rocblas_gemm_batched_kernelIDF16_Li16ELi16ELi64ELi64ELi4ELi64ELi4ELi4ELi64ELc78ELc67EKPKDF16_S3_KPDF16_EEvlllT_PT11_llS8_llS6_PT12_llPT13_lli.has_recursion, 0
	.set _ZN12_GLOBAL__N_127rocblas_gemm_batched_kernelIDF16_Li16ELi16ELi64ELi64ELi4ELi64ELi4ELi4ELi64ELc78ELc67EKPKDF16_S3_KPDF16_EEvlllT_PT11_llS8_llS6_PT12_llPT13_lli.has_indirect_call, 0
	.section	.AMDGPU.csdata,"",@progbits
; Kernel info:
; codeLenInByte = 2200
; TotalNumSgprs: 42
; NumVgprs: 46
; NumAgprs: 0
; TotalNumVgprs: 46
; ScratchSize: 0
; MemoryBound: 0
; FloatMode: 240
; IeeeMode: 1
; LDSByteSize: 1024 bytes/workgroup (compile time only)
; SGPRBlocks: 5
; VGPRBlocks: 5
; NumSGPRsForWavesPerEU: 42
; NumVGPRsForWavesPerEU: 46
; AccumOffset: 48
; Occupancy: 8
; WaveLimiterHint : 1
; COMPUTE_PGM_RSRC2:SCRATCH_EN: 0
; COMPUTE_PGM_RSRC2:USER_SGPR: 2
; COMPUTE_PGM_RSRC2:TRAP_HANDLER: 0
; COMPUTE_PGM_RSRC2:TGID_X_EN: 1
; COMPUTE_PGM_RSRC2:TGID_Y_EN: 1
; COMPUTE_PGM_RSRC2:TGID_Z_EN: 1
; COMPUTE_PGM_RSRC2:TIDIG_COMP_CNT: 1
; COMPUTE_PGM_RSRC3_GFX90A:ACCUM_OFFSET: 11
; COMPUTE_PGM_RSRC3_GFX90A:TG_SPLIT: 0
	.section	.text._ZN12_GLOBAL__N_127rocblas_gemm_batched_kernelIDF16_Li16ELi16ELi64ELi64ELi4ELi64ELi4ELi4ELi64ELc84ELc67EKPKDF16_S3_KPDF16_EEvlllT_PT11_llS8_llS6_PT12_llPT13_lli,"axG",@progbits,_ZN12_GLOBAL__N_127rocblas_gemm_batched_kernelIDF16_Li16ELi16ELi64ELi64ELi4ELi64ELi4ELi4ELi64ELc84ELc67EKPKDF16_S3_KPDF16_EEvlllT_PT11_llS8_llS6_PT12_llPT13_lli,comdat
	.globl	_ZN12_GLOBAL__N_127rocblas_gemm_batched_kernelIDF16_Li16ELi16ELi64ELi64ELi4ELi64ELi4ELi4ELi64ELc84ELc67EKPKDF16_S3_KPDF16_EEvlllT_PT11_llS8_llS6_PT12_llPT13_lli ; -- Begin function _ZN12_GLOBAL__N_127rocblas_gemm_batched_kernelIDF16_Li16ELi16ELi64ELi64ELi4ELi64ELi4ELi4ELi64ELc84ELc67EKPKDF16_S3_KPDF16_EEvlllT_PT11_llS8_llS6_PT12_llPT13_lli
	.p2align	8
	.type	_ZN12_GLOBAL__N_127rocblas_gemm_batched_kernelIDF16_Li16ELi16ELi64ELi64ELi4ELi64ELi4ELi4ELi64ELc84ELc67EKPKDF16_S3_KPDF16_EEvlllT_PT11_llS8_llS6_PT12_llPT13_lli,@function
_ZN12_GLOBAL__N_127rocblas_gemm_batched_kernelIDF16_Li16ELi16ELi64ELi64ELi4ELi64ELi4ELi4ELi64ELc84ELc67EKPKDF16_S3_KPDF16_EEvlllT_PT11_llS8_llS6_PT12_llPT13_lli: ; @_ZN12_GLOBAL__N_127rocblas_gemm_batched_kernelIDF16_Li16ELi16ELi64ELi64ELi4ELi64ELi4ELi4ELi64ELc84ELc67EKPKDF16_S3_KPDF16_EEvlllT_PT11_llS8_llS6_PT12_llPT13_lli
; %bb.0:
	s_load_dwordx2 s[30:31], s[0:1], 0x10
	s_load_dwordx4 s[24:27], s[0:1], 0x78
	s_load_dwordx8 s[8:15], s[0:1], 0x58
	s_mov_b32 s5, 0
	s_lshl_b64 s[34:35], s[4:5], 3
	s_mov_b32 s6, s3
	v_mov_b32_e32 v3, 0
	s_waitcnt lgkmcnt(0)
	s_add_u32 s4, s8, s34
	s_addc_u32 s5, s9, s35
	s_load_dwordx2 s[8:9], s[4:5], 0x0
	s_add_u32 s4, s14, s34
	s_addc_u32 s5, s15, s35
	s_load_dwordx2 s[14:15], s[4:5], 0x0
	s_ashr_i32 s3, s2, 31
	s_ashr_i32 s7, s6, 31
	v_cmp_lt_i64_e64 s[4:5], s[30:31], 1
	v_bfe_u32 v2, v0, 10, 10
	v_and_b32_e32 v0, 0x3ff, v0
	v_mov_b32_e32 v1, v3
	s_lshl_b64 s[2:3], s[2:3], 6
	s_lshl_b64 s[28:29], s[6:7], 6
	s_and_b64 vcc, exec, s[4:5]
	s_cbranch_vccnz .LBB155_3
; %bb.1:
	s_load_dwordx8 s[16:23], s[0:1], 0x20
	s_load_dwordx4 s[4:7], s[0:1], 0x40
	v_lshl_add_u32 v8, v2, 4, v0
	v_and_b32_e32 v6, 63, v8
	v_lshrrev_b32_e32 v4, 2, v8
	s_waitcnt lgkmcnt(0)
	s_add_u32 s16, s16, s34
	s_addc_u32 s17, s17, s35
	s_add_u32 s22, s22, s34
	s_addc_u32 s23, s23, s35
	v_and_b32_e32 v9, 3, v0
	v_lshrrev_b32_e32 v10, 6, v8
	v_lshlrev_b32_e32 v8, 1, v6
	s_load_dwordx2 s[22:23], s[22:23], 0x0
	v_lshl_or_b32 v18, v10, 7, v8
	v_lshlrev_b32_e32 v8, 1, v9
	v_mov_b32_e32 v5, v3
	v_lshl_or_b32 v8, v4, 3, v8
	v_add_u32_e32 v19, 0x200, v8
	v_mov_b32_e32 v8, 0x200
	v_mad_u64_u32 v[4:5], s[34:35], s4, v9, v[4:5]
	v_lshl_add_u32 v21, v2, 3, v8
	v_mov_b32_e32 v8, v5
	s_lshl_b64 s[6:7], s[6:7], 1
	v_mad_u64_u32 v[8:9], s[34:35], s5, v9, v[8:9]
	v_mov_b32_e32 v7, v3
	v_mov_b32_e32 v5, v8
	s_waitcnt lgkmcnt(0)
	s_add_u32 s6, s22, s6
	s_load_dwordx2 s[16:17], s[16:17], 0x0
	v_lshl_add_u64 v[4:5], v[4:5], 0, s[28:29]
	s_addc_u32 s7, s23, s7
	v_lshl_add_u64 v[6:7], s[2:3], 0, v[6:7]
	v_lshl_add_u64 v[4:5], v[4:5], 1, s[6:7]
	v_mul_lo_u32 v8, s19, v6
	v_mul_lo_u32 v9, s18, v7
	v_mad_u64_u32 v[6:7], s[6:7], s18, v6, 0
	v_add3_u32 v7, v7, v9, v8
	s_lshl_b64 s[6:7], s[20:21], 1
	v_lshl_add_u64 v[6:7], v[6:7], 1, s[6:7]
	v_lshlrev_b32_e32 v8, 1, v10
	v_mov_b32_e32 v9, v3
	v_lshl_add_u64 v[6:7], v[6:7], 0, v[8:9]
	v_lshlrev_b32_e32 v20, 1, v0
	s_lshl_b64 s[4:5], s[4:5], 3
	s_waitcnt lgkmcnt(0)
	v_lshl_add_u64 v[6:7], s[16:17], 0, v[6:7]
	s_mov_b64 s[6:7], 0
	s_mov_b32 s16, 0x5040100
	v_mov_b64_e32 v[8:9], s[30:31]
	v_mov_b32_e32 v10, v3
	v_mov_b32_e32 v11, v3
	;; [unrolled: 1-line block ×8, first 2 shown]
.LBB155_2:                              ; =>This Inner Loop Header: Depth=1
	flat_load_ushort v22, v[6:7]
	s_add_u32 s6, s6, 4
	s_addc_u32 s7, s7, 0
	v_cmp_lt_i64_e32 vcc, s[6:7], v[8:9]
	v_lshl_add_u64 v[6:7], v[6:7], 0, 8
	s_and_b64 vcc, exec, vcc
	s_waitcnt vmcnt(0) lgkmcnt(0)
	ds_write_b16 v18, v22
	flat_load_ushort v22, v[4:5]
	v_lshl_add_u64 v[4:5], v[4:5], 0, s[4:5]
	s_waitcnt vmcnt(0) lgkmcnt(0)
	ds_write_b16 v19, v22
	s_waitcnt lgkmcnt(0)
	s_barrier
	ds_read2_b64 v[22:25], v21 offset1:16
	ds_read2_b64 v[26:29], v21 offset0:32 offset1:48
	ds_read_u16 v30, v20
	ds_read_u16 v31, v20 offset:32
	ds_read_u16 v32, v20 offset:64
	;; [unrolled: 1-line block ×15, first 2 shown]
	s_waitcnt lgkmcnt(14)
	v_perm_b32 v30, v30, v31, s16
	s_waitcnt lgkmcnt(12)
	v_perm_b32 v32, v32, v33, s16
	s_waitcnt lgkmcnt(10)
	v_perm_b32 v31, v34, v35, s16
	s_waitcnt lgkmcnt(8)
	v_perm_b32 v33, v36, v37, s16
	v_pk_fma_f16 v17, v30, v22, v17 op_sel_hi:[1,0,1]
	v_pk_fma_f16 v16, v32, v22, v16 op_sel_hi:[1,0,1]
	;; [unrolled: 1-line block ×8, first 2 shown]
	s_waitcnt lgkmcnt(6)
	v_perm_b32 v34, v38, v39, s16
	s_waitcnt lgkmcnt(4)
	v_perm_b32 v36, v40, v41, s16
	v_pk_fma_f16 v17, v31, v22, v17 op_sel:[0,1,0]
	v_pk_fma_f16 v16, v33, v22, v16 op_sel:[0,1,0]
	;; [unrolled: 1-line block ×8, first 2 shown]
	s_waitcnt lgkmcnt(2)
	v_perm_b32 v35, v42, v43, s16
	s_waitcnt lgkmcnt(0)
	v_perm_b32 v37, v44, v45, s16
	v_pk_fma_f16 v17, v34, v23, v17 op_sel_hi:[1,0,1]
	v_pk_fma_f16 v16, v36, v23, v16 op_sel_hi:[1,0,1]
	;; [unrolled: 1-line block ×8, first 2 shown]
	v_pk_fma_f16 v17, v35, v23, v17 op_sel:[0,1,0]
	v_pk_fma_f16 v16, v37, v23, v16 op_sel:[0,1,0]
	;; [unrolled: 1-line block ×8, first 2 shown]
	s_barrier
	s_cbranch_vccnz .LBB155_2
	s_branch .LBB155_4
.LBB155_3:
	v_mov_b32_e32 v17, v3
	v_mov_b32_e32 v16, v3
	;; [unrolled: 1-line block ×8, first 2 shown]
.LBB155_4:
	s_load_dword s4, s[0:1], 0x18
	s_load_dword s5, s[0:1], 0x50
	s_lshl_b64 s[0:1], s[26:27], 1
	s_waitcnt lgkmcnt(0)
	s_add_u32 s0, s14, s0
	v_lshl_add_u64 v[2:3], s[28:29], 0, v[2:3]
	v_lshl_add_u64 v[0:1], s[2:3], 0, v[0:1]
	v_cmp_neq_f16_e64 s[6:7], s5, 0
	s_addc_u32 s1, s15, s1
	s_and_b64 vcc, exec, s[6:7]
	v_mul_lo_u32 v20, v3, s24
	v_mul_lo_u32 v21, v2, s25
	v_lshrrev_b32_e32 v19, 16, v17
	v_lshlrev_b64 v[0:1], 1, v[0:1]
	v_lshrrev_b32_e32 v18, 16, v16
	v_lshrrev_b32_e32 v9, 16, v15
	;; [unrolled: 1-line block ×7, first 2 shown]
	s_cbranch_vccnz .LBB155_8
; %bb.5:
	v_mad_u64_u32 v[22:23], s[2:3], v2, s24, 0
	v_add3_u32 v23, v23, v21, v20
	v_lshl_add_u64 v[22:23], v[22:23], 1, s[0:1]
	v_mul_f16_sdwa v26, s4, v17 dst_sel:DWORD dst_unused:UNUSED_PAD src0_sel:DWORD src1_sel:WORD_1
	v_lshl_add_u64 v[24:25], v[22:23], 0, v[0:1]
	flat_store_short v[24:25], v26
	v_mul_f16_e32 v26, s4, v17
	flat_store_short v[24:25], v26 offset:32
	v_mul_f16_sdwa v26, s4, v16 dst_sel:DWORD dst_unused:UNUSED_PAD src0_sel:DWORD src1_sel:WORD_1
	s_lshl_b64 s[2:3], s[24:25], 5
	flat_store_short v[24:25], v26 offset:64
	v_mul_f16_e32 v26, s4, v16
	v_lshl_add_u64 v[22:23], v[22:23], 0, s[2:3]
	flat_store_short v[24:25], v26 offset:96
	v_mul_f16_sdwa v26, s4, v15 dst_sel:DWORD dst_unused:UNUSED_PAD src0_sel:DWORD src1_sel:WORD_1
	v_lshl_add_u64 v[24:25], v[22:23], 0, v[0:1]
	flat_store_short v[24:25], v26
	v_mul_f16_e32 v26, s4, v15
	flat_store_short v[24:25], v26 offset:32
	v_mul_f16_sdwa v26, s4, v14 dst_sel:DWORD dst_unused:UNUSED_PAD src0_sel:DWORD src1_sel:WORD_1
	flat_store_short v[24:25], v26 offset:64
	v_mul_f16_e32 v26, s4, v14
	v_lshl_add_u64 v[22:23], v[22:23], 0, s[2:3]
	flat_store_short v[24:25], v26 offset:96
	v_mul_f16_sdwa v26, s4, v13 dst_sel:DWORD dst_unused:UNUSED_PAD src0_sel:DWORD src1_sel:WORD_1
	v_lshl_add_u64 v[24:25], v[22:23], 0, v[0:1]
	flat_store_short v[24:25], v26
	v_mul_f16_e32 v26, s4, v13
	flat_store_short v[24:25], v26 offset:32
	v_mul_f16_sdwa v26, s4, v12 dst_sel:DWORD dst_unused:UNUSED_PAD src0_sel:DWORD src1_sel:WORD_1
	;; [unrolled: 10-line block ×3, first 2 shown]
	flat_store_short v[22:23], v24 offset:64
	v_mul_f16_e32 v24, s4, v10
	flat_store_short v[22:23], v24 offset:96
	s_cbranch_execnz .LBB155_7
.LBB155_6:
	s_lshl_b64 s[2:3], s[12:13], 1
	s_add_u32 s2, s8, s2
	v_mul_lo_u32 v3, v3, s10
	v_mul_lo_u32 v24, v2, s11
	v_mad_u64_u32 v[22:23], s[6:7], v2, s10, 0
	s_addc_u32 s3, s9, s3
	v_add3_u32 v23, v23, v24, v3
	v_lshl_add_u64 v[22:23], v[22:23], 1, s[2:3]
	v_lshl_add_u64 v[24:25], v[22:23], 0, v[0:1]
	flat_load_ushort v26, v[24:25]
	v_mad_u64_u32 v[2:3], s[2:3], v2, s24, 0
	v_add3_u32 v3, v3, v21, v20
	v_lshl_add_u64 v[2:3], v[2:3], 1, s[0:1]
	v_lshl_add_u64 v[20:21], v[2:3], 0, v[0:1]
	s_lshl_b64 s[0:1], s[10:11], 5
	s_lshl_b64 s[2:3], s[24:25], 5
	v_lshl_add_u64 v[2:3], v[2:3], 0, s[2:3]
	s_waitcnt vmcnt(0) lgkmcnt(0)
	v_mul_f16_e32 v26, s5, v26
	v_fma_f16 v19, s4, v19, v26
	flat_store_short v[20:21], v19
	flat_load_ushort v19, v[24:25] offset:32
	s_waitcnt vmcnt(0) lgkmcnt(0)
	v_mul_f16_e32 v19, s5, v19
	v_fma_f16 v17, s4, v17, v19
	flat_store_short v[20:21], v17 offset:32
	flat_load_ushort v17, v[24:25] offset:64
	s_waitcnt vmcnt(0) lgkmcnt(0)
	v_mul_f16_e32 v17, s5, v17
	v_fma_f16 v17, s4, v18, v17
	flat_store_short v[20:21], v17 offset:64
	flat_load_ushort v17, v[24:25] offset:96
	v_lshl_add_u64 v[18:19], v[22:23], 0, s[0:1]
	v_lshl_add_u64 v[22:23], v[18:19], 0, v[0:1]
	s_waitcnt vmcnt(0) lgkmcnt(0)
	v_mul_f16_e32 v17, s5, v17
	v_fma_f16 v16, s4, v16, v17
	flat_store_short v[20:21], v16 offset:96
	flat_load_ushort v20, v[22:23]
	v_lshl_add_u64 v[16:17], v[2:3], 0, v[0:1]
	v_lshl_add_u64 v[2:3], v[2:3], 0, s[2:3]
	s_waitcnt vmcnt(0) lgkmcnt(0)
	v_mul_f16_e32 v20, s5, v20
	v_fma_f16 v9, s4, v9, v20
	flat_store_short v[16:17], v9
	flat_load_ushort v9, v[22:23] offset:32
	s_waitcnt vmcnt(0) lgkmcnt(0)
	v_mul_f16_e32 v9, s5, v9
	v_fma_f16 v9, s4, v15, v9
	flat_store_short v[16:17], v9 offset:32
	flat_load_ushort v9, v[22:23] offset:64
	s_waitcnt vmcnt(0) lgkmcnt(0)
	v_mul_f16_e32 v9, s5, v9
	v_fma_f16 v8, s4, v8, v9
	flat_store_short v[16:17], v8 offset:64
	flat_load_ushort v15, v[22:23] offset:96
	v_lshl_add_u64 v[8:9], v[18:19], 0, s[0:1]
	v_lshl_add_u64 v[18:19], v[8:9], 0, v[0:1]
	s_waitcnt vmcnt(0) lgkmcnt(0)
	v_mul_f16_e32 v15, s5, v15
	v_fma_f16 v14, s4, v14, v15
	flat_store_short v[16:17], v14 offset:96
	flat_load_ushort v16, v[18:19]
	v_lshl_add_u64 v[14:15], v[2:3], 0, v[0:1]
	v_lshl_add_u64 v[2:3], v[2:3], 0, s[2:3]
	s_waitcnt vmcnt(0) lgkmcnt(0)
	v_mul_f16_e32 v16, s5, v16
	v_fma_f16 v7, s4, v7, v16
	flat_store_short v[14:15], v7
	flat_load_ushort v7, v[18:19] offset:32
	s_waitcnt vmcnt(0) lgkmcnt(0)
	v_mul_f16_e32 v7, s5, v7
	v_fma_f16 v7, s4, v13, v7
	flat_store_short v[14:15], v7 offset:32
	flat_load_ushort v7, v[18:19] offset:64
	s_waitcnt vmcnt(0) lgkmcnt(0)
	v_mul_f16_e32 v7, s5, v7
	v_fma_f16 v6, s4, v6, v7
	flat_store_short v[14:15], v6 offset:64
	flat_load_ushort v13, v[18:19] offset:96
	v_lshl_add_u64 v[6:7], v[8:9], 0, s[0:1]
	v_lshl_add_u64 v[6:7], v[6:7], 0, v[0:1]
	;; [unrolled: 1-line block ×3, first 2 shown]
	s_waitcnt vmcnt(0) lgkmcnt(0)
	v_mul_f16_e32 v8, s5, v13
	v_fma_f16 v8, s4, v12, v8
	flat_store_short v[14:15], v8 offset:96
	flat_load_ushort v8, v[6:7]
	s_waitcnt vmcnt(0) lgkmcnt(0)
	v_mul_f16_e32 v8, s5, v8
	v_fma_f16 v5, s4, v5, v8
	flat_store_short v[0:1], v5
	flat_load_ushort v2, v[6:7] offset:32
	s_waitcnt vmcnt(0) lgkmcnt(0)
	v_mul_f16_e32 v2, s5, v2
	v_fma_f16 v2, s4, v11, v2
	flat_store_short v[0:1], v2 offset:32
	flat_load_ushort v2, v[6:7] offset:64
	s_waitcnt vmcnt(0) lgkmcnt(0)
	v_mul_f16_e32 v2, s5, v2
	v_fma_f16 v2, s4, v4, v2
	flat_store_short v[0:1], v2 offset:64
	;; [unrolled: 5-line block ×3, first 2 shown]
.LBB155_7:
	s_endpgm
.LBB155_8:
	s_branch .LBB155_6
	.section	.rodata,"a",@progbits
	.p2align	6, 0x0
	.amdhsa_kernel _ZN12_GLOBAL__N_127rocblas_gemm_batched_kernelIDF16_Li16ELi16ELi64ELi64ELi4ELi64ELi4ELi4ELi64ELc84ELc67EKPKDF16_S3_KPDF16_EEvlllT_PT11_llS8_llS6_PT12_llPT13_lli
		.amdhsa_group_segment_fixed_size 1024
		.amdhsa_private_segment_fixed_size 0
		.amdhsa_kernarg_size 140
		.amdhsa_user_sgpr_count 2
		.amdhsa_user_sgpr_dispatch_ptr 0
		.amdhsa_user_sgpr_queue_ptr 0
		.amdhsa_user_sgpr_kernarg_segment_ptr 1
		.amdhsa_user_sgpr_dispatch_id 0
		.amdhsa_user_sgpr_kernarg_preload_length 0
		.amdhsa_user_sgpr_kernarg_preload_offset 0
		.amdhsa_user_sgpr_private_segment_size 0
		.amdhsa_uses_dynamic_stack 0
		.amdhsa_enable_private_segment 0
		.amdhsa_system_sgpr_workgroup_id_x 1
		.amdhsa_system_sgpr_workgroup_id_y 1
		.amdhsa_system_sgpr_workgroup_id_z 1
		.amdhsa_system_sgpr_workgroup_info 0
		.amdhsa_system_vgpr_workitem_id 1
		.amdhsa_next_free_vgpr 46
		.amdhsa_next_free_sgpr 36
		.amdhsa_accum_offset 48
		.amdhsa_reserve_vcc 1
		.amdhsa_float_round_mode_32 0
		.amdhsa_float_round_mode_16_64 0
		.amdhsa_float_denorm_mode_32 3
		.amdhsa_float_denorm_mode_16_64 3
		.amdhsa_dx10_clamp 1
		.amdhsa_ieee_mode 1
		.amdhsa_fp16_overflow 0
		.amdhsa_tg_split 0
		.amdhsa_exception_fp_ieee_invalid_op 0
		.amdhsa_exception_fp_denorm_src 0
		.amdhsa_exception_fp_ieee_div_zero 0
		.amdhsa_exception_fp_ieee_overflow 0
		.amdhsa_exception_fp_ieee_underflow 0
		.amdhsa_exception_fp_ieee_inexact 0
		.amdhsa_exception_int_div_zero 0
	.end_amdhsa_kernel
	.section	.text._ZN12_GLOBAL__N_127rocblas_gemm_batched_kernelIDF16_Li16ELi16ELi64ELi64ELi4ELi64ELi4ELi4ELi64ELc84ELc67EKPKDF16_S3_KPDF16_EEvlllT_PT11_llS8_llS6_PT12_llPT13_lli,"axG",@progbits,_ZN12_GLOBAL__N_127rocblas_gemm_batched_kernelIDF16_Li16ELi16ELi64ELi64ELi4ELi64ELi4ELi4ELi64ELc84ELc67EKPKDF16_S3_KPDF16_EEvlllT_PT11_llS8_llS6_PT12_llPT13_lli,comdat
.Lfunc_end155:
	.size	_ZN12_GLOBAL__N_127rocblas_gemm_batched_kernelIDF16_Li16ELi16ELi64ELi64ELi4ELi64ELi4ELi4ELi64ELc84ELc67EKPKDF16_S3_KPDF16_EEvlllT_PT11_llS8_llS6_PT12_llPT13_lli, .Lfunc_end155-_ZN12_GLOBAL__N_127rocblas_gemm_batched_kernelIDF16_Li16ELi16ELi64ELi64ELi4ELi64ELi4ELi4ELi64ELc84ELc67EKPKDF16_S3_KPDF16_EEvlllT_PT11_llS8_llS6_PT12_llPT13_lli
                                        ; -- End function
	.set _ZN12_GLOBAL__N_127rocblas_gemm_batched_kernelIDF16_Li16ELi16ELi64ELi64ELi4ELi64ELi4ELi4ELi64ELc84ELc67EKPKDF16_S3_KPDF16_EEvlllT_PT11_llS8_llS6_PT12_llPT13_lli.num_vgpr, 46
	.set _ZN12_GLOBAL__N_127rocblas_gemm_batched_kernelIDF16_Li16ELi16ELi64ELi64ELi4ELi64ELi4ELi4ELi64ELc84ELc67EKPKDF16_S3_KPDF16_EEvlllT_PT11_llS8_llS6_PT12_llPT13_lli.num_agpr, 0
	.set _ZN12_GLOBAL__N_127rocblas_gemm_batched_kernelIDF16_Li16ELi16ELi64ELi64ELi4ELi64ELi4ELi4ELi64ELc84ELc67EKPKDF16_S3_KPDF16_EEvlllT_PT11_llS8_llS6_PT12_llPT13_lli.numbered_sgpr, 36
	.set _ZN12_GLOBAL__N_127rocblas_gemm_batched_kernelIDF16_Li16ELi16ELi64ELi64ELi4ELi64ELi4ELi4ELi64ELc84ELc67EKPKDF16_S3_KPDF16_EEvlllT_PT11_llS8_llS6_PT12_llPT13_lli.num_named_barrier, 0
	.set _ZN12_GLOBAL__N_127rocblas_gemm_batched_kernelIDF16_Li16ELi16ELi64ELi64ELi4ELi64ELi4ELi4ELi64ELc84ELc67EKPKDF16_S3_KPDF16_EEvlllT_PT11_llS8_llS6_PT12_llPT13_lli.private_seg_size, 0
	.set _ZN12_GLOBAL__N_127rocblas_gemm_batched_kernelIDF16_Li16ELi16ELi64ELi64ELi4ELi64ELi4ELi4ELi64ELc84ELc67EKPKDF16_S3_KPDF16_EEvlllT_PT11_llS8_llS6_PT12_llPT13_lli.uses_vcc, 1
	.set _ZN12_GLOBAL__N_127rocblas_gemm_batched_kernelIDF16_Li16ELi16ELi64ELi64ELi4ELi64ELi4ELi4ELi64ELc84ELc67EKPKDF16_S3_KPDF16_EEvlllT_PT11_llS8_llS6_PT12_llPT13_lli.uses_flat_scratch, 0
	.set _ZN12_GLOBAL__N_127rocblas_gemm_batched_kernelIDF16_Li16ELi16ELi64ELi64ELi4ELi64ELi4ELi4ELi64ELc84ELc67EKPKDF16_S3_KPDF16_EEvlllT_PT11_llS8_llS6_PT12_llPT13_lli.has_dyn_sized_stack, 0
	.set _ZN12_GLOBAL__N_127rocblas_gemm_batched_kernelIDF16_Li16ELi16ELi64ELi64ELi4ELi64ELi4ELi4ELi64ELc84ELc67EKPKDF16_S3_KPDF16_EEvlllT_PT11_llS8_llS6_PT12_llPT13_lli.has_recursion, 0
	.set _ZN12_GLOBAL__N_127rocblas_gemm_batched_kernelIDF16_Li16ELi16ELi64ELi64ELi4ELi64ELi4ELi4ELi64ELc84ELc67EKPKDF16_S3_KPDF16_EEvlllT_PT11_llS8_llS6_PT12_llPT13_lli.has_indirect_call, 0
	.section	.AMDGPU.csdata,"",@progbits
; Kernel info:
; codeLenInByte = 2220
; TotalNumSgprs: 42
; NumVgprs: 46
; NumAgprs: 0
; TotalNumVgprs: 46
; ScratchSize: 0
; MemoryBound: 0
; FloatMode: 240
; IeeeMode: 1
; LDSByteSize: 1024 bytes/workgroup (compile time only)
; SGPRBlocks: 5
; VGPRBlocks: 5
; NumSGPRsForWavesPerEU: 42
; NumVGPRsForWavesPerEU: 46
; AccumOffset: 48
; Occupancy: 8
; WaveLimiterHint : 1
; COMPUTE_PGM_RSRC2:SCRATCH_EN: 0
; COMPUTE_PGM_RSRC2:USER_SGPR: 2
; COMPUTE_PGM_RSRC2:TRAP_HANDLER: 0
; COMPUTE_PGM_RSRC2:TGID_X_EN: 1
; COMPUTE_PGM_RSRC2:TGID_Y_EN: 1
; COMPUTE_PGM_RSRC2:TGID_Z_EN: 1
; COMPUTE_PGM_RSRC2:TIDIG_COMP_CNT: 1
; COMPUTE_PGM_RSRC3_GFX90A:ACCUM_OFFSET: 11
; COMPUTE_PGM_RSRC3_GFX90A:TG_SPLIT: 0
	.section	.text._ZN12_GLOBAL__N_127rocblas_gemm_batched_kernelIDF16_Li16ELi16ELi32ELi32ELi8ELi32ELi8ELi8ELi32ELc78ELc78EKPKDF16_S3_KPDF16_EEvlllT_PT11_llS8_llS6_PT12_llPT13_lli,"axG",@progbits,_ZN12_GLOBAL__N_127rocblas_gemm_batched_kernelIDF16_Li16ELi16ELi32ELi32ELi8ELi32ELi8ELi8ELi32ELc78ELc78EKPKDF16_S3_KPDF16_EEvlllT_PT11_llS8_llS6_PT12_llPT13_lli,comdat
	.globl	_ZN12_GLOBAL__N_127rocblas_gemm_batched_kernelIDF16_Li16ELi16ELi32ELi32ELi8ELi32ELi8ELi8ELi32ELc78ELc78EKPKDF16_S3_KPDF16_EEvlllT_PT11_llS8_llS6_PT12_llPT13_lli ; -- Begin function _ZN12_GLOBAL__N_127rocblas_gemm_batched_kernelIDF16_Li16ELi16ELi32ELi32ELi8ELi32ELi8ELi8ELi32ELc78ELc78EKPKDF16_S3_KPDF16_EEvlllT_PT11_llS8_llS6_PT12_llPT13_lli
	.p2align	8
	.type	_ZN12_GLOBAL__N_127rocblas_gemm_batched_kernelIDF16_Li16ELi16ELi32ELi32ELi8ELi32ELi8ELi8ELi32ELc78ELc78EKPKDF16_S3_KPDF16_EEvlllT_PT11_llS8_llS6_PT12_llPT13_lli,@function
_ZN12_GLOBAL__N_127rocblas_gemm_batched_kernelIDF16_Li16ELi16ELi32ELi32ELi8ELi32ELi8ELi8ELi32ELc78ELc78EKPKDF16_S3_KPDF16_EEvlllT_PT11_llS8_llS6_PT12_llPT13_lli: ; @_ZN12_GLOBAL__N_127rocblas_gemm_batched_kernelIDF16_Li16ELi16ELi32ELi32ELi8ELi32ELi8ELi8ELi32ELc78ELc78EKPKDF16_S3_KPDF16_EEvlllT_PT11_llS8_llS6_PT12_llPT13_lli
; %bb.0:
	s_load_dwordx2 s[28:29], s[0:1], 0x10
	s_load_dwordx4 s[24:27], s[0:1], 0x78
	s_load_dwordx8 s[8:15], s[0:1], 0x58
	s_mov_b32 s5, 0
	s_lshl_b64 s[30:31], s[4:5], 3
	s_mov_b32 s16, s3
	v_mov_b32_e32 v3, 0
	s_waitcnt lgkmcnt(0)
	s_add_u32 s4, s8, s30
	s_addc_u32 s5, s9, s31
	s_add_u32 s6, s14, s30
	s_addc_u32 s7, s15, s31
	s_load_dwordx2 s[4:5], s[4:5], 0x0
	s_ashr_i32 s3, s2, 31
	s_load_dwordx2 s[6:7], s[6:7], 0x0
	s_ashr_i32 s17, s16, 31
	v_cmp_lt_i64_e64 s[14:15], s[28:29], 1
	v_bfe_u32 v2, v0, 10, 10
	v_and_b32_e32 v0, 0x3ff, v0
	v_mov_b32_e32 v1, v3
	s_lshl_b64 s[2:3], s[2:3], 5
	s_lshl_b64 s[8:9], s[16:17], 5
	s_and_b64 vcc, exec, s[14:15]
	s_cbranch_vccnz .LBB156_3
; %bb.1:
	s_load_dwordx8 s[16:23], s[0:1], 0x20
	s_load_dwordx4 s[36:39], s[0:1], 0x40
	v_lshlrev_b32_e32 v11, 4, v2
	v_add_u32_e32 v10, v11, v0
	v_lshrrev_b32_e32 v4, 3, v10
	s_waitcnt lgkmcnt(0)
	s_add_u32 s14, s16, s30
	s_addc_u32 s15, s17, s31
	v_mov_b32_e32 v5, v3
	v_and_b32_e32 v8, 31, v10
	s_add_u32 s16, s22, s30
	v_lshl_add_u64 v[6:7], v[4:5], 0, s[8:9]
	v_and_b32_e32 v5, 7, v0
	v_lshrrev_b32_e32 v16, 5, v10
	v_lshlrev_b32_e32 v10, 1, v8
	s_addc_u32 s17, s23, s31
	v_lshl_or_b32 v12, v16, 6, v10
	v_lshlrev_b32_e32 v10, 1, v5
	s_load_dwordx2 s[16:17], s[16:17], 0x0
	v_lshl_or_b32 v4, v4, 4, v10
	v_add_u32_e32 v13, 0x200, v4
	v_add_u32_e32 v15, 0x200, v11
	v_mul_lo_u32 v11, s37, v6
	v_mul_lo_u32 v7, s36, v7
	v_mad_u64_u32 v[4:5], s[22:23], s36, v6, 0
	v_add3_u32 v5, v5, v7, v11
	s_lshl_b64 s[22:23], s[38:39], 1
	s_load_dwordx2 s[14:15], s[14:15], 0x0
	v_lshl_add_u64 v[4:5], v[4:5], 1, s[22:23]
	v_mov_b32_e32 v11, v3
	v_lshl_add_u64 v[4:5], v[4:5], 0, v[10:11]
	v_mov_b64_e32 v[6:7], s[2:3]
	s_waitcnt lgkmcnt(0)
	v_lshl_add_u64 v[4:5], s[16:17], 0, v[4:5]
	s_lshl_b64 s[16:17], s[20:21], 1
	v_mad_u64_u32 v[6:7], s[20:21], s18, v16, v[6:7]
	v_mov_b32_e32 v10, v7
	v_mad_u64_u32 v[10:11], s[20:21], s19, v16, v[10:11]
	v_mov_b32_e32 v9, v3
	v_mov_b32_e32 v7, v10
	s_add_u32 s14, s14, s16
	v_lshl_add_u64 v[6:7], v[6:7], 0, v[8:9]
	s_addc_u32 s15, s15, s17
	v_lshlrev_b32_e32 v14, 1, v0
	v_lshl_add_u64 v[6:7], v[6:7], 1, s[14:15]
	s_lshl_b64 s[14:15], s[18:19], 4
	s_mov_b64 s[16:17], 0
	s_mov_b32 s18, 0x5040100
	v_mov_b64_e32 v[8:9], s[28:29]
	v_mov_b32_e32 v10, v3
	v_mov_b32_e32 v11, v3
.LBB156_2:                              ; =>This Inner Loop Header: Depth=1
	flat_load_ushort v16, v[6:7]
	s_add_u32 s16, s16, 8
	s_addc_u32 s17, s17, 0
	v_cmp_lt_i64_e32 vcc, s[16:17], v[8:9]
	v_lshl_add_u64 v[6:7], v[6:7], 0, s[14:15]
	s_and_b64 vcc, exec, vcc
	s_waitcnt vmcnt(0) lgkmcnt(0)
	ds_write_b16 v12, v16
	flat_load_ushort v16, v[4:5]
	v_lshl_add_u64 v[4:5], v[4:5], 0, 16
	s_waitcnt vmcnt(0) lgkmcnt(0)
	ds_write_b16 v13, v16
	s_waitcnt lgkmcnt(0)
	s_barrier
	ds_read_b128 v[16:19], v15
	ds_read_b128 v[20:23], v15 offset:256
	ds_read_u16 v24, v14
	ds_read_u16 v25, v14 offset:32
	ds_read_u16 v26, v14 offset:64
	;; [unrolled: 1-line block ×15, first 2 shown]
	s_waitcnt lgkmcnt(14)
	v_perm_b32 v24, v24, v25, s18
	s_waitcnt lgkmcnt(12)
	v_perm_b32 v25, v26, v27, s18
	v_pk_fma_f16 v11, v24, v16, v11 op_sel_hi:[1,0,1]
	v_pk_fma_f16 v10, v24, v20, v10 op_sel_hi:[1,0,1]
	s_waitcnt lgkmcnt(10)
	v_perm_b32 v26, v28, v29, s18
	v_pk_fma_f16 v11, v25, v16, v11 op_sel:[0,1,0]
	v_pk_fma_f16 v10, v25, v20, v10 op_sel:[0,1,0]
	s_waitcnt lgkmcnt(8)
	v_perm_b32 v27, v30, v31, s18
	v_pk_fma_f16 v11, v26, v17, v11 op_sel_hi:[1,0,1]
	v_pk_fma_f16 v10, v26, v21, v10 op_sel_hi:[1,0,1]
	s_waitcnt lgkmcnt(6)
	v_perm_b32 v28, v32, v33, s18
	v_pk_fma_f16 v11, v27, v17, v11 op_sel:[0,1,0]
	v_pk_fma_f16 v10, v27, v21, v10 op_sel:[0,1,0]
	s_waitcnt lgkmcnt(4)
	v_perm_b32 v29, v34, v35, s18
	v_pk_fma_f16 v11, v28, v18, v11 op_sel_hi:[1,0,1]
	v_pk_fma_f16 v10, v28, v22, v10 op_sel_hi:[1,0,1]
	s_waitcnt lgkmcnt(2)
	v_perm_b32 v30, v36, v37, s18
	v_pk_fma_f16 v11, v29, v18, v11 op_sel:[0,1,0]
	v_pk_fma_f16 v10, v29, v22, v10 op_sel:[0,1,0]
	s_waitcnt lgkmcnt(0)
	v_perm_b32 v31, v38, v39, s18
	v_pk_fma_f16 v11, v30, v19, v11 op_sel_hi:[1,0,1]
	v_pk_fma_f16 v10, v30, v23, v10 op_sel_hi:[1,0,1]
	v_pk_fma_f16 v11, v31, v19, v11 op_sel:[0,1,0]
	v_pk_fma_f16 v10, v31, v23, v10 op_sel:[0,1,0]
	s_barrier
	s_cbranch_vccnz .LBB156_2
	s_branch .LBB156_4
.LBB156_3:
	v_mov_b32_e32 v11, v3
	v_mov_b32_e32 v10, v3
.LBB156_4:
	s_load_dword s14, s[0:1], 0x18
	s_load_dword s15, s[0:1], 0x50
	s_lshl_b64 s[0:1], s[26:27], 1
	s_waitcnt lgkmcnt(0)
	s_add_u32 s0, s6, s0
	s_addc_u32 s1, s7, s1
	v_lshl_add_u64 v[2:3], s[8:9], 0, v[2:3]
	v_cmp_neq_f16_e64 s[6:7], s15, 0
	v_lshl_add_u64 v[0:1], s[2:3], 0, v[0:1]
	s_and_b64 vcc, exec, s[6:7]
	v_mul_lo_u32 v6, v3, s24
	v_mul_lo_u32 v7, v2, s25
	v_lshrrev_b32_e32 v5, 16, v11
	v_lshlrev_b64 v[0:1], 1, v[0:1]
	v_lshrrev_b32_e32 v4, 16, v10
	s_cbranch_vccnz .LBB156_8
; %bb.5:
	v_mad_u64_u32 v[8:9], s[2:3], v2, s24, 0
	v_add3_u32 v9, v9, v7, v6
	v_lshl_add_u64 v[8:9], v[8:9], 1, s[0:1]
	v_mul_f16_sdwa v14, s14, v11 dst_sel:DWORD dst_unused:UNUSED_PAD src0_sel:DWORD src1_sel:WORD_1
	v_lshl_add_u64 v[12:13], v[8:9], 0, v[0:1]
	s_lshl_b64 s[2:3], s[24:25], 5
	flat_store_short v[12:13], v14
	v_mul_f16_e32 v14, s14, v11
	v_lshl_add_u64 v[8:9], v[8:9], 0, s[2:3]
	flat_store_short v[12:13], v14 offset:32
	v_mul_f16_sdwa v12, s14, v10 dst_sel:DWORD dst_unused:UNUSED_PAD src0_sel:DWORD src1_sel:WORD_1
	v_lshl_add_u64 v[8:9], v[8:9], 0, v[0:1]
	flat_store_short v[8:9], v12
	v_mul_f16_e32 v12, s14, v10
	flat_store_short v[8:9], v12 offset:32
	s_cbranch_execnz .LBB156_7
.LBB156_6:
	s_lshl_b64 s[2:3], s[12:13], 1
	s_add_u32 s2, s4, s2
	s_addc_u32 s3, s5, s3
	v_mul_lo_u32 v3, v3, s10
	v_mul_lo_u32 v12, v2, s11
	v_mad_u64_u32 v[8:9], s[4:5], v2, s10, 0
	v_add3_u32 v9, v9, v12, v3
	v_lshl_add_u64 v[8:9], v[8:9], 1, s[2:3]
	v_lshl_add_u64 v[12:13], v[8:9], 0, v[0:1]
	flat_load_ushort v14, v[12:13]
	v_mad_u64_u32 v[2:3], s[2:3], v2, s24, 0
	v_add3_u32 v3, v3, v7, v6
	v_lshl_add_u64 v[2:3], v[2:3], 1, s[0:1]
	v_lshl_add_u64 v[6:7], v[2:3], 0, v[0:1]
	s_lshl_b64 s[0:1], s[10:11], 5
	v_lshl_add_u64 v[8:9], v[8:9], 0, s[0:1]
	v_lshl_add_u64 v[8:9], v[8:9], 0, v[0:1]
	s_lshl_b64 s[0:1], s[24:25], 5
	v_lshl_add_u64 v[2:3], v[2:3], 0, s[0:1]
	v_lshl_add_u64 v[0:1], v[2:3], 0, v[0:1]
	s_waitcnt vmcnt(0) lgkmcnt(0)
	v_mul_f16_e32 v14, s15, v14
	v_fma_f16 v5, s14, v5, v14
	flat_store_short v[6:7], v5
	flat_load_ushort v5, v[12:13] offset:32
	s_waitcnt vmcnt(0) lgkmcnt(0)
	v_mul_f16_e32 v5, s15, v5
	v_fma_f16 v5, s14, v11, v5
	flat_store_short v[6:7], v5 offset:32
	flat_load_ushort v5, v[8:9]
	s_waitcnt vmcnt(0) lgkmcnt(0)
	v_mul_f16_e32 v5, s15, v5
	v_fma_f16 v4, s14, v4, v5
	flat_store_short v[0:1], v4
	flat_load_ushort v2, v[8:9] offset:32
	s_waitcnt vmcnt(0) lgkmcnt(0)
	v_mul_f16_e32 v2, s15, v2
	v_fma_f16 v2, s14, v10, v2
	flat_store_short v[0:1], v2 offset:32
.LBB156_7:
	s_endpgm
.LBB156_8:
	s_branch .LBB156_6
	.section	.rodata,"a",@progbits
	.p2align	6, 0x0
	.amdhsa_kernel _ZN12_GLOBAL__N_127rocblas_gemm_batched_kernelIDF16_Li16ELi16ELi32ELi32ELi8ELi32ELi8ELi8ELi32ELc78ELc78EKPKDF16_S3_KPDF16_EEvlllT_PT11_llS8_llS6_PT12_llPT13_lli
		.amdhsa_group_segment_fixed_size 1024
		.amdhsa_private_segment_fixed_size 0
		.amdhsa_kernarg_size 140
		.amdhsa_user_sgpr_count 2
		.amdhsa_user_sgpr_dispatch_ptr 0
		.amdhsa_user_sgpr_queue_ptr 0
		.amdhsa_user_sgpr_kernarg_segment_ptr 1
		.amdhsa_user_sgpr_dispatch_id 0
		.amdhsa_user_sgpr_kernarg_preload_length 0
		.amdhsa_user_sgpr_kernarg_preload_offset 0
		.amdhsa_user_sgpr_private_segment_size 0
		.amdhsa_uses_dynamic_stack 0
		.amdhsa_enable_private_segment 0
		.amdhsa_system_sgpr_workgroup_id_x 1
		.amdhsa_system_sgpr_workgroup_id_y 1
		.amdhsa_system_sgpr_workgroup_id_z 1
		.amdhsa_system_sgpr_workgroup_info 0
		.amdhsa_system_vgpr_workitem_id 1
		.amdhsa_next_free_vgpr 40
		.amdhsa_next_free_sgpr 40
		.amdhsa_accum_offset 40
		.amdhsa_reserve_vcc 1
		.amdhsa_float_round_mode_32 0
		.amdhsa_float_round_mode_16_64 0
		.amdhsa_float_denorm_mode_32 3
		.amdhsa_float_denorm_mode_16_64 3
		.amdhsa_dx10_clamp 1
		.amdhsa_ieee_mode 1
		.amdhsa_fp16_overflow 0
		.amdhsa_tg_split 0
		.amdhsa_exception_fp_ieee_invalid_op 0
		.amdhsa_exception_fp_denorm_src 0
		.amdhsa_exception_fp_ieee_div_zero 0
		.amdhsa_exception_fp_ieee_overflow 0
		.amdhsa_exception_fp_ieee_underflow 0
		.amdhsa_exception_fp_ieee_inexact 0
		.amdhsa_exception_int_div_zero 0
	.end_amdhsa_kernel
	.section	.text._ZN12_GLOBAL__N_127rocblas_gemm_batched_kernelIDF16_Li16ELi16ELi32ELi32ELi8ELi32ELi8ELi8ELi32ELc78ELc78EKPKDF16_S3_KPDF16_EEvlllT_PT11_llS8_llS6_PT12_llPT13_lli,"axG",@progbits,_ZN12_GLOBAL__N_127rocblas_gemm_batched_kernelIDF16_Li16ELi16ELi32ELi32ELi8ELi32ELi8ELi8ELi32ELc78ELc78EKPKDF16_S3_KPDF16_EEvlllT_PT11_llS8_llS6_PT12_llPT13_lli,comdat
.Lfunc_end156:
	.size	_ZN12_GLOBAL__N_127rocblas_gemm_batched_kernelIDF16_Li16ELi16ELi32ELi32ELi8ELi32ELi8ELi8ELi32ELc78ELc78EKPKDF16_S3_KPDF16_EEvlllT_PT11_llS8_llS6_PT12_llPT13_lli, .Lfunc_end156-_ZN12_GLOBAL__N_127rocblas_gemm_batched_kernelIDF16_Li16ELi16ELi32ELi32ELi8ELi32ELi8ELi8ELi32ELc78ELc78EKPKDF16_S3_KPDF16_EEvlllT_PT11_llS8_llS6_PT12_llPT13_lli
                                        ; -- End function
	.set _ZN12_GLOBAL__N_127rocblas_gemm_batched_kernelIDF16_Li16ELi16ELi32ELi32ELi8ELi32ELi8ELi8ELi32ELc78ELc78EKPKDF16_S3_KPDF16_EEvlllT_PT11_llS8_llS6_PT12_llPT13_lli.num_vgpr, 40
	.set _ZN12_GLOBAL__N_127rocblas_gemm_batched_kernelIDF16_Li16ELi16ELi32ELi32ELi8ELi32ELi8ELi8ELi32ELc78ELc78EKPKDF16_S3_KPDF16_EEvlllT_PT11_llS8_llS6_PT12_llPT13_lli.num_agpr, 0
	.set _ZN12_GLOBAL__N_127rocblas_gemm_batched_kernelIDF16_Li16ELi16ELi32ELi32ELi8ELi32ELi8ELi8ELi32ELc78ELc78EKPKDF16_S3_KPDF16_EEvlllT_PT11_llS8_llS6_PT12_llPT13_lli.numbered_sgpr, 40
	.set _ZN12_GLOBAL__N_127rocblas_gemm_batched_kernelIDF16_Li16ELi16ELi32ELi32ELi8ELi32ELi8ELi8ELi32ELc78ELc78EKPKDF16_S3_KPDF16_EEvlllT_PT11_llS8_llS6_PT12_llPT13_lli.num_named_barrier, 0
	.set _ZN12_GLOBAL__N_127rocblas_gemm_batched_kernelIDF16_Li16ELi16ELi32ELi32ELi8ELi32ELi8ELi8ELi32ELc78ELc78EKPKDF16_S3_KPDF16_EEvlllT_PT11_llS8_llS6_PT12_llPT13_lli.private_seg_size, 0
	.set _ZN12_GLOBAL__N_127rocblas_gemm_batched_kernelIDF16_Li16ELi16ELi32ELi32ELi8ELi32ELi8ELi8ELi32ELc78ELc78EKPKDF16_S3_KPDF16_EEvlllT_PT11_llS8_llS6_PT12_llPT13_lli.uses_vcc, 1
	.set _ZN12_GLOBAL__N_127rocblas_gemm_batched_kernelIDF16_Li16ELi16ELi32ELi32ELi8ELi32ELi8ELi8ELi32ELc78ELc78EKPKDF16_S3_KPDF16_EEvlllT_PT11_llS8_llS6_PT12_llPT13_lli.uses_flat_scratch, 0
	.set _ZN12_GLOBAL__N_127rocblas_gemm_batched_kernelIDF16_Li16ELi16ELi32ELi32ELi8ELi32ELi8ELi8ELi32ELc78ELc78EKPKDF16_S3_KPDF16_EEvlllT_PT11_llS8_llS6_PT12_llPT13_lli.has_dyn_sized_stack, 0
	.set _ZN12_GLOBAL__N_127rocblas_gemm_batched_kernelIDF16_Li16ELi16ELi32ELi32ELi8ELi32ELi8ELi8ELi32ELc78ELc78EKPKDF16_S3_KPDF16_EEvlllT_PT11_llS8_llS6_PT12_llPT13_lli.has_recursion, 0
	.set _ZN12_GLOBAL__N_127rocblas_gemm_batched_kernelIDF16_Li16ELi16ELi32ELi32ELi8ELi32ELi8ELi8ELi32ELc78ELc78EKPKDF16_S3_KPDF16_EEvlllT_PT11_llS8_llS6_PT12_llPT13_lli.has_indirect_call, 0
	.section	.AMDGPU.csdata,"",@progbits
; Kernel info:
; codeLenInByte = 1360
; TotalNumSgprs: 46
; NumVgprs: 40
; NumAgprs: 0
; TotalNumVgprs: 40
; ScratchSize: 0
; MemoryBound: 0
; FloatMode: 240
; IeeeMode: 1
; LDSByteSize: 1024 bytes/workgroup (compile time only)
; SGPRBlocks: 5
; VGPRBlocks: 4
; NumSGPRsForWavesPerEU: 46
; NumVGPRsForWavesPerEU: 40
; AccumOffset: 40
; Occupancy: 8
; WaveLimiterHint : 1
; COMPUTE_PGM_RSRC2:SCRATCH_EN: 0
; COMPUTE_PGM_RSRC2:USER_SGPR: 2
; COMPUTE_PGM_RSRC2:TRAP_HANDLER: 0
; COMPUTE_PGM_RSRC2:TGID_X_EN: 1
; COMPUTE_PGM_RSRC2:TGID_Y_EN: 1
; COMPUTE_PGM_RSRC2:TGID_Z_EN: 1
; COMPUTE_PGM_RSRC2:TIDIG_COMP_CNT: 1
; COMPUTE_PGM_RSRC3_GFX90A:ACCUM_OFFSET: 9
; COMPUTE_PGM_RSRC3_GFX90A:TG_SPLIT: 0
	.section	.text._ZN12_GLOBAL__N_127rocblas_gemm_batched_kernelIDF16_Li16ELi16ELi32ELi32ELi8ELi32ELi8ELi8ELi32ELc84ELc78EKPKDF16_S3_KPDF16_EEvlllT_PT11_llS8_llS6_PT12_llPT13_lli,"axG",@progbits,_ZN12_GLOBAL__N_127rocblas_gemm_batched_kernelIDF16_Li16ELi16ELi32ELi32ELi8ELi32ELi8ELi8ELi32ELc84ELc78EKPKDF16_S3_KPDF16_EEvlllT_PT11_llS8_llS6_PT12_llPT13_lli,comdat
	.globl	_ZN12_GLOBAL__N_127rocblas_gemm_batched_kernelIDF16_Li16ELi16ELi32ELi32ELi8ELi32ELi8ELi8ELi32ELc84ELc78EKPKDF16_S3_KPDF16_EEvlllT_PT11_llS8_llS6_PT12_llPT13_lli ; -- Begin function _ZN12_GLOBAL__N_127rocblas_gemm_batched_kernelIDF16_Li16ELi16ELi32ELi32ELi8ELi32ELi8ELi8ELi32ELc84ELc78EKPKDF16_S3_KPDF16_EEvlllT_PT11_llS8_llS6_PT12_llPT13_lli
	.p2align	8
	.type	_ZN12_GLOBAL__N_127rocblas_gemm_batched_kernelIDF16_Li16ELi16ELi32ELi32ELi8ELi32ELi8ELi8ELi32ELc84ELc78EKPKDF16_S3_KPDF16_EEvlllT_PT11_llS8_llS6_PT12_llPT13_lli,@function
_ZN12_GLOBAL__N_127rocblas_gemm_batched_kernelIDF16_Li16ELi16ELi32ELi32ELi8ELi32ELi8ELi8ELi32ELc84ELc78EKPKDF16_S3_KPDF16_EEvlllT_PT11_llS8_llS6_PT12_llPT13_lli: ; @_ZN12_GLOBAL__N_127rocblas_gemm_batched_kernelIDF16_Li16ELi16ELi32ELi32ELi8ELi32ELi8ELi8ELi32ELc84ELc78EKPKDF16_S3_KPDF16_EEvlllT_PT11_llS8_llS6_PT12_llPT13_lli
; %bb.0:
	s_load_dwordx2 s[28:29], s[0:1], 0x10
	s_load_dwordx4 s[24:27], s[0:1], 0x78
	s_load_dwordx8 s[8:15], s[0:1], 0x58
	s_mov_b32 s5, 0
	s_lshl_b64 s[30:31], s[4:5], 3
	s_mov_b32 s16, s3
	v_mov_b32_e32 v3, 0
	s_waitcnt lgkmcnt(0)
	s_add_u32 s4, s8, s30
	s_addc_u32 s5, s9, s31
	s_add_u32 s6, s14, s30
	s_addc_u32 s7, s15, s31
	s_load_dwordx2 s[4:5], s[4:5], 0x0
	s_ashr_i32 s3, s2, 31
	s_load_dwordx2 s[6:7], s[6:7], 0x0
	s_ashr_i32 s17, s16, 31
	v_cmp_lt_i64_e64 s[14:15], s[28:29], 1
	v_bfe_u32 v2, v0, 10, 10
	v_and_b32_e32 v0, 0x3ff, v0
	v_mov_b32_e32 v1, v3
	s_lshl_b64 s[2:3], s[2:3], 5
	s_lshl_b64 s[8:9], s[16:17], 5
	s_and_b64 vcc, exec, s[14:15]
	s_cbranch_vccnz .LBB157_3
; %bb.1:
	s_load_dwordx8 s[16:23], s[0:1], 0x20
	s_load_dwordx4 s[36:39], s[0:1], 0x40
	v_lshlrev_b32_e32 v11, 4, v2
	v_add_u32_e32 v10, v11, v0
	v_lshrrev_b32_e32 v4, 3, v10
	s_waitcnt lgkmcnt(0)
	s_add_u32 s14, s16, s30
	s_addc_u32 s15, s17, s31
	v_mov_b32_e32 v5, v3
	v_and_b32_e32 v8, 31, v10
	s_add_u32 s16, s22, s30
	v_lshl_add_u64 v[6:7], v[4:5], 0, s[8:9]
	v_and_b32_e32 v5, 7, v0
	v_lshrrev_b32_e32 v16, 5, v10
	v_lshlrev_b32_e32 v10, 1, v8
	s_addc_u32 s17, s23, s31
	v_lshl_or_b32 v12, v16, 6, v10
	v_lshlrev_b32_e32 v10, 1, v5
	s_load_dwordx2 s[16:17], s[16:17], 0x0
	v_lshl_or_b32 v4, v4, 4, v10
	v_add_u32_e32 v13, 0x200, v4
	v_add_u32_e32 v15, 0x200, v11
	v_mul_lo_u32 v11, s37, v6
	v_mul_lo_u32 v7, s36, v7
	v_mad_u64_u32 v[4:5], s[22:23], s36, v6, 0
	v_add3_u32 v5, v5, v7, v11
	s_lshl_b64 s[22:23], s[38:39], 1
	v_mov_b32_e32 v9, v3
	v_lshl_add_u64 v[4:5], v[4:5], 1, s[22:23]
	v_mov_b32_e32 v11, v3
	s_load_dwordx2 s[14:15], s[14:15], 0x0
	v_lshl_add_u64 v[4:5], v[4:5], 0, v[10:11]
	v_lshl_add_u64 v[6:7], s[2:3], 0, v[8:9]
	s_waitcnt lgkmcnt(0)
	v_lshl_add_u64 v[4:5], s[16:17], 0, v[4:5]
	v_mul_lo_u32 v8, s19, v6
	v_mul_lo_u32 v9, s18, v7
	v_mad_u64_u32 v[6:7], s[16:17], s18, v6, 0
	v_add3_u32 v7, v7, v9, v8
	s_lshl_b64 s[16:17], s[20:21], 1
	v_lshl_add_u64 v[6:7], v[6:7], 1, s[16:17]
	v_lshlrev_b32_e32 v8, 1, v16
	v_mov_b32_e32 v9, v3
	v_lshl_add_u64 v[6:7], v[6:7], 0, v[8:9]
	v_lshlrev_b32_e32 v14, 1, v0
	v_lshl_add_u64 v[6:7], s[14:15], 0, v[6:7]
	s_mov_b64 s[14:15], 0
	s_mov_b32 s16, 0x5040100
	v_mov_b64_e32 v[8:9], s[28:29]
	v_mov_b32_e32 v10, v3
.LBB157_2:                              ; =>This Inner Loop Header: Depth=1
	flat_load_ushort v16, v[6:7]
	s_add_u32 s14, s14, 8
	s_addc_u32 s15, s15, 0
	v_cmp_lt_i64_e32 vcc, s[14:15], v[8:9]
	v_lshl_add_u64 v[6:7], v[6:7], 0, 16
	s_and_b64 vcc, exec, vcc
	s_waitcnt vmcnt(0) lgkmcnt(0)
	ds_write_b16 v12, v16
	flat_load_ushort v16, v[4:5]
	v_lshl_add_u64 v[4:5], v[4:5], 0, 16
	s_waitcnt vmcnt(0) lgkmcnt(0)
	ds_write_b16 v13, v16
	s_waitcnt lgkmcnt(0)
	s_barrier
	ds_read_b128 v[16:19], v15
	ds_read_b128 v[20:23], v15 offset:256
	ds_read_u16 v24, v14
	ds_read_u16 v25, v14 offset:32
	ds_read_u16 v26, v14 offset:64
	ds_read_u16 v27, v14 offset:96
	ds_read_u16 v28, v14 offset:128
	ds_read_u16 v29, v14 offset:160
	ds_read_u16 v30, v14 offset:192
	ds_read_u16 v31, v14 offset:224
	ds_read_u16 v32, v14 offset:256
	ds_read_u16 v33, v14 offset:288
	ds_read_u16 v34, v14 offset:320
	ds_read_u16 v35, v14 offset:352
	ds_read_u16 v36, v14 offset:384
	ds_read_u16 v37, v14 offset:416
	ds_read_u16 v38, v14 offset:448
	ds_read_u16 v39, v14 offset:480
	s_waitcnt lgkmcnt(14)
	v_perm_b32 v24, v24, v25, s16
	s_waitcnt lgkmcnt(12)
	v_perm_b32 v25, v26, v27, s16
	v_pk_fma_f16 v11, v24, v16, v11 op_sel_hi:[1,0,1]
	v_pk_fma_f16 v10, v24, v20, v10 op_sel_hi:[1,0,1]
	s_waitcnt lgkmcnt(10)
	v_perm_b32 v26, v28, v29, s16
	v_pk_fma_f16 v11, v25, v16, v11 op_sel:[0,1,0]
	v_pk_fma_f16 v10, v25, v20, v10 op_sel:[0,1,0]
	s_waitcnt lgkmcnt(8)
	v_perm_b32 v27, v30, v31, s16
	v_pk_fma_f16 v11, v26, v17, v11 op_sel_hi:[1,0,1]
	v_pk_fma_f16 v10, v26, v21, v10 op_sel_hi:[1,0,1]
	s_waitcnt lgkmcnt(6)
	v_perm_b32 v28, v32, v33, s16
	v_pk_fma_f16 v11, v27, v17, v11 op_sel:[0,1,0]
	v_pk_fma_f16 v10, v27, v21, v10 op_sel:[0,1,0]
	;; [unrolled: 8-line block ×3, first 2 shown]
	s_waitcnt lgkmcnt(0)
	v_perm_b32 v31, v38, v39, s16
	v_pk_fma_f16 v11, v30, v19, v11 op_sel_hi:[1,0,1]
	v_pk_fma_f16 v10, v30, v23, v10 op_sel_hi:[1,0,1]
	v_pk_fma_f16 v11, v31, v19, v11 op_sel:[0,1,0]
	v_pk_fma_f16 v10, v31, v23, v10 op_sel:[0,1,0]
	s_barrier
	s_cbranch_vccnz .LBB157_2
	s_branch .LBB157_4
.LBB157_3:
	v_mov_b32_e32 v11, v3
	v_mov_b32_e32 v10, v3
.LBB157_4:
	s_load_dword s14, s[0:1], 0x18
	s_load_dword s15, s[0:1], 0x50
	s_lshl_b64 s[0:1], s[26:27], 1
	s_waitcnt lgkmcnt(0)
	s_add_u32 s0, s6, s0
	s_addc_u32 s1, s7, s1
	v_lshl_add_u64 v[2:3], s[8:9], 0, v[2:3]
	v_cmp_neq_f16_e64 s[6:7], s15, 0
	v_lshl_add_u64 v[0:1], s[2:3], 0, v[0:1]
	s_and_b64 vcc, exec, s[6:7]
	v_mul_lo_u32 v6, v3, s24
	v_mul_lo_u32 v7, v2, s25
	v_lshrrev_b32_e32 v5, 16, v11
	v_lshlrev_b64 v[0:1], 1, v[0:1]
	v_lshrrev_b32_e32 v4, 16, v10
	s_cbranch_vccnz .LBB157_8
; %bb.5:
	v_mad_u64_u32 v[8:9], s[2:3], v2, s24, 0
	v_add3_u32 v9, v9, v7, v6
	v_lshl_add_u64 v[8:9], v[8:9], 1, s[0:1]
	v_mul_f16_sdwa v14, s14, v11 dst_sel:DWORD dst_unused:UNUSED_PAD src0_sel:DWORD src1_sel:WORD_1
	v_lshl_add_u64 v[12:13], v[8:9], 0, v[0:1]
	s_lshl_b64 s[2:3], s[24:25], 5
	flat_store_short v[12:13], v14
	v_mul_f16_e32 v14, s14, v11
	v_lshl_add_u64 v[8:9], v[8:9], 0, s[2:3]
	flat_store_short v[12:13], v14 offset:32
	v_mul_f16_sdwa v12, s14, v10 dst_sel:DWORD dst_unused:UNUSED_PAD src0_sel:DWORD src1_sel:WORD_1
	v_lshl_add_u64 v[8:9], v[8:9], 0, v[0:1]
	flat_store_short v[8:9], v12
	v_mul_f16_e32 v12, s14, v10
	flat_store_short v[8:9], v12 offset:32
	s_cbranch_execnz .LBB157_7
.LBB157_6:
	s_lshl_b64 s[2:3], s[12:13], 1
	s_add_u32 s2, s4, s2
	s_addc_u32 s3, s5, s3
	v_mul_lo_u32 v3, v3, s10
	v_mul_lo_u32 v12, v2, s11
	v_mad_u64_u32 v[8:9], s[4:5], v2, s10, 0
	v_add3_u32 v9, v9, v12, v3
	v_lshl_add_u64 v[8:9], v[8:9], 1, s[2:3]
	v_lshl_add_u64 v[12:13], v[8:9], 0, v[0:1]
	flat_load_ushort v14, v[12:13]
	v_mad_u64_u32 v[2:3], s[2:3], v2, s24, 0
	v_add3_u32 v3, v3, v7, v6
	v_lshl_add_u64 v[2:3], v[2:3], 1, s[0:1]
	v_lshl_add_u64 v[6:7], v[2:3], 0, v[0:1]
	s_lshl_b64 s[0:1], s[10:11], 5
	v_lshl_add_u64 v[8:9], v[8:9], 0, s[0:1]
	v_lshl_add_u64 v[8:9], v[8:9], 0, v[0:1]
	s_lshl_b64 s[0:1], s[24:25], 5
	v_lshl_add_u64 v[2:3], v[2:3], 0, s[0:1]
	v_lshl_add_u64 v[0:1], v[2:3], 0, v[0:1]
	s_waitcnt vmcnt(0) lgkmcnt(0)
	v_mul_f16_e32 v14, s15, v14
	v_fma_f16 v5, s14, v5, v14
	flat_store_short v[6:7], v5
	flat_load_ushort v5, v[12:13] offset:32
	s_waitcnt vmcnt(0) lgkmcnt(0)
	v_mul_f16_e32 v5, s15, v5
	v_fma_f16 v5, s14, v11, v5
	flat_store_short v[6:7], v5 offset:32
	flat_load_ushort v5, v[8:9]
	s_waitcnt vmcnt(0) lgkmcnt(0)
	v_mul_f16_e32 v5, s15, v5
	v_fma_f16 v4, s14, v4, v5
	flat_store_short v[0:1], v4
	flat_load_ushort v2, v[8:9] offset:32
	s_waitcnt vmcnt(0) lgkmcnt(0)
	v_mul_f16_e32 v2, s15, v2
	v_fma_f16 v2, s14, v10, v2
	flat_store_short v[0:1], v2 offset:32
.LBB157_7:
	s_endpgm
.LBB157_8:
	s_branch .LBB157_6
	.section	.rodata,"a",@progbits
	.p2align	6, 0x0
	.amdhsa_kernel _ZN12_GLOBAL__N_127rocblas_gemm_batched_kernelIDF16_Li16ELi16ELi32ELi32ELi8ELi32ELi8ELi8ELi32ELc84ELc78EKPKDF16_S3_KPDF16_EEvlllT_PT11_llS8_llS6_PT12_llPT13_lli
		.amdhsa_group_segment_fixed_size 1024
		.amdhsa_private_segment_fixed_size 0
		.amdhsa_kernarg_size 140
		.amdhsa_user_sgpr_count 2
		.amdhsa_user_sgpr_dispatch_ptr 0
		.amdhsa_user_sgpr_queue_ptr 0
		.amdhsa_user_sgpr_kernarg_segment_ptr 1
		.amdhsa_user_sgpr_dispatch_id 0
		.amdhsa_user_sgpr_kernarg_preload_length 0
		.amdhsa_user_sgpr_kernarg_preload_offset 0
		.amdhsa_user_sgpr_private_segment_size 0
		.amdhsa_uses_dynamic_stack 0
		.amdhsa_enable_private_segment 0
		.amdhsa_system_sgpr_workgroup_id_x 1
		.amdhsa_system_sgpr_workgroup_id_y 1
		.amdhsa_system_sgpr_workgroup_id_z 1
		.amdhsa_system_sgpr_workgroup_info 0
		.amdhsa_system_vgpr_workitem_id 1
		.amdhsa_next_free_vgpr 40
		.amdhsa_next_free_sgpr 40
		.amdhsa_accum_offset 40
		.amdhsa_reserve_vcc 1
		.amdhsa_float_round_mode_32 0
		.amdhsa_float_round_mode_16_64 0
		.amdhsa_float_denorm_mode_32 3
		.amdhsa_float_denorm_mode_16_64 3
		.amdhsa_dx10_clamp 1
		.amdhsa_ieee_mode 1
		.amdhsa_fp16_overflow 0
		.amdhsa_tg_split 0
		.amdhsa_exception_fp_ieee_invalid_op 0
		.amdhsa_exception_fp_denorm_src 0
		.amdhsa_exception_fp_ieee_div_zero 0
		.amdhsa_exception_fp_ieee_overflow 0
		.amdhsa_exception_fp_ieee_underflow 0
		.amdhsa_exception_fp_ieee_inexact 0
		.amdhsa_exception_int_div_zero 0
	.end_amdhsa_kernel
	.section	.text._ZN12_GLOBAL__N_127rocblas_gemm_batched_kernelIDF16_Li16ELi16ELi32ELi32ELi8ELi32ELi8ELi8ELi32ELc84ELc78EKPKDF16_S3_KPDF16_EEvlllT_PT11_llS8_llS6_PT12_llPT13_lli,"axG",@progbits,_ZN12_GLOBAL__N_127rocblas_gemm_batched_kernelIDF16_Li16ELi16ELi32ELi32ELi8ELi32ELi8ELi8ELi32ELc84ELc78EKPKDF16_S3_KPDF16_EEvlllT_PT11_llS8_llS6_PT12_llPT13_lli,comdat
.Lfunc_end157:
	.size	_ZN12_GLOBAL__N_127rocblas_gemm_batched_kernelIDF16_Li16ELi16ELi32ELi32ELi8ELi32ELi8ELi8ELi32ELc84ELc78EKPKDF16_S3_KPDF16_EEvlllT_PT11_llS8_llS6_PT12_llPT13_lli, .Lfunc_end157-_ZN12_GLOBAL__N_127rocblas_gemm_batched_kernelIDF16_Li16ELi16ELi32ELi32ELi8ELi32ELi8ELi8ELi32ELc84ELc78EKPKDF16_S3_KPDF16_EEvlllT_PT11_llS8_llS6_PT12_llPT13_lli
                                        ; -- End function
	.set _ZN12_GLOBAL__N_127rocblas_gemm_batched_kernelIDF16_Li16ELi16ELi32ELi32ELi8ELi32ELi8ELi8ELi32ELc84ELc78EKPKDF16_S3_KPDF16_EEvlllT_PT11_llS8_llS6_PT12_llPT13_lli.num_vgpr, 40
	.set _ZN12_GLOBAL__N_127rocblas_gemm_batched_kernelIDF16_Li16ELi16ELi32ELi32ELi8ELi32ELi8ELi8ELi32ELc84ELc78EKPKDF16_S3_KPDF16_EEvlllT_PT11_llS8_llS6_PT12_llPT13_lli.num_agpr, 0
	.set _ZN12_GLOBAL__N_127rocblas_gemm_batched_kernelIDF16_Li16ELi16ELi32ELi32ELi8ELi32ELi8ELi8ELi32ELc84ELc78EKPKDF16_S3_KPDF16_EEvlllT_PT11_llS8_llS6_PT12_llPT13_lli.numbered_sgpr, 40
	.set _ZN12_GLOBAL__N_127rocblas_gemm_batched_kernelIDF16_Li16ELi16ELi32ELi32ELi8ELi32ELi8ELi8ELi32ELc84ELc78EKPKDF16_S3_KPDF16_EEvlllT_PT11_llS8_llS6_PT12_llPT13_lli.num_named_barrier, 0
	.set _ZN12_GLOBAL__N_127rocblas_gemm_batched_kernelIDF16_Li16ELi16ELi32ELi32ELi8ELi32ELi8ELi8ELi32ELc84ELc78EKPKDF16_S3_KPDF16_EEvlllT_PT11_llS8_llS6_PT12_llPT13_lli.private_seg_size, 0
	.set _ZN12_GLOBAL__N_127rocblas_gemm_batched_kernelIDF16_Li16ELi16ELi32ELi32ELi8ELi32ELi8ELi8ELi32ELc84ELc78EKPKDF16_S3_KPDF16_EEvlllT_PT11_llS8_llS6_PT12_llPT13_lli.uses_vcc, 1
	.set _ZN12_GLOBAL__N_127rocblas_gemm_batched_kernelIDF16_Li16ELi16ELi32ELi32ELi8ELi32ELi8ELi8ELi32ELc84ELc78EKPKDF16_S3_KPDF16_EEvlllT_PT11_llS8_llS6_PT12_llPT13_lli.uses_flat_scratch, 0
	.set _ZN12_GLOBAL__N_127rocblas_gemm_batched_kernelIDF16_Li16ELi16ELi32ELi32ELi8ELi32ELi8ELi8ELi32ELc84ELc78EKPKDF16_S3_KPDF16_EEvlllT_PT11_llS8_llS6_PT12_llPT13_lli.has_dyn_sized_stack, 0
	.set _ZN12_GLOBAL__N_127rocblas_gemm_batched_kernelIDF16_Li16ELi16ELi32ELi32ELi8ELi32ELi8ELi8ELi32ELc84ELc78EKPKDF16_S3_KPDF16_EEvlllT_PT11_llS8_llS6_PT12_llPT13_lli.has_recursion, 0
	.set _ZN12_GLOBAL__N_127rocblas_gemm_batched_kernelIDF16_Li16ELi16ELi32ELi32ELi8ELi32ELi8ELi8ELi32ELc84ELc78EKPKDF16_S3_KPDF16_EEvlllT_PT11_llS8_llS6_PT12_llPT13_lli.has_indirect_call, 0
	.section	.AMDGPU.csdata,"",@progbits
; Kernel info:
; codeLenInByte = 1372
; TotalNumSgprs: 46
; NumVgprs: 40
; NumAgprs: 0
; TotalNumVgprs: 40
; ScratchSize: 0
; MemoryBound: 0
; FloatMode: 240
; IeeeMode: 1
; LDSByteSize: 1024 bytes/workgroup (compile time only)
; SGPRBlocks: 5
; VGPRBlocks: 4
; NumSGPRsForWavesPerEU: 46
; NumVGPRsForWavesPerEU: 40
; AccumOffset: 40
; Occupancy: 8
; WaveLimiterHint : 1
; COMPUTE_PGM_RSRC2:SCRATCH_EN: 0
; COMPUTE_PGM_RSRC2:USER_SGPR: 2
; COMPUTE_PGM_RSRC2:TRAP_HANDLER: 0
; COMPUTE_PGM_RSRC2:TGID_X_EN: 1
; COMPUTE_PGM_RSRC2:TGID_Y_EN: 1
; COMPUTE_PGM_RSRC2:TGID_Z_EN: 1
; COMPUTE_PGM_RSRC2:TIDIG_COMP_CNT: 1
; COMPUTE_PGM_RSRC3_GFX90A:ACCUM_OFFSET: 9
; COMPUTE_PGM_RSRC3_GFX90A:TG_SPLIT: 0
	.section	.text._ZN12_GLOBAL__N_127rocblas_gemm_batched_kernelIDF16_Li16ELi16ELi32ELi32ELi8ELi32ELi8ELi8ELi32ELc78ELc84EKPKDF16_S3_KPDF16_EEvlllT_PT11_llS8_llS6_PT12_llPT13_lli,"axG",@progbits,_ZN12_GLOBAL__N_127rocblas_gemm_batched_kernelIDF16_Li16ELi16ELi32ELi32ELi8ELi32ELi8ELi8ELi32ELc78ELc84EKPKDF16_S3_KPDF16_EEvlllT_PT11_llS8_llS6_PT12_llPT13_lli,comdat
	.globl	_ZN12_GLOBAL__N_127rocblas_gemm_batched_kernelIDF16_Li16ELi16ELi32ELi32ELi8ELi32ELi8ELi8ELi32ELc78ELc84EKPKDF16_S3_KPDF16_EEvlllT_PT11_llS8_llS6_PT12_llPT13_lli ; -- Begin function _ZN12_GLOBAL__N_127rocblas_gemm_batched_kernelIDF16_Li16ELi16ELi32ELi32ELi8ELi32ELi8ELi8ELi32ELc78ELc84EKPKDF16_S3_KPDF16_EEvlllT_PT11_llS8_llS6_PT12_llPT13_lli
	.p2align	8
	.type	_ZN12_GLOBAL__N_127rocblas_gemm_batched_kernelIDF16_Li16ELi16ELi32ELi32ELi8ELi32ELi8ELi8ELi32ELc78ELc84EKPKDF16_S3_KPDF16_EEvlllT_PT11_llS8_llS6_PT12_llPT13_lli,@function
_ZN12_GLOBAL__N_127rocblas_gemm_batched_kernelIDF16_Li16ELi16ELi32ELi32ELi8ELi32ELi8ELi8ELi32ELc78ELc84EKPKDF16_S3_KPDF16_EEvlllT_PT11_llS8_llS6_PT12_llPT13_lli: ; @_ZN12_GLOBAL__N_127rocblas_gemm_batched_kernelIDF16_Li16ELi16ELi32ELi32ELi8ELi32ELi8ELi8ELi32ELc78ELc84EKPKDF16_S3_KPDF16_EEvlllT_PT11_llS8_llS6_PT12_llPT13_lli
; %bb.0:
	s_load_dwordx2 s[30:31], s[0:1], 0x10
	s_load_dwordx4 s[24:27], s[0:1], 0x78
	s_load_dwordx8 s[8:15], s[0:1], 0x58
	s_mov_b32 s5, 0
	s_lshl_b64 s[34:35], s[4:5], 3
	s_mov_b32 s6, s3
	v_mov_b32_e32 v3, 0
	s_waitcnt lgkmcnt(0)
	s_add_u32 s4, s8, s34
	s_addc_u32 s5, s9, s35
	s_load_dwordx2 s[8:9], s[4:5], 0x0
	s_add_u32 s4, s14, s34
	s_addc_u32 s5, s15, s35
	s_load_dwordx2 s[14:15], s[4:5], 0x0
	s_ashr_i32 s3, s2, 31
	s_ashr_i32 s7, s6, 31
	v_cmp_lt_i64_e64 s[4:5], s[30:31], 1
	v_bfe_u32 v2, v0, 10, 10
	v_and_b32_e32 v0, 0x3ff, v0
	v_mov_b32_e32 v1, v3
	s_lshl_b64 s[2:3], s[2:3], 5
	s_lshl_b64 s[28:29], s[6:7], 5
	s_and_b64 vcc, exec, s[4:5]
	s_cbranch_vccnz .LBB158_3
; %bb.1:
	s_load_dwordx8 s[16:23], s[0:1], 0x20
	s_load_dwordx4 s[4:7], s[0:1], 0x40
	v_lshlrev_b32_e32 v8, 4, v2
	v_add_u32_e32 v9, v8, v0
	v_and_b32_e32 v6, 31, v9
	s_waitcnt lgkmcnt(0)
	s_add_u32 s16, s16, s34
	s_addc_u32 s17, s17, s35
	s_add_u32 s22, s22, s34
	s_addc_u32 s23, s23, s35
	s_load_dwordx2 s[22:23], s[22:23], 0x0
	v_lshrrev_b32_e32 v4, 3, v9
	v_and_b32_e32 v10, 7, v0
	v_lshrrev_b32_e32 v11, 5, v9
	v_lshlrev_b32_e32 v9, 1, v6
	v_mov_b32_e32 v5, v3
	v_lshl_or_b32 v12, v11, 6, v9
	v_lshlrev_b32_e32 v9, 1, v10
	v_lshl_or_b32 v9, v4, 4, v9
	v_mad_u64_u32 v[4:5], s[34:35], s4, v10, v[4:5]
	v_add_u32_e32 v15, 0x200, v8
	v_mov_b32_e32 v8, v5
	v_add_u32_e32 v13, 0x200, v9
	s_lshl_b64 s[6:7], s[6:7], 1
	v_mad_u64_u32 v[8:9], s[34:35], s5, v10, v[8:9]
	s_load_dwordx2 s[16:17], s[16:17], 0x0
	v_mov_b32_e32 v5, v8
	s_waitcnt lgkmcnt(0)
	s_add_u32 s6, s22, s6
	v_lshl_add_u64 v[4:5], v[4:5], 0, s[28:29]
	s_addc_u32 s7, s23, s7
	v_mov_b64_e32 v[8:9], s[2:3]
	v_lshl_add_u64 v[4:5], v[4:5], 1, s[6:7]
	s_lshl_b64 s[6:7], s[20:21], 1
	v_mad_u64_u32 v[8:9], s[20:21], s18, v11, v[8:9]
	v_mov_b32_e32 v10, v9
	s_lshl_b64 s[4:5], s[4:5], 4
	v_mad_u64_u32 v[10:11], s[20:21], s19, v11, v[10:11]
	v_mov_b32_e32 v7, v3
	v_mov_b32_e32 v9, v10
	s_add_u32 s6, s16, s6
	v_lshl_add_u64 v[6:7], v[8:9], 0, v[6:7]
	s_addc_u32 s7, s17, s7
	v_lshlrev_b32_e32 v14, 1, v0
	v_lshl_add_u64 v[6:7], v[6:7], 1, s[6:7]
	s_lshl_b64 s[6:7], s[18:19], 4
	s_mov_b64 s[16:17], 0
	s_mov_b32 s18, 0x5040100
	v_mov_b64_e32 v[8:9], s[30:31]
	v_mov_b32_e32 v10, v3
	v_mov_b32_e32 v11, v3
.LBB158_2:                              ; =>This Inner Loop Header: Depth=1
	flat_load_ushort v16, v[6:7]
	s_add_u32 s16, s16, 8
	s_addc_u32 s17, s17, 0
	v_cmp_lt_i64_e32 vcc, s[16:17], v[8:9]
	v_lshl_add_u64 v[6:7], v[6:7], 0, s[6:7]
	s_and_b64 vcc, exec, vcc
	s_waitcnt vmcnt(0) lgkmcnt(0)
	ds_write_b16 v12, v16
	flat_load_ushort v16, v[4:5]
	v_lshl_add_u64 v[4:5], v[4:5], 0, s[4:5]
	s_waitcnt vmcnt(0) lgkmcnt(0)
	ds_write_b16 v13, v16
	s_waitcnt lgkmcnt(0)
	s_barrier
	ds_read_b128 v[16:19], v15
	ds_read_b128 v[20:23], v15 offset:256
	ds_read_u16 v24, v14
	ds_read_u16 v25, v14 offset:32
	ds_read_u16 v26, v14 offset:64
	;; [unrolled: 1-line block ×15, first 2 shown]
	s_waitcnt lgkmcnt(14)
	v_perm_b32 v24, v24, v25, s18
	s_waitcnt lgkmcnt(12)
	v_perm_b32 v25, v26, v27, s18
	v_pk_fma_f16 v11, v24, v16, v11 op_sel_hi:[1,0,1]
	v_pk_fma_f16 v10, v24, v20, v10 op_sel_hi:[1,0,1]
	s_waitcnt lgkmcnt(10)
	v_perm_b32 v26, v28, v29, s18
	v_pk_fma_f16 v11, v25, v16, v11 op_sel:[0,1,0]
	v_pk_fma_f16 v10, v25, v20, v10 op_sel:[0,1,0]
	s_waitcnt lgkmcnt(8)
	v_perm_b32 v27, v30, v31, s18
	v_pk_fma_f16 v11, v26, v17, v11 op_sel_hi:[1,0,1]
	v_pk_fma_f16 v10, v26, v21, v10 op_sel_hi:[1,0,1]
	s_waitcnt lgkmcnt(6)
	v_perm_b32 v28, v32, v33, s18
	v_pk_fma_f16 v11, v27, v17, v11 op_sel:[0,1,0]
	v_pk_fma_f16 v10, v27, v21, v10 op_sel:[0,1,0]
	;; [unrolled: 8-line block ×3, first 2 shown]
	s_waitcnt lgkmcnt(0)
	v_perm_b32 v31, v38, v39, s18
	v_pk_fma_f16 v11, v30, v19, v11 op_sel_hi:[1,0,1]
	v_pk_fma_f16 v10, v30, v23, v10 op_sel_hi:[1,0,1]
	v_pk_fma_f16 v11, v31, v19, v11 op_sel:[0,1,0]
	v_pk_fma_f16 v10, v31, v23, v10 op_sel:[0,1,0]
	s_barrier
	s_cbranch_vccnz .LBB158_2
	s_branch .LBB158_4
.LBB158_3:
	v_mov_b32_e32 v11, v3
	v_mov_b32_e32 v10, v3
.LBB158_4:
	s_load_dword s4, s[0:1], 0x18
	s_load_dword s5, s[0:1], 0x50
	s_lshl_b64 s[0:1], s[26:27], 1
	s_waitcnt lgkmcnt(0)
	s_add_u32 s0, s14, s0
	v_lshl_add_u64 v[2:3], s[28:29], 0, v[2:3]
	v_lshl_add_u64 v[0:1], s[2:3], 0, v[0:1]
	v_cmp_neq_f16_e64 s[6:7], s5, 0
	s_addc_u32 s1, s15, s1
	s_and_b64 vcc, exec, s[6:7]
	v_mul_lo_u32 v6, v3, s24
	v_mul_lo_u32 v7, v2, s25
	v_lshrrev_b32_e32 v5, 16, v11
	v_lshlrev_b64 v[0:1], 1, v[0:1]
	v_lshrrev_b32_e32 v4, 16, v10
	s_cbranch_vccnz .LBB158_8
; %bb.5:
	v_mad_u64_u32 v[8:9], s[2:3], v2, s24, 0
	v_add3_u32 v9, v9, v7, v6
	v_lshl_add_u64 v[8:9], v[8:9], 1, s[0:1]
	v_mul_f16_sdwa v14, s4, v11 dst_sel:DWORD dst_unused:UNUSED_PAD src0_sel:DWORD src1_sel:WORD_1
	v_lshl_add_u64 v[12:13], v[8:9], 0, v[0:1]
	s_lshl_b64 s[2:3], s[24:25], 5
	flat_store_short v[12:13], v14
	v_mul_f16_e32 v14, s4, v11
	v_lshl_add_u64 v[8:9], v[8:9], 0, s[2:3]
	flat_store_short v[12:13], v14 offset:32
	v_mul_f16_sdwa v12, s4, v10 dst_sel:DWORD dst_unused:UNUSED_PAD src0_sel:DWORD src1_sel:WORD_1
	v_lshl_add_u64 v[8:9], v[8:9], 0, v[0:1]
	flat_store_short v[8:9], v12
	v_mul_f16_e32 v12, s4, v10
	flat_store_short v[8:9], v12 offset:32
	s_cbranch_execnz .LBB158_7
.LBB158_6:
	s_lshl_b64 s[2:3], s[12:13], 1
	s_add_u32 s2, s8, s2
	v_mul_lo_u32 v3, v3, s10
	v_mul_lo_u32 v12, v2, s11
	v_mad_u64_u32 v[8:9], s[6:7], v2, s10, 0
	s_addc_u32 s3, s9, s3
	v_add3_u32 v9, v9, v12, v3
	v_lshl_add_u64 v[8:9], v[8:9], 1, s[2:3]
	v_lshl_add_u64 v[12:13], v[8:9], 0, v[0:1]
	flat_load_ushort v14, v[12:13]
	v_mad_u64_u32 v[2:3], s[2:3], v2, s24, 0
	v_add3_u32 v3, v3, v7, v6
	v_lshl_add_u64 v[2:3], v[2:3], 1, s[0:1]
	v_lshl_add_u64 v[6:7], v[2:3], 0, v[0:1]
	s_lshl_b64 s[0:1], s[10:11], 5
	v_lshl_add_u64 v[8:9], v[8:9], 0, s[0:1]
	v_lshl_add_u64 v[8:9], v[8:9], 0, v[0:1]
	s_lshl_b64 s[0:1], s[24:25], 5
	v_lshl_add_u64 v[2:3], v[2:3], 0, s[0:1]
	v_lshl_add_u64 v[0:1], v[2:3], 0, v[0:1]
	s_waitcnt vmcnt(0) lgkmcnt(0)
	v_mul_f16_e32 v14, s5, v14
	v_fma_f16 v5, s4, v5, v14
	flat_store_short v[6:7], v5
	flat_load_ushort v5, v[12:13] offset:32
	s_waitcnt vmcnt(0) lgkmcnt(0)
	v_mul_f16_e32 v5, s5, v5
	v_fma_f16 v5, s4, v11, v5
	flat_store_short v[6:7], v5 offset:32
	flat_load_ushort v5, v[8:9]
	s_waitcnt vmcnt(0) lgkmcnt(0)
	v_mul_f16_e32 v5, s5, v5
	v_fma_f16 v4, s4, v4, v5
	flat_store_short v[0:1], v4
	flat_load_ushort v2, v[8:9] offset:32
	s_waitcnt vmcnt(0) lgkmcnt(0)
	v_mul_f16_e32 v2, s5, v2
	v_fma_f16 v2, s4, v10, v2
	flat_store_short v[0:1], v2 offset:32
.LBB158_7:
	s_endpgm
.LBB158_8:
	s_branch .LBB158_6
	.section	.rodata,"a",@progbits
	.p2align	6, 0x0
	.amdhsa_kernel _ZN12_GLOBAL__N_127rocblas_gemm_batched_kernelIDF16_Li16ELi16ELi32ELi32ELi8ELi32ELi8ELi8ELi32ELc78ELc84EKPKDF16_S3_KPDF16_EEvlllT_PT11_llS8_llS6_PT12_llPT13_lli
		.amdhsa_group_segment_fixed_size 1024
		.amdhsa_private_segment_fixed_size 0
		.amdhsa_kernarg_size 140
		.amdhsa_user_sgpr_count 2
		.amdhsa_user_sgpr_dispatch_ptr 0
		.amdhsa_user_sgpr_queue_ptr 0
		.amdhsa_user_sgpr_kernarg_segment_ptr 1
		.amdhsa_user_sgpr_dispatch_id 0
		.amdhsa_user_sgpr_kernarg_preload_length 0
		.amdhsa_user_sgpr_kernarg_preload_offset 0
		.amdhsa_user_sgpr_private_segment_size 0
		.amdhsa_uses_dynamic_stack 0
		.amdhsa_enable_private_segment 0
		.amdhsa_system_sgpr_workgroup_id_x 1
		.amdhsa_system_sgpr_workgroup_id_y 1
		.amdhsa_system_sgpr_workgroup_id_z 1
		.amdhsa_system_sgpr_workgroup_info 0
		.amdhsa_system_vgpr_workitem_id 1
		.amdhsa_next_free_vgpr 40
		.amdhsa_next_free_sgpr 36
		.amdhsa_accum_offset 40
		.amdhsa_reserve_vcc 1
		.amdhsa_float_round_mode_32 0
		.amdhsa_float_round_mode_16_64 0
		.amdhsa_float_denorm_mode_32 3
		.amdhsa_float_denorm_mode_16_64 3
		.amdhsa_dx10_clamp 1
		.amdhsa_ieee_mode 1
		.amdhsa_fp16_overflow 0
		.amdhsa_tg_split 0
		.amdhsa_exception_fp_ieee_invalid_op 0
		.amdhsa_exception_fp_denorm_src 0
		.amdhsa_exception_fp_ieee_div_zero 0
		.amdhsa_exception_fp_ieee_overflow 0
		.amdhsa_exception_fp_ieee_underflow 0
		.amdhsa_exception_fp_ieee_inexact 0
		.amdhsa_exception_int_div_zero 0
	.end_amdhsa_kernel
	.section	.text._ZN12_GLOBAL__N_127rocblas_gemm_batched_kernelIDF16_Li16ELi16ELi32ELi32ELi8ELi32ELi8ELi8ELi32ELc78ELc84EKPKDF16_S3_KPDF16_EEvlllT_PT11_llS8_llS6_PT12_llPT13_lli,"axG",@progbits,_ZN12_GLOBAL__N_127rocblas_gemm_batched_kernelIDF16_Li16ELi16ELi32ELi32ELi8ELi32ELi8ELi8ELi32ELc78ELc84EKPKDF16_S3_KPDF16_EEvlllT_PT11_llS8_llS6_PT12_llPT13_lli,comdat
.Lfunc_end158:
	.size	_ZN12_GLOBAL__N_127rocblas_gemm_batched_kernelIDF16_Li16ELi16ELi32ELi32ELi8ELi32ELi8ELi8ELi32ELc78ELc84EKPKDF16_S3_KPDF16_EEvlllT_PT11_llS8_llS6_PT12_llPT13_lli, .Lfunc_end158-_ZN12_GLOBAL__N_127rocblas_gemm_batched_kernelIDF16_Li16ELi16ELi32ELi32ELi8ELi32ELi8ELi8ELi32ELc78ELc84EKPKDF16_S3_KPDF16_EEvlllT_PT11_llS8_llS6_PT12_llPT13_lli
                                        ; -- End function
	.set _ZN12_GLOBAL__N_127rocblas_gemm_batched_kernelIDF16_Li16ELi16ELi32ELi32ELi8ELi32ELi8ELi8ELi32ELc78ELc84EKPKDF16_S3_KPDF16_EEvlllT_PT11_llS8_llS6_PT12_llPT13_lli.num_vgpr, 40
	.set _ZN12_GLOBAL__N_127rocblas_gemm_batched_kernelIDF16_Li16ELi16ELi32ELi32ELi8ELi32ELi8ELi8ELi32ELc78ELc84EKPKDF16_S3_KPDF16_EEvlllT_PT11_llS8_llS6_PT12_llPT13_lli.num_agpr, 0
	.set _ZN12_GLOBAL__N_127rocblas_gemm_batched_kernelIDF16_Li16ELi16ELi32ELi32ELi8ELi32ELi8ELi8ELi32ELc78ELc84EKPKDF16_S3_KPDF16_EEvlllT_PT11_llS8_llS6_PT12_llPT13_lli.numbered_sgpr, 36
	.set _ZN12_GLOBAL__N_127rocblas_gemm_batched_kernelIDF16_Li16ELi16ELi32ELi32ELi8ELi32ELi8ELi8ELi32ELc78ELc84EKPKDF16_S3_KPDF16_EEvlllT_PT11_llS8_llS6_PT12_llPT13_lli.num_named_barrier, 0
	.set _ZN12_GLOBAL__N_127rocblas_gemm_batched_kernelIDF16_Li16ELi16ELi32ELi32ELi8ELi32ELi8ELi8ELi32ELc78ELc84EKPKDF16_S3_KPDF16_EEvlllT_PT11_llS8_llS6_PT12_llPT13_lli.private_seg_size, 0
	.set _ZN12_GLOBAL__N_127rocblas_gemm_batched_kernelIDF16_Li16ELi16ELi32ELi32ELi8ELi32ELi8ELi8ELi32ELc78ELc84EKPKDF16_S3_KPDF16_EEvlllT_PT11_llS8_llS6_PT12_llPT13_lli.uses_vcc, 1
	.set _ZN12_GLOBAL__N_127rocblas_gemm_batched_kernelIDF16_Li16ELi16ELi32ELi32ELi8ELi32ELi8ELi8ELi32ELc78ELc84EKPKDF16_S3_KPDF16_EEvlllT_PT11_llS8_llS6_PT12_llPT13_lli.uses_flat_scratch, 0
	.set _ZN12_GLOBAL__N_127rocblas_gemm_batched_kernelIDF16_Li16ELi16ELi32ELi32ELi8ELi32ELi8ELi8ELi32ELc78ELc84EKPKDF16_S3_KPDF16_EEvlllT_PT11_llS8_llS6_PT12_llPT13_lli.has_dyn_sized_stack, 0
	.set _ZN12_GLOBAL__N_127rocblas_gemm_batched_kernelIDF16_Li16ELi16ELi32ELi32ELi8ELi32ELi8ELi8ELi32ELc78ELc84EKPKDF16_S3_KPDF16_EEvlllT_PT11_llS8_llS6_PT12_llPT13_lli.has_recursion, 0
	.set _ZN12_GLOBAL__N_127rocblas_gemm_batched_kernelIDF16_Li16ELi16ELi32ELi32ELi8ELi32ELi8ELi8ELi32ELc78ELc84EKPKDF16_S3_KPDF16_EEvlllT_PT11_llS8_llS6_PT12_llPT13_lli.has_indirect_call, 0
	.section	.AMDGPU.csdata,"",@progbits
; Kernel info:
; codeLenInByte = 1344
; TotalNumSgprs: 42
; NumVgprs: 40
; NumAgprs: 0
; TotalNumVgprs: 40
; ScratchSize: 0
; MemoryBound: 0
; FloatMode: 240
; IeeeMode: 1
; LDSByteSize: 1024 bytes/workgroup (compile time only)
; SGPRBlocks: 5
; VGPRBlocks: 4
; NumSGPRsForWavesPerEU: 42
; NumVGPRsForWavesPerEU: 40
; AccumOffset: 40
; Occupancy: 8
; WaveLimiterHint : 1
; COMPUTE_PGM_RSRC2:SCRATCH_EN: 0
; COMPUTE_PGM_RSRC2:USER_SGPR: 2
; COMPUTE_PGM_RSRC2:TRAP_HANDLER: 0
; COMPUTE_PGM_RSRC2:TGID_X_EN: 1
; COMPUTE_PGM_RSRC2:TGID_Y_EN: 1
; COMPUTE_PGM_RSRC2:TGID_Z_EN: 1
; COMPUTE_PGM_RSRC2:TIDIG_COMP_CNT: 1
; COMPUTE_PGM_RSRC3_GFX90A:ACCUM_OFFSET: 9
; COMPUTE_PGM_RSRC3_GFX90A:TG_SPLIT: 0
	.section	.text._ZN12_GLOBAL__N_127rocblas_gemm_batched_kernelIDF16_Li16ELi16ELi32ELi32ELi8ELi32ELi8ELi8ELi32ELc84ELc84EKPKDF16_S3_KPDF16_EEvlllT_PT11_llS8_llS6_PT12_llPT13_lli,"axG",@progbits,_ZN12_GLOBAL__N_127rocblas_gemm_batched_kernelIDF16_Li16ELi16ELi32ELi32ELi8ELi32ELi8ELi8ELi32ELc84ELc84EKPKDF16_S3_KPDF16_EEvlllT_PT11_llS8_llS6_PT12_llPT13_lli,comdat
	.globl	_ZN12_GLOBAL__N_127rocblas_gemm_batched_kernelIDF16_Li16ELi16ELi32ELi32ELi8ELi32ELi8ELi8ELi32ELc84ELc84EKPKDF16_S3_KPDF16_EEvlllT_PT11_llS8_llS6_PT12_llPT13_lli ; -- Begin function _ZN12_GLOBAL__N_127rocblas_gemm_batched_kernelIDF16_Li16ELi16ELi32ELi32ELi8ELi32ELi8ELi8ELi32ELc84ELc84EKPKDF16_S3_KPDF16_EEvlllT_PT11_llS8_llS6_PT12_llPT13_lli
	.p2align	8
	.type	_ZN12_GLOBAL__N_127rocblas_gemm_batched_kernelIDF16_Li16ELi16ELi32ELi32ELi8ELi32ELi8ELi8ELi32ELc84ELc84EKPKDF16_S3_KPDF16_EEvlllT_PT11_llS8_llS6_PT12_llPT13_lli,@function
_ZN12_GLOBAL__N_127rocblas_gemm_batched_kernelIDF16_Li16ELi16ELi32ELi32ELi8ELi32ELi8ELi8ELi32ELc84ELc84EKPKDF16_S3_KPDF16_EEvlllT_PT11_llS8_llS6_PT12_llPT13_lli: ; @_ZN12_GLOBAL__N_127rocblas_gemm_batched_kernelIDF16_Li16ELi16ELi32ELi32ELi8ELi32ELi8ELi8ELi32ELc84ELc84EKPKDF16_S3_KPDF16_EEvlllT_PT11_llS8_llS6_PT12_llPT13_lli
; %bb.0:
	s_load_dwordx2 s[30:31], s[0:1], 0x10
	s_load_dwordx4 s[24:27], s[0:1], 0x78
	s_load_dwordx8 s[8:15], s[0:1], 0x58
	s_mov_b32 s5, 0
	s_lshl_b64 s[34:35], s[4:5], 3
	s_mov_b32 s6, s3
	v_mov_b32_e32 v3, 0
	s_waitcnt lgkmcnt(0)
	s_add_u32 s4, s8, s34
	s_addc_u32 s5, s9, s35
	s_load_dwordx2 s[8:9], s[4:5], 0x0
	s_add_u32 s4, s14, s34
	s_addc_u32 s5, s15, s35
	s_load_dwordx2 s[14:15], s[4:5], 0x0
	s_ashr_i32 s3, s2, 31
	s_ashr_i32 s7, s6, 31
	v_cmp_lt_i64_e64 s[4:5], s[30:31], 1
	v_bfe_u32 v2, v0, 10, 10
	v_and_b32_e32 v0, 0x3ff, v0
	v_mov_b32_e32 v1, v3
	s_lshl_b64 s[2:3], s[2:3], 5
	s_lshl_b64 s[28:29], s[6:7], 5
	s_and_b64 vcc, exec, s[4:5]
	s_cbranch_vccnz .LBB159_3
; %bb.1:
	s_load_dwordx8 s[16:23], s[0:1], 0x20
	s_load_dwordx4 s[4:7], s[0:1], 0x40
	v_lshlrev_b32_e32 v8, 4, v2
	v_add_u32_e32 v9, v8, v0
	v_and_b32_e32 v6, 31, v9
	s_waitcnt lgkmcnt(0)
	s_add_u32 s16, s16, s34
	s_addc_u32 s17, s17, s35
	s_add_u32 s22, s22, s34
	s_addc_u32 s23, s23, s35
	s_load_dwordx2 s[22:23], s[22:23], 0x0
	v_lshrrev_b32_e32 v4, 3, v9
	v_and_b32_e32 v10, 7, v0
	v_lshrrev_b32_e32 v11, 5, v9
	v_lshlrev_b32_e32 v9, 1, v6
	v_mov_b32_e32 v5, v3
	v_lshl_or_b32 v12, v11, 6, v9
	v_lshlrev_b32_e32 v9, 1, v10
	v_lshl_or_b32 v9, v4, 4, v9
	v_mad_u64_u32 v[4:5], s[34:35], s4, v10, v[4:5]
	v_add_u32_e32 v15, 0x200, v8
	v_mov_b32_e32 v8, v5
	v_add_u32_e32 v13, 0x200, v9
	s_lshl_b64 s[6:7], s[6:7], 1
	v_mad_u64_u32 v[8:9], s[34:35], s5, v10, v[8:9]
	v_mov_b32_e32 v7, v3
	v_mov_b32_e32 v5, v8
	s_waitcnt lgkmcnt(0)
	s_add_u32 s6, s22, s6
	s_load_dwordx2 s[16:17], s[16:17], 0x0
	v_lshl_add_u64 v[4:5], v[4:5], 0, s[28:29]
	s_addc_u32 s7, s23, s7
	v_lshl_add_u64 v[6:7], s[2:3], 0, v[6:7]
	v_lshl_add_u64 v[4:5], v[4:5], 1, s[6:7]
	v_mul_lo_u32 v8, s19, v6
	v_mul_lo_u32 v9, s18, v7
	v_mad_u64_u32 v[6:7], s[6:7], s18, v6, 0
	v_add3_u32 v7, v7, v9, v8
	s_lshl_b64 s[6:7], s[20:21], 1
	v_lshl_add_u64 v[6:7], v[6:7], 1, s[6:7]
	v_lshlrev_b32_e32 v8, 1, v11
	v_mov_b32_e32 v9, v3
	v_lshl_add_u64 v[6:7], v[6:7], 0, v[8:9]
	v_lshlrev_b32_e32 v14, 1, v0
	s_lshl_b64 s[4:5], s[4:5], 4
	s_waitcnt lgkmcnt(0)
	v_lshl_add_u64 v[6:7], s[16:17], 0, v[6:7]
	s_mov_b64 s[6:7], 0
	s_mov_b32 s16, 0x5040100
	v_mov_b64_e32 v[8:9], s[30:31]
	v_mov_b32_e32 v10, v3
	v_mov_b32_e32 v11, v3
.LBB159_2:                              ; =>This Inner Loop Header: Depth=1
	flat_load_ushort v16, v[6:7]
	s_add_u32 s6, s6, 8
	s_addc_u32 s7, s7, 0
	v_cmp_lt_i64_e32 vcc, s[6:7], v[8:9]
	v_lshl_add_u64 v[6:7], v[6:7], 0, 16
	s_and_b64 vcc, exec, vcc
	s_waitcnt vmcnt(0) lgkmcnt(0)
	ds_write_b16 v12, v16
	flat_load_ushort v16, v[4:5]
	v_lshl_add_u64 v[4:5], v[4:5], 0, s[4:5]
	s_waitcnt vmcnt(0) lgkmcnt(0)
	ds_write_b16 v13, v16
	s_waitcnt lgkmcnt(0)
	s_barrier
	ds_read_b128 v[16:19], v15
	ds_read_b128 v[20:23], v15 offset:256
	ds_read_u16 v24, v14
	ds_read_u16 v25, v14 offset:32
	ds_read_u16 v26, v14 offset:64
	;; [unrolled: 1-line block ×15, first 2 shown]
	s_waitcnt lgkmcnt(14)
	v_perm_b32 v24, v24, v25, s16
	s_waitcnt lgkmcnt(12)
	v_perm_b32 v25, v26, v27, s16
	v_pk_fma_f16 v11, v24, v16, v11 op_sel_hi:[1,0,1]
	v_pk_fma_f16 v10, v24, v20, v10 op_sel_hi:[1,0,1]
	s_waitcnt lgkmcnt(10)
	v_perm_b32 v26, v28, v29, s16
	v_pk_fma_f16 v11, v25, v16, v11 op_sel:[0,1,0]
	v_pk_fma_f16 v10, v25, v20, v10 op_sel:[0,1,0]
	s_waitcnt lgkmcnt(8)
	v_perm_b32 v27, v30, v31, s16
	v_pk_fma_f16 v11, v26, v17, v11 op_sel_hi:[1,0,1]
	v_pk_fma_f16 v10, v26, v21, v10 op_sel_hi:[1,0,1]
	s_waitcnt lgkmcnt(6)
	v_perm_b32 v28, v32, v33, s16
	v_pk_fma_f16 v11, v27, v17, v11 op_sel:[0,1,0]
	v_pk_fma_f16 v10, v27, v21, v10 op_sel:[0,1,0]
	;; [unrolled: 8-line block ×3, first 2 shown]
	s_waitcnt lgkmcnt(0)
	v_perm_b32 v31, v38, v39, s16
	v_pk_fma_f16 v11, v30, v19, v11 op_sel_hi:[1,0,1]
	v_pk_fma_f16 v10, v30, v23, v10 op_sel_hi:[1,0,1]
	v_pk_fma_f16 v11, v31, v19, v11 op_sel:[0,1,0]
	v_pk_fma_f16 v10, v31, v23, v10 op_sel:[0,1,0]
	s_barrier
	s_cbranch_vccnz .LBB159_2
	s_branch .LBB159_4
.LBB159_3:
	v_mov_b32_e32 v11, v3
	v_mov_b32_e32 v10, v3
.LBB159_4:
	s_load_dword s4, s[0:1], 0x18
	s_load_dword s5, s[0:1], 0x50
	s_lshl_b64 s[0:1], s[26:27], 1
	s_waitcnt lgkmcnt(0)
	s_add_u32 s0, s14, s0
	v_lshl_add_u64 v[2:3], s[28:29], 0, v[2:3]
	v_lshl_add_u64 v[0:1], s[2:3], 0, v[0:1]
	v_cmp_neq_f16_e64 s[6:7], s5, 0
	s_addc_u32 s1, s15, s1
	s_and_b64 vcc, exec, s[6:7]
	v_mul_lo_u32 v6, v3, s24
	v_mul_lo_u32 v7, v2, s25
	v_lshrrev_b32_e32 v5, 16, v11
	v_lshlrev_b64 v[0:1], 1, v[0:1]
	v_lshrrev_b32_e32 v4, 16, v10
	s_cbranch_vccnz .LBB159_8
; %bb.5:
	v_mad_u64_u32 v[8:9], s[2:3], v2, s24, 0
	v_add3_u32 v9, v9, v7, v6
	v_lshl_add_u64 v[8:9], v[8:9], 1, s[0:1]
	v_mul_f16_sdwa v14, s4, v11 dst_sel:DWORD dst_unused:UNUSED_PAD src0_sel:DWORD src1_sel:WORD_1
	v_lshl_add_u64 v[12:13], v[8:9], 0, v[0:1]
	s_lshl_b64 s[2:3], s[24:25], 5
	flat_store_short v[12:13], v14
	v_mul_f16_e32 v14, s4, v11
	v_lshl_add_u64 v[8:9], v[8:9], 0, s[2:3]
	flat_store_short v[12:13], v14 offset:32
	v_mul_f16_sdwa v12, s4, v10 dst_sel:DWORD dst_unused:UNUSED_PAD src0_sel:DWORD src1_sel:WORD_1
	v_lshl_add_u64 v[8:9], v[8:9], 0, v[0:1]
	flat_store_short v[8:9], v12
	v_mul_f16_e32 v12, s4, v10
	flat_store_short v[8:9], v12 offset:32
	s_cbranch_execnz .LBB159_7
.LBB159_6:
	s_lshl_b64 s[2:3], s[12:13], 1
	s_add_u32 s2, s8, s2
	v_mul_lo_u32 v3, v3, s10
	v_mul_lo_u32 v12, v2, s11
	v_mad_u64_u32 v[8:9], s[6:7], v2, s10, 0
	s_addc_u32 s3, s9, s3
	v_add3_u32 v9, v9, v12, v3
	v_lshl_add_u64 v[8:9], v[8:9], 1, s[2:3]
	v_lshl_add_u64 v[12:13], v[8:9], 0, v[0:1]
	flat_load_ushort v14, v[12:13]
	v_mad_u64_u32 v[2:3], s[2:3], v2, s24, 0
	v_add3_u32 v3, v3, v7, v6
	v_lshl_add_u64 v[2:3], v[2:3], 1, s[0:1]
	v_lshl_add_u64 v[6:7], v[2:3], 0, v[0:1]
	s_lshl_b64 s[0:1], s[10:11], 5
	v_lshl_add_u64 v[8:9], v[8:9], 0, s[0:1]
	v_lshl_add_u64 v[8:9], v[8:9], 0, v[0:1]
	s_lshl_b64 s[0:1], s[24:25], 5
	v_lshl_add_u64 v[2:3], v[2:3], 0, s[0:1]
	v_lshl_add_u64 v[0:1], v[2:3], 0, v[0:1]
	s_waitcnt vmcnt(0) lgkmcnt(0)
	v_mul_f16_e32 v14, s5, v14
	v_fma_f16 v5, s4, v5, v14
	flat_store_short v[6:7], v5
	flat_load_ushort v5, v[12:13] offset:32
	s_waitcnt vmcnt(0) lgkmcnt(0)
	v_mul_f16_e32 v5, s5, v5
	v_fma_f16 v5, s4, v11, v5
	flat_store_short v[6:7], v5 offset:32
	flat_load_ushort v5, v[8:9]
	s_waitcnt vmcnt(0) lgkmcnt(0)
	v_mul_f16_e32 v5, s5, v5
	v_fma_f16 v4, s4, v4, v5
	flat_store_short v[0:1], v4
	flat_load_ushort v2, v[8:9] offset:32
	s_waitcnt vmcnt(0) lgkmcnt(0)
	v_mul_f16_e32 v2, s5, v2
	v_fma_f16 v2, s4, v10, v2
	flat_store_short v[0:1], v2 offset:32
.LBB159_7:
	s_endpgm
.LBB159_8:
	s_branch .LBB159_6
	.section	.rodata,"a",@progbits
	.p2align	6, 0x0
	.amdhsa_kernel _ZN12_GLOBAL__N_127rocblas_gemm_batched_kernelIDF16_Li16ELi16ELi32ELi32ELi8ELi32ELi8ELi8ELi32ELc84ELc84EKPKDF16_S3_KPDF16_EEvlllT_PT11_llS8_llS6_PT12_llPT13_lli
		.amdhsa_group_segment_fixed_size 1024
		.amdhsa_private_segment_fixed_size 0
		.amdhsa_kernarg_size 140
		.amdhsa_user_sgpr_count 2
		.amdhsa_user_sgpr_dispatch_ptr 0
		.amdhsa_user_sgpr_queue_ptr 0
		.amdhsa_user_sgpr_kernarg_segment_ptr 1
		.amdhsa_user_sgpr_dispatch_id 0
		.amdhsa_user_sgpr_kernarg_preload_length 0
		.amdhsa_user_sgpr_kernarg_preload_offset 0
		.amdhsa_user_sgpr_private_segment_size 0
		.amdhsa_uses_dynamic_stack 0
		.amdhsa_enable_private_segment 0
		.amdhsa_system_sgpr_workgroup_id_x 1
		.amdhsa_system_sgpr_workgroup_id_y 1
		.amdhsa_system_sgpr_workgroup_id_z 1
		.amdhsa_system_sgpr_workgroup_info 0
		.amdhsa_system_vgpr_workitem_id 1
		.amdhsa_next_free_vgpr 40
		.amdhsa_next_free_sgpr 36
		.amdhsa_accum_offset 40
		.amdhsa_reserve_vcc 1
		.amdhsa_float_round_mode_32 0
		.amdhsa_float_round_mode_16_64 0
		.amdhsa_float_denorm_mode_32 3
		.amdhsa_float_denorm_mode_16_64 3
		.amdhsa_dx10_clamp 1
		.amdhsa_ieee_mode 1
		.amdhsa_fp16_overflow 0
		.amdhsa_tg_split 0
		.amdhsa_exception_fp_ieee_invalid_op 0
		.amdhsa_exception_fp_denorm_src 0
		.amdhsa_exception_fp_ieee_div_zero 0
		.amdhsa_exception_fp_ieee_overflow 0
		.amdhsa_exception_fp_ieee_underflow 0
		.amdhsa_exception_fp_ieee_inexact 0
		.amdhsa_exception_int_div_zero 0
	.end_amdhsa_kernel
	.section	.text._ZN12_GLOBAL__N_127rocblas_gemm_batched_kernelIDF16_Li16ELi16ELi32ELi32ELi8ELi32ELi8ELi8ELi32ELc84ELc84EKPKDF16_S3_KPDF16_EEvlllT_PT11_llS8_llS6_PT12_llPT13_lli,"axG",@progbits,_ZN12_GLOBAL__N_127rocblas_gemm_batched_kernelIDF16_Li16ELi16ELi32ELi32ELi8ELi32ELi8ELi8ELi32ELc84ELc84EKPKDF16_S3_KPDF16_EEvlllT_PT11_llS8_llS6_PT12_llPT13_lli,comdat
.Lfunc_end159:
	.size	_ZN12_GLOBAL__N_127rocblas_gemm_batched_kernelIDF16_Li16ELi16ELi32ELi32ELi8ELi32ELi8ELi8ELi32ELc84ELc84EKPKDF16_S3_KPDF16_EEvlllT_PT11_llS8_llS6_PT12_llPT13_lli, .Lfunc_end159-_ZN12_GLOBAL__N_127rocblas_gemm_batched_kernelIDF16_Li16ELi16ELi32ELi32ELi8ELi32ELi8ELi8ELi32ELc84ELc84EKPKDF16_S3_KPDF16_EEvlllT_PT11_llS8_llS6_PT12_llPT13_lli
                                        ; -- End function
	.set _ZN12_GLOBAL__N_127rocblas_gemm_batched_kernelIDF16_Li16ELi16ELi32ELi32ELi8ELi32ELi8ELi8ELi32ELc84ELc84EKPKDF16_S3_KPDF16_EEvlllT_PT11_llS8_llS6_PT12_llPT13_lli.num_vgpr, 40
	.set _ZN12_GLOBAL__N_127rocblas_gemm_batched_kernelIDF16_Li16ELi16ELi32ELi32ELi8ELi32ELi8ELi8ELi32ELc84ELc84EKPKDF16_S3_KPDF16_EEvlllT_PT11_llS8_llS6_PT12_llPT13_lli.num_agpr, 0
	.set _ZN12_GLOBAL__N_127rocblas_gemm_batched_kernelIDF16_Li16ELi16ELi32ELi32ELi8ELi32ELi8ELi8ELi32ELc84ELc84EKPKDF16_S3_KPDF16_EEvlllT_PT11_llS8_llS6_PT12_llPT13_lli.numbered_sgpr, 36
	.set _ZN12_GLOBAL__N_127rocblas_gemm_batched_kernelIDF16_Li16ELi16ELi32ELi32ELi8ELi32ELi8ELi8ELi32ELc84ELc84EKPKDF16_S3_KPDF16_EEvlllT_PT11_llS8_llS6_PT12_llPT13_lli.num_named_barrier, 0
	.set _ZN12_GLOBAL__N_127rocblas_gemm_batched_kernelIDF16_Li16ELi16ELi32ELi32ELi8ELi32ELi8ELi8ELi32ELc84ELc84EKPKDF16_S3_KPDF16_EEvlllT_PT11_llS8_llS6_PT12_llPT13_lli.private_seg_size, 0
	.set _ZN12_GLOBAL__N_127rocblas_gemm_batched_kernelIDF16_Li16ELi16ELi32ELi32ELi8ELi32ELi8ELi8ELi32ELc84ELc84EKPKDF16_S3_KPDF16_EEvlllT_PT11_llS8_llS6_PT12_llPT13_lli.uses_vcc, 1
	.set _ZN12_GLOBAL__N_127rocblas_gemm_batched_kernelIDF16_Li16ELi16ELi32ELi32ELi8ELi32ELi8ELi8ELi32ELc84ELc84EKPKDF16_S3_KPDF16_EEvlllT_PT11_llS8_llS6_PT12_llPT13_lli.uses_flat_scratch, 0
	.set _ZN12_GLOBAL__N_127rocblas_gemm_batched_kernelIDF16_Li16ELi16ELi32ELi32ELi8ELi32ELi8ELi8ELi32ELc84ELc84EKPKDF16_S3_KPDF16_EEvlllT_PT11_llS8_llS6_PT12_llPT13_lli.has_dyn_sized_stack, 0
	.set _ZN12_GLOBAL__N_127rocblas_gemm_batched_kernelIDF16_Li16ELi16ELi32ELi32ELi8ELi32ELi8ELi8ELi32ELc84ELc84EKPKDF16_S3_KPDF16_EEvlllT_PT11_llS8_llS6_PT12_llPT13_lli.has_recursion, 0
	.set _ZN12_GLOBAL__N_127rocblas_gemm_batched_kernelIDF16_Li16ELi16ELi32ELi32ELi8ELi32ELi8ELi8ELi32ELc84ELc84EKPKDF16_S3_KPDF16_EEvlllT_PT11_llS8_llS6_PT12_llPT13_lli.has_indirect_call, 0
	.section	.AMDGPU.csdata,"",@progbits
; Kernel info:
; codeLenInByte = 1364
; TotalNumSgprs: 42
; NumVgprs: 40
; NumAgprs: 0
; TotalNumVgprs: 40
; ScratchSize: 0
; MemoryBound: 0
; FloatMode: 240
; IeeeMode: 1
; LDSByteSize: 1024 bytes/workgroup (compile time only)
; SGPRBlocks: 5
; VGPRBlocks: 4
; NumSGPRsForWavesPerEU: 42
; NumVGPRsForWavesPerEU: 40
; AccumOffset: 40
; Occupancy: 8
; WaveLimiterHint : 1
; COMPUTE_PGM_RSRC2:SCRATCH_EN: 0
; COMPUTE_PGM_RSRC2:USER_SGPR: 2
; COMPUTE_PGM_RSRC2:TRAP_HANDLER: 0
; COMPUTE_PGM_RSRC2:TGID_X_EN: 1
; COMPUTE_PGM_RSRC2:TGID_Y_EN: 1
; COMPUTE_PGM_RSRC2:TGID_Z_EN: 1
; COMPUTE_PGM_RSRC2:TIDIG_COMP_CNT: 1
; COMPUTE_PGM_RSRC3_GFX90A:ACCUM_OFFSET: 9
; COMPUTE_PGM_RSRC3_GFX90A:TG_SPLIT: 0
	.section	.text._ZN12_GLOBAL__N_127rocblas_gemm_batched_kernelIDF16_Li16ELi16ELi32ELi32ELi8ELi32ELi8ELi8ELi32ELc67ELc67EKPKDF16_S3_KPDF16_EEvlllT_PT11_llS8_llS6_PT12_llPT13_lli,"axG",@progbits,_ZN12_GLOBAL__N_127rocblas_gemm_batched_kernelIDF16_Li16ELi16ELi32ELi32ELi8ELi32ELi8ELi8ELi32ELc67ELc67EKPKDF16_S3_KPDF16_EEvlllT_PT11_llS8_llS6_PT12_llPT13_lli,comdat
	.globl	_ZN12_GLOBAL__N_127rocblas_gemm_batched_kernelIDF16_Li16ELi16ELi32ELi32ELi8ELi32ELi8ELi8ELi32ELc67ELc67EKPKDF16_S3_KPDF16_EEvlllT_PT11_llS8_llS6_PT12_llPT13_lli ; -- Begin function _ZN12_GLOBAL__N_127rocblas_gemm_batched_kernelIDF16_Li16ELi16ELi32ELi32ELi8ELi32ELi8ELi8ELi32ELc67ELc67EKPKDF16_S3_KPDF16_EEvlllT_PT11_llS8_llS6_PT12_llPT13_lli
	.p2align	8
	.type	_ZN12_GLOBAL__N_127rocblas_gemm_batched_kernelIDF16_Li16ELi16ELi32ELi32ELi8ELi32ELi8ELi8ELi32ELc67ELc67EKPKDF16_S3_KPDF16_EEvlllT_PT11_llS8_llS6_PT12_llPT13_lli,@function
_ZN12_GLOBAL__N_127rocblas_gemm_batched_kernelIDF16_Li16ELi16ELi32ELi32ELi8ELi32ELi8ELi8ELi32ELc67ELc67EKPKDF16_S3_KPDF16_EEvlllT_PT11_llS8_llS6_PT12_llPT13_lli: ; @_ZN12_GLOBAL__N_127rocblas_gemm_batched_kernelIDF16_Li16ELi16ELi32ELi32ELi8ELi32ELi8ELi8ELi32ELc67ELc67EKPKDF16_S3_KPDF16_EEvlllT_PT11_llS8_llS6_PT12_llPT13_lli
; %bb.0:
	s_load_dwordx2 s[30:31], s[0:1], 0x10
	s_load_dwordx4 s[24:27], s[0:1], 0x78
	s_load_dwordx8 s[8:15], s[0:1], 0x58
	s_mov_b32 s5, 0
	s_lshl_b64 s[34:35], s[4:5], 3
	s_mov_b32 s6, s3
	v_mov_b32_e32 v3, 0
	s_waitcnt lgkmcnt(0)
	s_add_u32 s4, s8, s34
	s_addc_u32 s5, s9, s35
	s_load_dwordx2 s[8:9], s[4:5], 0x0
	s_add_u32 s4, s14, s34
	s_addc_u32 s5, s15, s35
	s_load_dwordx2 s[14:15], s[4:5], 0x0
	s_ashr_i32 s3, s2, 31
	s_ashr_i32 s7, s6, 31
	v_cmp_lt_i64_e64 s[4:5], s[30:31], 1
	v_bfe_u32 v2, v0, 10, 10
	v_and_b32_e32 v0, 0x3ff, v0
	v_mov_b32_e32 v1, v3
	s_lshl_b64 s[2:3], s[2:3], 5
	s_lshl_b64 s[28:29], s[6:7], 5
	s_and_b64 vcc, exec, s[4:5]
	s_cbranch_vccnz .LBB160_3
; %bb.1:
	s_load_dwordx8 s[16:23], s[0:1], 0x20
	s_load_dwordx4 s[4:7], s[0:1], 0x40
	v_lshlrev_b32_e32 v8, 4, v2
	v_add_u32_e32 v9, v8, v0
	v_and_b32_e32 v6, 31, v9
	s_waitcnt lgkmcnt(0)
	s_add_u32 s16, s16, s34
	s_addc_u32 s17, s17, s35
	s_add_u32 s22, s22, s34
	s_addc_u32 s23, s23, s35
	s_load_dwordx2 s[22:23], s[22:23], 0x0
	v_lshrrev_b32_e32 v4, 3, v9
	v_and_b32_e32 v10, 7, v0
	v_lshrrev_b32_e32 v11, 5, v9
	v_lshlrev_b32_e32 v9, 1, v6
	v_mov_b32_e32 v5, v3
	v_lshl_or_b32 v12, v11, 6, v9
	v_lshlrev_b32_e32 v9, 1, v10
	v_lshl_or_b32 v9, v4, 4, v9
	v_mad_u64_u32 v[4:5], s[34:35], s4, v10, v[4:5]
	v_add_u32_e32 v15, 0x200, v8
	v_mov_b32_e32 v8, v5
	v_add_u32_e32 v13, 0x200, v9
	s_lshl_b64 s[6:7], s[6:7], 1
	v_mad_u64_u32 v[8:9], s[34:35], s5, v10, v[8:9]
	v_mov_b32_e32 v7, v3
	v_mov_b32_e32 v5, v8
	s_waitcnt lgkmcnt(0)
	s_add_u32 s6, s22, s6
	s_load_dwordx2 s[16:17], s[16:17], 0x0
	v_lshl_add_u64 v[4:5], v[4:5], 0, s[28:29]
	s_addc_u32 s7, s23, s7
	v_lshl_add_u64 v[6:7], s[2:3], 0, v[6:7]
	v_lshl_add_u64 v[4:5], v[4:5], 1, s[6:7]
	v_mul_lo_u32 v8, s19, v6
	v_mul_lo_u32 v9, s18, v7
	v_mad_u64_u32 v[6:7], s[6:7], s18, v6, 0
	v_add3_u32 v7, v7, v9, v8
	s_lshl_b64 s[6:7], s[20:21], 1
	v_lshl_add_u64 v[6:7], v[6:7], 1, s[6:7]
	v_lshlrev_b32_e32 v8, 1, v11
	v_mov_b32_e32 v9, v3
	v_lshl_add_u64 v[6:7], v[6:7], 0, v[8:9]
	v_lshlrev_b32_e32 v14, 1, v0
	s_lshl_b64 s[4:5], s[4:5], 4
	s_waitcnt lgkmcnt(0)
	v_lshl_add_u64 v[6:7], s[16:17], 0, v[6:7]
	s_mov_b64 s[6:7], 0
	s_mov_b32 s16, 0x5040100
	v_mov_b64_e32 v[8:9], s[30:31]
	v_mov_b32_e32 v10, v3
	v_mov_b32_e32 v11, v3
.LBB160_2:                              ; =>This Inner Loop Header: Depth=1
	flat_load_ushort v16, v[6:7]
	s_add_u32 s6, s6, 8
	s_addc_u32 s7, s7, 0
	v_cmp_lt_i64_e32 vcc, s[6:7], v[8:9]
	v_lshl_add_u64 v[6:7], v[6:7], 0, 16
	s_and_b64 vcc, exec, vcc
	s_waitcnt vmcnt(0) lgkmcnt(0)
	ds_write_b16 v12, v16
	flat_load_ushort v16, v[4:5]
	v_lshl_add_u64 v[4:5], v[4:5], 0, s[4:5]
	s_waitcnt vmcnt(0) lgkmcnt(0)
	ds_write_b16 v13, v16
	s_waitcnt lgkmcnt(0)
	s_barrier
	ds_read_b128 v[16:19], v15
	ds_read_b128 v[20:23], v15 offset:256
	ds_read_u16 v24, v14
	ds_read_u16 v25, v14 offset:32
	ds_read_u16 v26, v14 offset:64
	;; [unrolled: 1-line block ×15, first 2 shown]
	s_waitcnt lgkmcnt(14)
	v_perm_b32 v24, v24, v25, s16
	s_waitcnt lgkmcnt(12)
	v_perm_b32 v25, v26, v27, s16
	v_pk_fma_f16 v11, v24, v16, v11 op_sel_hi:[1,0,1]
	v_pk_fma_f16 v10, v24, v20, v10 op_sel_hi:[1,0,1]
	s_waitcnt lgkmcnt(10)
	v_perm_b32 v26, v28, v29, s16
	v_pk_fma_f16 v11, v25, v16, v11 op_sel:[0,1,0]
	v_pk_fma_f16 v10, v25, v20, v10 op_sel:[0,1,0]
	s_waitcnt lgkmcnt(8)
	v_perm_b32 v27, v30, v31, s16
	v_pk_fma_f16 v11, v26, v17, v11 op_sel_hi:[1,0,1]
	v_pk_fma_f16 v10, v26, v21, v10 op_sel_hi:[1,0,1]
	s_waitcnt lgkmcnt(6)
	v_perm_b32 v28, v32, v33, s16
	v_pk_fma_f16 v11, v27, v17, v11 op_sel:[0,1,0]
	v_pk_fma_f16 v10, v27, v21, v10 op_sel:[0,1,0]
	;; [unrolled: 8-line block ×3, first 2 shown]
	s_waitcnt lgkmcnt(0)
	v_perm_b32 v31, v38, v39, s16
	v_pk_fma_f16 v11, v30, v19, v11 op_sel_hi:[1,0,1]
	v_pk_fma_f16 v10, v30, v23, v10 op_sel_hi:[1,0,1]
	v_pk_fma_f16 v11, v31, v19, v11 op_sel:[0,1,0]
	v_pk_fma_f16 v10, v31, v23, v10 op_sel:[0,1,0]
	s_barrier
	s_cbranch_vccnz .LBB160_2
	s_branch .LBB160_4
.LBB160_3:
	v_mov_b32_e32 v11, v3
	v_mov_b32_e32 v10, v3
.LBB160_4:
	s_load_dword s4, s[0:1], 0x18
	s_load_dword s5, s[0:1], 0x50
	s_lshl_b64 s[0:1], s[26:27], 1
	s_waitcnt lgkmcnt(0)
	s_add_u32 s0, s14, s0
	v_lshl_add_u64 v[2:3], s[28:29], 0, v[2:3]
	v_lshl_add_u64 v[0:1], s[2:3], 0, v[0:1]
	v_cmp_neq_f16_e64 s[6:7], s5, 0
	s_addc_u32 s1, s15, s1
	s_and_b64 vcc, exec, s[6:7]
	v_mul_lo_u32 v6, v3, s24
	v_mul_lo_u32 v7, v2, s25
	v_lshrrev_b32_e32 v5, 16, v11
	v_lshlrev_b64 v[0:1], 1, v[0:1]
	v_lshrrev_b32_e32 v4, 16, v10
	s_cbranch_vccnz .LBB160_8
; %bb.5:
	v_mad_u64_u32 v[8:9], s[2:3], v2, s24, 0
	v_add3_u32 v9, v9, v7, v6
	v_lshl_add_u64 v[8:9], v[8:9], 1, s[0:1]
	v_mul_f16_sdwa v14, s4, v11 dst_sel:DWORD dst_unused:UNUSED_PAD src0_sel:DWORD src1_sel:WORD_1
	v_lshl_add_u64 v[12:13], v[8:9], 0, v[0:1]
	s_lshl_b64 s[2:3], s[24:25], 5
	flat_store_short v[12:13], v14
	v_mul_f16_e32 v14, s4, v11
	v_lshl_add_u64 v[8:9], v[8:9], 0, s[2:3]
	flat_store_short v[12:13], v14 offset:32
	v_mul_f16_sdwa v12, s4, v10 dst_sel:DWORD dst_unused:UNUSED_PAD src0_sel:DWORD src1_sel:WORD_1
	v_lshl_add_u64 v[8:9], v[8:9], 0, v[0:1]
	flat_store_short v[8:9], v12
	v_mul_f16_e32 v12, s4, v10
	flat_store_short v[8:9], v12 offset:32
	s_cbranch_execnz .LBB160_7
.LBB160_6:
	s_lshl_b64 s[2:3], s[12:13], 1
	s_add_u32 s2, s8, s2
	v_mul_lo_u32 v3, v3, s10
	v_mul_lo_u32 v12, v2, s11
	v_mad_u64_u32 v[8:9], s[6:7], v2, s10, 0
	s_addc_u32 s3, s9, s3
	v_add3_u32 v9, v9, v12, v3
	v_lshl_add_u64 v[8:9], v[8:9], 1, s[2:3]
	v_lshl_add_u64 v[12:13], v[8:9], 0, v[0:1]
	flat_load_ushort v14, v[12:13]
	v_mad_u64_u32 v[2:3], s[2:3], v2, s24, 0
	v_add3_u32 v3, v3, v7, v6
	v_lshl_add_u64 v[2:3], v[2:3], 1, s[0:1]
	v_lshl_add_u64 v[6:7], v[2:3], 0, v[0:1]
	s_lshl_b64 s[0:1], s[10:11], 5
	v_lshl_add_u64 v[8:9], v[8:9], 0, s[0:1]
	v_lshl_add_u64 v[8:9], v[8:9], 0, v[0:1]
	s_lshl_b64 s[0:1], s[24:25], 5
	v_lshl_add_u64 v[2:3], v[2:3], 0, s[0:1]
	v_lshl_add_u64 v[0:1], v[2:3], 0, v[0:1]
	s_waitcnt vmcnt(0) lgkmcnt(0)
	v_mul_f16_e32 v14, s5, v14
	v_fma_f16 v5, s4, v5, v14
	flat_store_short v[6:7], v5
	flat_load_ushort v5, v[12:13] offset:32
	s_waitcnt vmcnt(0) lgkmcnt(0)
	v_mul_f16_e32 v5, s5, v5
	v_fma_f16 v5, s4, v11, v5
	flat_store_short v[6:7], v5 offset:32
	flat_load_ushort v5, v[8:9]
	s_waitcnt vmcnt(0) lgkmcnt(0)
	v_mul_f16_e32 v5, s5, v5
	v_fma_f16 v4, s4, v4, v5
	flat_store_short v[0:1], v4
	flat_load_ushort v2, v[8:9] offset:32
	s_waitcnt vmcnt(0) lgkmcnt(0)
	v_mul_f16_e32 v2, s5, v2
	v_fma_f16 v2, s4, v10, v2
	flat_store_short v[0:1], v2 offset:32
.LBB160_7:
	s_endpgm
.LBB160_8:
	s_branch .LBB160_6
	.section	.rodata,"a",@progbits
	.p2align	6, 0x0
	.amdhsa_kernel _ZN12_GLOBAL__N_127rocblas_gemm_batched_kernelIDF16_Li16ELi16ELi32ELi32ELi8ELi32ELi8ELi8ELi32ELc67ELc67EKPKDF16_S3_KPDF16_EEvlllT_PT11_llS8_llS6_PT12_llPT13_lli
		.amdhsa_group_segment_fixed_size 1024
		.amdhsa_private_segment_fixed_size 0
		.amdhsa_kernarg_size 140
		.amdhsa_user_sgpr_count 2
		.amdhsa_user_sgpr_dispatch_ptr 0
		.amdhsa_user_sgpr_queue_ptr 0
		.amdhsa_user_sgpr_kernarg_segment_ptr 1
		.amdhsa_user_sgpr_dispatch_id 0
		.amdhsa_user_sgpr_kernarg_preload_length 0
		.amdhsa_user_sgpr_kernarg_preload_offset 0
		.amdhsa_user_sgpr_private_segment_size 0
		.amdhsa_uses_dynamic_stack 0
		.amdhsa_enable_private_segment 0
		.amdhsa_system_sgpr_workgroup_id_x 1
		.amdhsa_system_sgpr_workgroup_id_y 1
		.amdhsa_system_sgpr_workgroup_id_z 1
		.amdhsa_system_sgpr_workgroup_info 0
		.amdhsa_system_vgpr_workitem_id 1
		.amdhsa_next_free_vgpr 40
		.amdhsa_next_free_sgpr 36
		.amdhsa_accum_offset 40
		.amdhsa_reserve_vcc 1
		.amdhsa_float_round_mode_32 0
		.amdhsa_float_round_mode_16_64 0
		.amdhsa_float_denorm_mode_32 3
		.amdhsa_float_denorm_mode_16_64 3
		.amdhsa_dx10_clamp 1
		.amdhsa_ieee_mode 1
		.amdhsa_fp16_overflow 0
		.amdhsa_tg_split 0
		.amdhsa_exception_fp_ieee_invalid_op 0
		.amdhsa_exception_fp_denorm_src 0
		.amdhsa_exception_fp_ieee_div_zero 0
		.amdhsa_exception_fp_ieee_overflow 0
		.amdhsa_exception_fp_ieee_underflow 0
		.amdhsa_exception_fp_ieee_inexact 0
		.amdhsa_exception_int_div_zero 0
	.end_amdhsa_kernel
	.section	.text._ZN12_GLOBAL__N_127rocblas_gemm_batched_kernelIDF16_Li16ELi16ELi32ELi32ELi8ELi32ELi8ELi8ELi32ELc67ELc67EKPKDF16_S3_KPDF16_EEvlllT_PT11_llS8_llS6_PT12_llPT13_lli,"axG",@progbits,_ZN12_GLOBAL__N_127rocblas_gemm_batched_kernelIDF16_Li16ELi16ELi32ELi32ELi8ELi32ELi8ELi8ELi32ELc67ELc67EKPKDF16_S3_KPDF16_EEvlllT_PT11_llS8_llS6_PT12_llPT13_lli,comdat
.Lfunc_end160:
	.size	_ZN12_GLOBAL__N_127rocblas_gemm_batched_kernelIDF16_Li16ELi16ELi32ELi32ELi8ELi32ELi8ELi8ELi32ELc67ELc67EKPKDF16_S3_KPDF16_EEvlllT_PT11_llS8_llS6_PT12_llPT13_lli, .Lfunc_end160-_ZN12_GLOBAL__N_127rocblas_gemm_batched_kernelIDF16_Li16ELi16ELi32ELi32ELi8ELi32ELi8ELi8ELi32ELc67ELc67EKPKDF16_S3_KPDF16_EEvlllT_PT11_llS8_llS6_PT12_llPT13_lli
                                        ; -- End function
	.set _ZN12_GLOBAL__N_127rocblas_gemm_batched_kernelIDF16_Li16ELi16ELi32ELi32ELi8ELi32ELi8ELi8ELi32ELc67ELc67EKPKDF16_S3_KPDF16_EEvlllT_PT11_llS8_llS6_PT12_llPT13_lli.num_vgpr, 40
	.set _ZN12_GLOBAL__N_127rocblas_gemm_batched_kernelIDF16_Li16ELi16ELi32ELi32ELi8ELi32ELi8ELi8ELi32ELc67ELc67EKPKDF16_S3_KPDF16_EEvlllT_PT11_llS8_llS6_PT12_llPT13_lli.num_agpr, 0
	.set _ZN12_GLOBAL__N_127rocblas_gemm_batched_kernelIDF16_Li16ELi16ELi32ELi32ELi8ELi32ELi8ELi8ELi32ELc67ELc67EKPKDF16_S3_KPDF16_EEvlllT_PT11_llS8_llS6_PT12_llPT13_lli.numbered_sgpr, 36
	.set _ZN12_GLOBAL__N_127rocblas_gemm_batched_kernelIDF16_Li16ELi16ELi32ELi32ELi8ELi32ELi8ELi8ELi32ELc67ELc67EKPKDF16_S3_KPDF16_EEvlllT_PT11_llS8_llS6_PT12_llPT13_lli.num_named_barrier, 0
	.set _ZN12_GLOBAL__N_127rocblas_gemm_batched_kernelIDF16_Li16ELi16ELi32ELi32ELi8ELi32ELi8ELi8ELi32ELc67ELc67EKPKDF16_S3_KPDF16_EEvlllT_PT11_llS8_llS6_PT12_llPT13_lli.private_seg_size, 0
	.set _ZN12_GLOBAL__N_127rocblas_gemm_batched_kernelIDF16_Li16ELi16ELi32ELi32ELi8ELi32ELi8ELi8ELi32ELc67ELc67EKPKDF16_S3_KPDF16_EEvlllT_PT11_llS8_llS6_PT12_llPT13_lli.uses_vcc, 1
	.set _ZN12_GLOBAL__N_127rocblas_gemm_batched_kernelIDF16_Li16ELi16ELi32ELi32ELi8ELi32ELi8ELi8ELi32ELc67ELc67EKPKDF16_S3_KPDF16_EEvlllT_PT11_llS8_llS6_PT12_llPT13_lli.uses_flat_scratch, 0
	.set _ZN12_GLOBAL__N_127rocblas_gemm_batched_kernelIDF16_Li16ELi16ELi32ELi32ELi8ELi32ELi8ELi8ELi32ELc67ELc67EKPKDF16_S3_KPDF16_EEvlllT_PT11_llS8_llS6_PT12_llPT13_lli.has_dyn_sized_stack, 0
	.set _ZN12_GLOBAL__N_127rocblas_gemm_batched_kernelIDF16_Li16ELi16ELi32ELi32ELi8ELi32ELi8ELi8ELi32ELc67ELc67EKPKDF16_S3_KPDF16_EEvlllT_PT11_llS8_llS6_PT12_llPT13_lli.has_recursion, 0
	.set _ZN12_GLOBAL__N_127rocblas_gemm_batched_kernelIDF16_Li16ELi16ELi32ELi32ELi8ELi32ELi8ELi8ELi32ELc67ELc67EKPKDF16_S3_KPDF16_EEvlllT_PT11_llS8_llS6_PT12_llPT13_lli.has_indirect_call, 0
	.section	.AMDGPU.csdata,"",@progbits
; Kernel info:
; codeLenInByte = 1364
; TotalNumSgprs: 42
; NumVgprs: 40
; NumAgprs: 0
; TotalNumVgprs: 40
; ScratchSize: 0
; MemoryBound: 0
; FloatMode: 240
; IeeeMode: 1
; LDSByteSize: 1024 bytes/workgroup (compile time only)
; SGPRBlocks: 5
; VGPRBlocks: 4
; NumSGPRsForWavesPerEU: 42
; NumVGPRsForWavesPerEU: 40
; AccumOffset: 40
; Occupancy: 8
; WaveLimiterHint : 1
; COMPUTE_PGM_RSRC2:SCRATCH_EN: 0
; COMPUTE_PGM_RSRC2:USER_SGPR: 2
; COMPUTE_PGM_RSRC2:TRAP_HANDLER: 0
; COMPUTE_PGM_RSRC2:TGID_X_EN: 1
; COMPUTE_PGM_RSRC2:TGID_Y_EN: 1
; COMPUTE_PGM_RSRC2:TGID_Z_EN: 1
; COMPUTE_PGM_RSRC2:TIDIG_COMP_CNT: 1
; COMPUTE_PGM_RSRC3_GFX90A:ACCUM_OFFSET: 9
; COMPUTE_PGM_RSRC3_GFX90A:TG_SPLIT: 0
	.section	.text._ZN12_GLOBAL__N_127rocblas_gemm_batched_kernelIDF16_Li16ELi16ELi32ELi32ELi8ELi32ELi8ELi8ELi32ELc67ELc78EKPKDF16_S3_KPDF16_EEvlllT_PT11_llS8_llS6_PT12_llPT13_lli,"axG",@progbits,_ZN12_GLOBAL__N_127rocblas_gemm_batched_kernelIDF16_Li16ELi16ELi32ELi32ELi8ELi32ELi8ELi8ELi32ELc67ELc78EKPKDF16_S3_KPDF16_EEvlllT_PT11_llS8_llS6_PT12_llPT13_lli,comdat
	.globl	_ZN12_GLOBAL__N_127rocblas_gemm_batched_kernelIDF16_Li16ELi16ELi32ELi32ELi8ELi32ELi8ELi8ELi32ELc67ELc78EKPKDF16_S3_KPDF16_EEvlllT_PT11_llS8_llS6_PT12_llPT13_lli ; -- Begin function _ZN12_GLOBAL__N_127rocblas_gemm_batched_kernelIDF16_Li16ELi16ELi32ELi32ELi8ELi32ELi8ELi8ELi32ELc67ELc78EKPKDF16_S3_KPDF16_EEvlllT_PT11_llS8_llS6_PT12_llPT13_lli
	.p2align	8
	.type	_ZN12_GLOBAL__N_127rocblas_gemm_batched_kernelIDF16_Li16ELi16ELi32ELi32ELi8ELi32ELi8ELi8ELi32ELc67ELc78EKPKDF16_S3_KPDF16_EEvlllT_PT11_llS8_llS6_PT12_llPT13_lli,@function
_ZN12_GLOBAL__N_127rocblas_gemm_batched_kernelIDF16_Li16ELi16ELi32ELi32ELi8ELi32ELi8ELi8ELi32ELc67ELc78EKPKDF16_S3_KPDF16_EEvlllT_PT11_llS8_llS6_PT12_llPT13_lli: ; @_ZN12_GLOBAL__N_127rocblas_gemm_batched_kernelIDF16_Li16ELi16ELi32ELi32ELi8ELi32ELi8ELi8ELi32ELc67ELc78EKPKDF16_S3_KPDF16_EEvlllT_PT11_llS8_llS6_PT12_llPT13_lli
; %bb.0:
	s_load_dwordx2 s[28:29], s[0:1], 0x10
	s_load_dwordx4 s[24:27], s[0:1], 0x78
	s_load_dwordx8 s[8:15], s[0:1], 0x58
	s_mov_b32 s5, 0
	s_lshl_b64 s[30:31], s[4:5], 3
	s_mov_b32 s16, s3
	v_mov_b32_e32 v3, 0
	s_waitcnt lgkmcnt(0)
	s_add_u32 s4, s8, s30
	s_addc_u32 s5, s9, s31
	s_add_u32 s6, s14, s30
	s_addc_u32 s7, s15, s31
	s_load_dwordx2 s[4:5], s[4:5], 0x0
	s_ashr_i32 s3, s2, 31
	s_load_dwordx2 s[6:7], s[6:7], 0x0
	s_ashr_i32 s17, s16, 31
	v_cmp_lt_i64_e64 s[14:15], s[28:29], 1
	v_bfe_u32 v2, v0, 10, 10
	v_and_b32_e32 v0, 0x3ff, v0
	v_mov_b32_e32 v1, v3
	s_lshl_b64 s[2:3], s[2:3], 5
	s_lshl_b64 s[8:9], s[16:17], 5
	s_and_b64 vcc, exec, s[14:15]
	s_cbranch_vccnz .LBB161_3
; %bb.1:
	s_load_dwordx8 s[16:23], s[0:1], 0x20
	s_load_dwordx4 s[36:39], s[0:1], 0x40
	v_lshlrev_b32_e32 v11, 4, v2
	v_add_u32_e32 v10, v11, v0
	v_lshrrev_b32_e32 v4, 3, v10
	s_waitcnt lgkmcnt(0)
	s_add_u32 s14, s16, s30
	s_addc_u32 s15, s17, s31
	v_mov_b32_e32 v5, v3
	v_and_b32_e32 v8, 31, v10
	s_add_u32 s16, s22, s30
	v_lshl_add_u64 v[6:7], v[4:5], 0, s[8:9]
	v_and_b32_e32 v5, 7, v0
	v_lshrrev_b32_e32 v16, 5, v10
	v_lshlrev_b32_e32 v10, 1, v8
	s_addc_u32 s17, s23, s31
	v_lshl_or_b32 v12, v16, 6, v10
	v_lshlrev_b32_e32 v10, 1, v5
	s_load_dwordx2 s[16:17], s[16:17], 0x0
	v_lshl_or_b32 v4, v4, 4, v10
	v_add_u32_e32 v13, 0x200, v4
	v_add_u32_e32 v15, 0x200, v11
	v_mul_lo_u32 v11, s37, v6
	v_mul_lo_u32 v7, s36, v7
	v_mad_u64_u32 v[4:5], s[22:23], s36, v6, 0
	v_add3_u32 v5, v5, v7, v11
	s_lshl_b64 s[22:23], s[38:39], 1
	v_mov_b32_e32 v9, v3
	v_lshl_add_u64 v[4:5], v[4:5], 1, s[22:23]
	v_mov_b32_e32 v11, v3
	s_load_dwordx2 s[14:15], s[14:15], 0x0
	v_lshl_add_u64 v[4:5], v[4:5], 0, v[10:11]
	v_lshl_add_u64 v[6:7], s[2:3], 0, v[8:9]
	s_waitcnt lgkmcnt(0)
	v_lshl_add_u64 v[4:5], s[16:17], 0, v[4:5]
	v_mul_lo_u32 v8, s19, v6
	v_mul_lo_u32 v9, s18, v7
	v_mad_u64_u32 v[6:7], s[16:17], s18, v6, 0
	v_add3_u32 v7, v7, v9, v8
	s_lshl_b64 s[16:17], s[20:21], 1
	v_lshl_add_u64 v[6:7], v[6:7], 1, s[16:17]
	v_lshlrev_b32_e32 v8, 1, v16
	v_mov_b32_e32 v9, v3
	v_lshl_add_u64 v[6:7], v[6:7], 0, v[8:9]
	v_lshlrev_b32_e32 v14, 1, v0
	v_lshl_add_u64 v[6:7], s[14:15], 0, v[6:7]
	s_mov_b64 s[14:15], 0
	s_mov_b32 s16, 0x5040100
	v_mov_b64_e32 v[8:9], s[28:29]
	v_mov_b32_e32 v10, v3
.LBB161_2:                              ; =>This Inner Loop Header: Depth=1
	flat_load_ushort v16, v[6:7]
	s_add_u32 s14, s14, 8
	s_addc_u32 s15, s15, 0
	v_cmp_lt_i64_e32 vcc, s[14:15], v[8:9]
	v_lshl_add_u64 v[6:7], v[6:7], 0, 16
	s_and_b64 vcc, exec, vcc
	s_waitcnt vmcnt(0) lgkmcnt(0)
	ds_write_b16 v12, v16
	flat_load_ushort v16, v[4:5]
	v_lshl_add_u64 v[4:5], v[4:5], 0, 16
	s_waitcnt vmcnt(0) lgkmcnt(0)
	ds_write_b16 v13, v16
	s_waitcnt lgkmcnt(0)
	s_barrier
	ds_read_b128 v[16:19], v15
	ds_read_b128 v[20:23], v15 offset:256
	ds_read_u16 v24, v14
	ds_read_u16 v25, v14 offset:32
	ds_read_u16 v26, v14 offset:64
	;; [unrolled: 1-line block ×15, first 2 shown]
	s_waitcnt lgkmcnt(14)
	v_perm_b32 v24, v24, v25, s16
	s_waitcnt lgkmcnt(12)
	v_perm_b32 v25, v26, v27, s16
	v_pk_fma_f16 v11, v24, v16, v11 op_sel_hi:[1,0,1]
	v_pk_fma_f16 v10, v24, v20, v10 op_sel_hi:[1,0,1]
	s_waitcnt lgkmcnt(10)
	v_perm_b32 v26, v28, v29, s16
	v_pk_fma_f16 v11, v25, v16, v11 op_sel:[0,1,0]
	v_pk_fma_f16 v10, v25, v20, v10 op_sel:[0,1,0]
	s_waitcnt lgkmcnt(8)
	v_perm_b32 v27, v30, v31, s16
	v_pk_fma_f16 v11, v26, v17, v11 op_sel_hi:[1,0,1]
	v_pk_fma_f16 v10, v26, v21, v10 op_sel_hi:[1,0,1]
	s_waitcnt lgkmcnt(6)
	v_perm_b32 v28, v32, v33, s16
	v_pk_fma_f16 v11, v27, v17, v11 op_sel:[0,1,0]
	v_pk_fma_f16 v10, v27, v21, v10 op_sel:[0,1,0]
	;; [unrolled: 8-line block ×3, first 2 shown]
	s_waitcnt lgkmcnt(0)
	v_perm_b32 v31, v38, v39, s16
	v_pk_fma_f16 v11, v30, v19, v11 op_sel_hi:[1,0,1]
	v_pk_fma_f16 v10, v30, v23, v10 op_sel_hi:[1,0,1]
	v_pk_fma_f16 v11, v31, v19, v11 op_sel:[0,1,0]
	v_pk_fma_f16 v10, v31, v23, v10 op_sel:[0,1,0]
	s_barrier
	s_cbranch_vccnz .LBB161_2
	s_branch .LBB161_4
.LBB161_3:
	v_mov_b32_e32 v11, v3
	v_mov_b32_e32 v10, v3
.LBB161_4:
	s_load_dword s14, s[0:1], 0x18
	s_load_dword s15, s[0:1], 0x50
	s_lshl_b64 s[0:1], s[26:27], 1
	s_waitcnt lgkmcnt(0)
	s_add_u32 s0, s6, s0
	s_addc_u32 s1, s7, s1
	v_lshl_add_u64 v[2:3], s[8:9], 0, v[2:3]
	v_cmp_neq_f16_e64 s[6:7], s15, 0
	v_lshl_add_u64 v[0:1], s[2:3], 0, v[0:1]
	s_and_b64 vcc, exec, s[6:7]
	v_mul_lo_u32 v6, v3, s24
	v_mul_lo_u32 v7, v2, s25
	v_lshrrev_b32_e32 v5, 16, v11
	v_lshlrev_b64 v[0:1], 1, v[0:1]
	v_lshrrev_b32_e32 v4, 16, v10
	s_cbranch_vccnz .LBB161_8
; %bb.5:
	v_mad_u64_u32 v[8:9], s[2:3], v2, s24, 0
	v_add3_u32 v9, v9, v7, v6
	v_lshl_add_u64 v[8:9], v[8:9], 1, s[0:1]
	v_mul_f16_sdwa v14, s14, v11 dst_sel:DWORD dst_unused:UNUSED_PAD src0_sel:DWORD src1_sel:WORD_1
	v_lshl_add_u64 v[12:13], v[8:9], 0, v[0:1]
	s_lshl_b64 s[2:3], s[24:25], 5
	flat_store_short v[12:13], v14
	v_mul_f16_e32 v14, s14, v11
	v_lshl_add_u64 v[8:9], v[8:9], 0, s[2:3]
	flat_store_short v[12:13], v14 offset:32
	v_mul_f16_sdwa v12, s14, v10 dst_sel:DWORD dst_unused:UNUSED_PAD src0_sel:DWORD src1_sel:WORD_1
	v_lshl_add_u64 v[8:9], v[8:9], 0, v[0:1]
	flat_store_short v[8:9], v12
	v_mul_f16_e32 v12, s14, v10
	flat_store_short v[8:9], v12 offset:32
	s_cbranch_execnz .LBB161_7
.LBB161_6:
	s_lshl_b64 s[2:3], s[12:13], 1
	s_add_u32 s2, s4, s2
	s_addc_u32 s3, s5, s3
	v_mul_lo_u32 v3, v3, s10
	v_mul_lo_u32 v12, v2, s11
	v_mad_u64_u32 v[8:9], s[4:5], v2, s10, 0
	v_add3_u32 v9, v9, v12, v3
	v_lshl_add_u64 v[8:9], v[8:9], 1, s[2:3]
	v_lshl_add_u64 v[12:13], v[8:9], 0, v[0:1]
	flat_load_ushort v14, v[12:13]
	v_mad_u64_u32 v[2:3], s[2:3], v2, s24, 0
	v_add3_u32 v3, v3, v7, v6
	v_lshl_add_u64 v[2:3], v[2:3], 1, s[0:1]
	v_lshl_add_u64 v[6:7], v[2:3], 0, v[0:1]
	s_lshl_b64 s[0:1], s[10:11], 5
	v_lshl_add_u64 v[8:9], v[8:9], 0, s[0:1]
	v_lshl_add_u64 v[8:9], v[8:9], 0, v[0:1]
	s_lshl_b64 s[0:1], s[24:25], 5
	v_lshl_add_u64 v[2:3], v[2:3], 0, s[0:1]
	v_lshl_add_u64 v[0:1], v[2:3], 0, v[0:1]
	s_waitcnt vmcnt(0) lgkmcnt(0)
	v_mul_f16_e32 v14, s15, v14
	v_fma_f16 v5, s14, v5, v14
	flat_store_short v[6:7], v5
	flat_load_ushort v5, v[12:13] offset:32
	s_waitcnt vmcnt(0) lgkmcnt(0)
	v_mul_f16_e32 v5, s15, v5
	v_fma_f16 v5, s14, v11, v5
	flat_store_short v[6:7], v5 offset:32
	flat_load_ushort v5, v[8:9]
	s_waitcnt vmcnt(0) lgkmcnt(0)
	v_mul_f16_e32 v5, s15, v5
	v_fma_f16 v4, s14, v4, v5
	flat_store_short v[0:1], v4
	flat_load_ushort v2, v[8:9] offset:32
	s_waitcnt vmcnt(0) lgkmcnt(0)
	v_mul_f16_e32 v2, s15, v2
	v_fma_f16 v2, s14, v10, v2
	flat_store_short v[0:1], v2 offset:32
.LBB161_7:
	s_endpgm
.LBB161_8:
	s_branch .LBB161_6
	.section	.rodata,"a",@progbits
	.p2align	6, 0x0
	.amdhsa_kernel _ZN12_GLOBAL__N_127rocblas_gemm_batched_kernelIDF16_Li16ELi16ELi32ELi32ELi8ELi32ELi8ELi8ELi32ELc67ELc78EKPKDF16_S3_KPDF16_EEvlllT_PT11_llS8_llS6_PT12_llPT13_lli
		.amdhsa_group_segment_fixed_size 1024
		.amdhsa_private_segment_fixed_size 0
		.amdhsa_kernarg_size 140
		.amdhsa_user_sgpr_count 2
		.amdhsa_user_sgpr_dispatch_ptr 0
		.amdhsa_user_sgpr_queue_ptr 0
		.amdhsa_user_sgpr_kernarg_segment_ptr 1
		.amdhsa_user_sgpr_dispatch_id 0
		.amdhsa_user_sgpr_kernarg_preload_length 0
		.amdhsa_user_sgpr_kernarg_preload_offset 0
		.amdhsa_user_sgpr_private_segment_size 0
		.amdhsa_uses_dynamic_stack 0
		.amdhsa_enable_private_segment 0
		.amdhsa_system_sgpr_workgroup_id_x 1
		.amdhsa_system_sgpr_workgroup_id_y 1
		.amdhsa_system_sgpr_workgroup_id_z 1
		.amdhsa_system_sgpr_workgroup_info 0
		.amdhsa_system_vgpr_workitem_id 1
		.amdhsa_next_free_vgpr 40
		.amdhsa_next_free_sgpr 40
		.amdhsa_accum_offset 40
		.amdhsa_reserve_vcc 1
		.amdhsa_float_round_mode_32 0
		.amdhsa_float_round_mode_16_64 0
		.amdhsa_float_denorm_mode_32 3
		.amdhsa_float_denorm_mode_16_64 3
		.amdhsa_dx10_clamp 1
		.amdhsa_ieee_mode 1
		.amdhsa_fp16_overflow 0
		.amdhsa_tg_split 0
		.amdhsa_exception_fp_ieee_invalid_op 0
		.amdhsa_exception_fp_denorm_src 0
		.amdhsa_exception_fp_ieee_div_zero 0
		.amdhsa_exception_fp_ieee_overflow 0
		.amdhsa_exception_fp_ieee_underflow 0
		.amdhsa_exception_fp_ieee_inexact 0
		.amdhsa_exception_int_div_zero 0
	.end_amdhsa_kernel
	.section	.text._ZN12_GLOBAL__N_127rocblas_gemm_batched_kernelIDF16_Li16ELi16ELi32ELi32ELi8ELi32ELi8ELi8ELi32ELc67ELc78EKPKDF16_S3_KPDF16_EEvlllT_PT11_llS8_llS6_PT12_llPT13_lli,"axG",@progbits,_ZN12_GLOBAL__N_127rocblas_gemm_batched_kernelIDF16_Li16ELi16ELi32ELi32ELi8ELi32ELi8ELi8ELi32ELc67ELc78EKPKDF16_S3_KPDF16_EEvlllT_PT11_llS8_llS6_PT12_llPT13_lli,comdat
.Lfunc_end161:
	.size	_ZN12_GLOBAL__N_127rocblas_gemm_batched_kernelIDF16_Li16ELi16ELi32ELi32ELi8ELi32ELi8ELi8ELi32ELc67ELc78EKPKDF16_S3_KPDF16_EEvlllT_PT11_llS8_llS6_PT12_llPT13_lli, .Lfunc_end161-_ZN12_GLOBAL__N_127rocblas_gemm_batched_kernelIDF16_Li16ELi16ELi32ELi32ELi8ELi32ELi8ELi8ELi32ELc67ELc78EKPKDF16_S3_KPDF16_EEvlllT_PT11_llS8_llS6_PT12_llPT13_lli
                                        ; -- End function
	.set _ZN12_GLOBAL__N_127rocblas_gemm_batched_kernelIDF16_Li16ELi16ELi32ELi32ELi8ELi32ELi8ELi8ELi32ELc67ELc78EKPKDF16_S3_KPDF16_EEvlllT_PT11_llS8_llS6_PT12_llPT13_lli.num_vgpr, 40
	.set _ZN12_GLOBAL__N_127rocblas_gemm_batched_kernelIDF16_Li16ELi16ELi32ELi32ELi8ELi32ELi8ELi8ELi32ELc67ELc78EKPKDF16_S3_KPDF16_EEvlllT_PT11_llS8_llS6_PT12_llPT13_lli.num_agpr, 0
	.set _ZN12_GLOBAL__N_127rocblas_gemm_batched_kernelIDF16_Li16ELi16ELi32ELi32ELi8ELi32ELi8ELi8ELi32ELc67ELc78EKPKDF16_S3_KPDF16_EEvlllT_PT11_llS8_llS6_PT12_llPT13_lli.numbered_sgpr, 40
	.set _ZN12_GLOBAL__N_127rocblas_gemm_batched_kernelIDF16_Li16ELi16ELi32ELi32ELi8ELi32ELi8ELi8ELi32ELc67ELc78EKPKDF16_S3_KPDF16_EEvlllT_PT11_llS8_llS6_PT12_llPT13_lli.num_named_barrier, 0
	.set _ZN12_GLOBAL__N_127rocblas_gemm_batched_kernelIDF16_Li16ELi16ELi32ELi32ELi8ELi32ELi8ELi8ELi32ELc67ELc78EKPKDF16_S3_KPDF16_EEvlllT_PT11_llS8_llS6_PT12_llPT13_lli.private_seg_size, 0
	.set _ZN12_GLOBAL__N_127rocblas_gemm_batched_kernelIDF16_Li16ELi16ELi32ELi32ELi8ELi32ELi8ELi8ELi32ELc67ELc78EKPKDF16_S3_KPDF16_EEvlllT_PT11_llS8_llS6_PT12_llPT13_lli.uses_vcc, 1
	.set _ZN12_GLOBAL__N_127rocblas_gemm_batched_kernelIDF16_Li16ELi16ELi32ELi32ELi8ELi32ELi8ELi8ELi32ELc67ELc78EKPKDF16_S3_KPDF16_EEvlllT_PT11_llS8_llS6_PT12_llPT13_lli.uses_flat_scratch, 0
	.set _ZN12_GLOBAL__N_127rocblas_gemm_batched_kernelIDF16_Li16ELi16ELi32ELi32ELi8ELi32ELi8ELi8ELi32ELc67ELc78EKPKDF16_S3_KPDF16_EEvlllT_PT11_llS8_llS6_PT12_llPT13_lli.has_dyn_sized_stack, 0
	.set _ZN12_GLOBAL__N_127rocblas_gemm_batched_kernelIDF16_Li16ELi16ELi32ELi32ELi8ELi32ELi8ELi8ELi32ELc67ELc78EKPKDF16_S3_KPDF16_EEvlllT_PT11_llS8_llS6_PT12_llPT13_lli.has_recursion, 0
	.set _ZN12_GLOBAL__N_127rocblas_gemm_batched_kernelIDF16_Li16ELi16ELi32ELi32ELi8ELi32ELi8ELi8ELi32ELc67ELc78EKPKDF16_S3_KPDF16_EEvlllT_PT11_llS8_llS6_PT12_llPT13_lli.has_indirect_call, 0
	.section	.AMDGPU.csdata,"",@progbits
; Kernel info:
; codeLenInByte = 1372
; TotalNumSgprs: 46
; NumVgprs: 40
; NumAgprs: 0
; TotalNumVgprs: 40
; ScratchSize: 0
; MemoryBound: 0
; FloatMode: 240
; IeeeMode: 1
; LDSByteSize: 1024 bytes/workgroup (compile time only)
; SGPRBlocks: 5
; VGPRBlocks: 4
; NumSGPRsForWavesPerEU: 46
; NumVGPRsForWavesPerEU: 40
; AccumOffset: 40
; Occupancy: 8
; WaveLimiterHint : 1
; COMPUTE_PGM_RSRC2:SCRATCH_EN: 0
; COMPUTE_PGM_RSRC2:USER_SGPR: 2
; COMPUTE_PGM_RSRC2:TRAP_HANDLER: 0
; COMPUTE_PGM_RSRC2:TGID_X_EN: 1
; COMPUTE_PGM_RSRC2:TGID_Y_EN: 1
; COMPUTE_PGM_RSRC2:TGID_Z_EN: 1
; COMPUTE_PGM_RSRC2:TIDIG_COMP_CNT: 1
; COMPUTE_PGM_RSRC3_GFX90A:ACCUM_OFFSET: 9
; COMPUTE_PGM_RSRC3_GFX90A:TG_SPLIT: 0
	.section	.text._ZN12_GLOBAL__N_127rocblas_gemm_batched_kernelIDF16_Li16ELi16ELi32ELi32ELi8ELi32ELi8ELi8ELi32ELc67ELc84EKPKDF16_S3_KPDF16_EEvlllT_PT11_llS8_llS6_PT12_llPT13_lli,"axG",@progbits,_ZN12_GLOBAL__N_127rocblas_gemm_batched_kernelIDF16_Li16ELi16ELi32ELi32ELi8ELi32ELi8ELi8ELi32ELc67ELc84EKPKDF16_S3_KPDF16_EEvlllT_PT11_llS8_llS6_PT12_llPT13_lli,comdat
	.globl	_ZN12_GLOBAL__N_127rocblas_gemm_batched_kernelIDF16_Li16ELi16ELi32ELi32ELi8ELi32ELi8ELi8ELi32ELc67ELc84EKPKDF16_S3_KPDF16_EEvlllT_PT11_llS8_llS6_PT12_llPT13_lli ; -- Begin function _ZN12_GLOBAL__N_127rocblas_gemm_batched_kernelIDF16_Li16ELi16ELi32ELi32ELi8ELi32ELi8ELi8ELi32ELc67ELc84EKPKDF16_S3_KPDF16_EEvlllT_PT11_llS8_llS6_PT12_llPT13_lli
	.p2align	8
	.type	_ZN12_GLOBAL__N_127rocblas_gemm_batched_kernelIDF16_Li16ELi16ELi32ELi32ELi8ELi32ELi8ELi8ELi32ELc67ELc84EKPKDF16_S3_KPDF16_EEvlllT_PT11_llS8_llS6_PT12_llPT13_lli,@function
_ZN12_GLOBAL__N_127rocblas_gemm_batched_kernelIDF16_Li16ELi16ELi32ELi32ELi8ELi32ELi8ELi8ELi32ELc67ELc84EKPKDF16_S3_KPDF16_EEvlllT_PT11_llS8_llS6_PT12_llPT13_lli: ; @_ZN12_GLOBAL__N_127rocblas_gemm_batched_kernelIDF16_Li16ELi16ELi32ELi32ELi8ELi32ELi8ELi8ELi32ELc67ELc84EKPKDF16_S3_KPDF16_EEvlllT_PT11_llS8_llS6_PT12_llPT13_lli
; %bb.0:
	s_load_dwordx2 s[30:31], s[0:1], 0x10
	s_load_dwordx4 s[24:27], s[0:1], 0x78
	s_load_dwordx8 s[8:15], s[0:1], 0x58
	s_mov_b32 s5, 0
	s_lshl_b64 s[34:35], s[4:5], 3
	s_mov_b32 s6, s3
	v_mov_b32_e32 v3, 0
	s_waitcnt lgkmcnt(0)
	s_add_u32 s4, s8, s34
	s_addc_u32 s5, s9, s35
	s_load_dwordx2 s[8:9], s[4:5], 0x0
	s_add_u32 s4, s14, s34
	s_addc_u32 s5, s15, s35
	s_load_dwordx2 s[14:15], s[4:5], 0x0
	s_ashr_i32 s3, s2, 31
	s_ashr_i32 s7, s6, 31
	v_cmp_lt_i64_e64 s[4:5], s[30:31], 1
	v_bfe_u32 v2, v0, 10, 10
	v_and_b32_e32 v0, 0x3ff, v0
	v_mov_b32_e32 v1, v3
	s_lshl_b64 s[2:3], s[2:3], 5
	s_lshl_b64 s[28:29], s[6:7], 5
	s_and_b64 vcc, exec, s[4:5]
	s_cbranch_vccnz .LBB162_3
; %bb.1:
	s_load_dwordx8 s[16:23], s[0:1], 0x20
	s_load_dwordx4 s[4:7], s[0:1], 0x40
	v_lshlrev_b32_e32 v8, 4, v2
	v_add_u32_e32 v9, v8, v0
	v_and_b32_e32 v6, 31, v9
	s_waitcnt lgkmcnt(0)
	s_add_u32 s16, s16, s34
	s_addc_u32 s17, s17, s35
	s_add_u32 s22, s22, s34
	s_addc_u32 s23, s23, s35
	s_load_dwordx2 s[22:23], s[22:23], 0x0
	v_lshrrev_b32_e32 v4, 3, v9
	v_and_b32_e32 v10, 7, v0
	v_lshrrev_b32_e32 v11, 5, v9
	v_lshlrev_b32_e32 v9, 1, v6
	v_mov_b32_e32 v5, v3
	v_lshl_or_b32 v12, v11, 6, v9
	v_lshlrev_b32_e32 v9, 1, v10
	v_lshl_or_b32 v9, v4, 4, v9
	v_mad_u64_u32 v[4:5], s[34:35], s4, v10, v[4:5]
	v_add_u32_e32 v15, 0x200, v8
	v_mov_b32_e32 v8, v5
	v_add_u32_e32 v13, 0x200, v9
	s_lshl_b64 s[6:7], s[6:7], 1
	v_mad_u64_u32 v[8:9], s[34:35], s5, v10, v[8:9]
	v_mov_b32_e32 v7, v3
	v_mov_b32_e32 v5, v8
	s_waitcnt lgkmcnt(0)
	s_add_u32 s6, s22, s6
	s_load_dwordx2 s[16:17], s[16:17], 0x0
	v_lshl_add_u64 v[4:5], v[4:5], 0, s[28:29]
	s_addc_u32 s7, s23, s7
	v_lshl_add_u64 v[6:7], s[2:3], 0, v[6:7]
	v_lshl_add_u64 v[4:5], v[4:5], 1, s[6:7]
	v_mul_lo_u32 v8, s19, v6
	v_mul_lo_u32 v9, s18, v7
	v_mad_u64_u32 v[6:7], s[6:7], s18, v6, 0
	v_add3_u32 v7, v7, v9, v8
	s_lshl_b64 s[6:7], s[20:21], 1
	v_lshl_add_u64 v[6:7], v[6:7], 1, s[6:7]
	v_lshlrev_b32_e32 v8, 1, v11
	v_mov_b32_e32 v9, v3
	v_lshl_add_u64 v[6:7], v[6:7], 0, v[8:9]
	v_lshlrev_b32_e32 v14, 1, v0
	s_lshl_b64 s[4:5], s[4:5], 4
	s_waitcnt lgkmcnt(0)
	v_lshl_add_u64 v[6:7], s[16:17], 0, v[6:7]
	s_mov_b64 s[6:7], 0
	s_mov_b32 s16, 0x5040100
	v_mov_b64_e32 v[8:9], s[30:31]
	v_mov_b32_e32 v10, v3
	v_mov_b32_e32 v11, v3
.LBB162_2:                              ; =>This Inner Loop Header: Depth=1
	flat_load_ushort v16, v[6:7]
	s_add_u32 s6, s6, 8
	s_addc_u32 s7, s7, 0
	v_cmp_lt_i64_e32 vcc, s[6:7], v[8:9]
	v_lshl_add_u64 v[6:7], v[6:7], 0, 16
	s_and_b64 vcc, exec, vcc
	s_waitcnt vmcnt(0) lgkmcnt(0)
	ds_write_b16 v12, v16
	flat_load_ushort v16, v[4:5]
	v_lshl_add_u64 v[4:5], v[4:5], 0, s[4:5]
	s_waitcnt vmcnt(0) lgkmcnt(0)
	ds_write_b16 v13, v16
	s_waitcnt lgkmcnt(0)
	s_barrier
	ds_read_b128 v[16:19], v15
	ds_read_b128 v[20:23], v15 offset:256
	ds_read_u16 v24, v14
	ds_read_u16 v25, v14 offset:32
	ds_read_u16 v26, v14 offset:64
	;; [unrolled: 1-line block ×15, first 2 shown]
	s_waitcnt lgkmcnt(14)
	v_perm_b32 v24, v24, v25, s16
	s_waitcnt lgkmcnt(12)
	v_perm_b32 v25, v26, v27, s16
	v_pk_fma_f16 v11, v24, v16, v11 op_sel_hi:[1,0,1]
	v_pk_fma_f16 v10, v24, v20, v10 op_sel_hi:[1,0,1]
	s_waitcnt lgkmcnt(10)
	v_perm_b32 v26, v28, v29, s16
	v_pk_fma_f16 v11, v25, v16, v11 op_sel:[0,1,0]
	v_pk_fma_f16 v10, v25, v20, v10 op_sel:[0,1,0]
	s_waitcnt lgkmcnt(8)
	v_perm_b32 v27, v30, v31, s16
	v_pk_fma_f16 v11, v26, v17, v11 op_sel_hi:[1,0,1]
	v_pk_fma_f16 v10, v26, v21, v10 op_sel_hi:[1,0,1]
	s_waitcnt lgkmcnt(6)
	v_perm_b32 v28, v32, v33, s16
	v_pk_fma_f16 v11, v27, v17, v11 op_sel:[0,1,0]
	v_pk_fma_f16 v10, v27, v21, v10 op_sel:[0,1,0]
	;; [unrolled: 8-line block ×3, first 2 shown]
	s_waitcnt lgkmcnt(0)
	v_perm_b32 v31, v38, v39, s16
	v_pk_fma_f16 v11, v30, v19, v11 op_sel_hi:[1,0,1]
	v_pk_fma_f16 v10, v30, v23, v10 op_sel_hi:[1,0,1]
	v_pk_fma_f16 v11, v31, v19, v11 op_sel:[0,1,0]
	v_pk_fma_f16 v10, v31, v23, v10 op_sel:[0,1,0]
	s_barrier
	s_cbranch_vccnz .LBB162_2
	s_branch .LBB162_4
.LBB162_3:
	v_mov_b32_e32 v11, v3
	v_mov_b32_e32 v10, v3
.LBB162_4:
	s_load_dword s4, s[0:1], 0x18
	s_load_dword s5, s[0:1], 0x50
	s_lshl_b64 s[0:1], s[26:27], 1
	s_waitcnt lgkmcnt(0)
	s_add_u32 s0, s14, s0
	v_lshl_add_u64 v[2:3], s[28:29], 0, v[2:3]
	v_lshl_add_u64 v[0:1], s[2:3], 0, v[0:1]
	v_cmp_neq_f16_e64 s[6:7], s5, 0
	s_addc_u32 s1, s15, s1
	s_and_b64 vcc, exec, s[6:7]
	v_mul_lo_u32 v6, v3, s24
	v_mul_lo_u32 v7, v2, s25
	v_lshrrev_b32_e32 v5, 16, v11
	v_lshlrev_b64 v[0:1], 1, v[0:1]
	v_lshrrev_b32_e32 v4, 16, v10
	s_cbranch_vccnz .LBB162_8
; %bb.5:
	v_mad_u64_u32 v[8:9], s[2:3], v2, s24, 0
	v_add3_u32 v9, v9, v7, v6
	v_lshl_add_u64 v[8:9], v[8:9], 1, s[0:1]
	v_mul_f16_sdwa v14, s4, v11 dst_sel:DWORD dst_unused:UNUSED_PAD src0_sel:DWORD src1_sel:WORD_1
	v_lshl_add_u64 v[12:13], v[8:9], 0, v[0:1]
	s_lshl_b64 s[2:3], s[24:25], 5
	flat_store_short v[12:13], v14
	v_mul_f16_e32 v14, s4, v11
	v_lshl_add_u64 v[8:9], v[8:9], 0, s[2:3]
	flat_store_short v[12:13], v14 offset:32
	v_mul_f16_sdwa v12, s4, v10 dst_sel:DWORD dst_unused:UNUSED_PAD src0_sel:DWORD src1_sel:WORD_1
	v_lshl_add_u64 v[8:9], v[8:9], 0, v[0:1]
	flat_store_short v[8:9], v12
	v_mul_f16_e32 v12, s4, v10
	flat_store_short v[8:9], v12 offset:32
	s_cbranch_execnz .LBB162_7
.LBB162_6:
	s_lshl_b64 s[2:3], s[12:13], 1
	s_add_u32 s2, s8, s2
	v_mul_lo_u32 v3, v3, s10
	v_mul_lo_u32 v12, v2, s11
	v_mad_u64_u32 v[8:9], s[6:7], v2, s10, 0
	s_addc_u32 s3, s9, s3
	v_add3_u32 v9, v9, v12, v3
	v_lshl_add_u64 v[8:9], v[8:9], 1, s[2:3]
	v_lshl_add_u64 v[12:13], v[8:9], 0, v[0:1]
	flat_load_ushort v14, v[12:13]
	v_mad_u64_u32 v[2:3], s[2:3], v2, s24, 0
	v_add3_u32 v3, v3, v7, v6
	v_lshl_add_u64 v[2:3], v[2:3], 1, s[0:1]
	v_lshl_add_u64 v[6:7], v[2:3], 0, v[0:1]
	s_lshl_b64 s[0:1], s[10:11], 5
	v_lshl_add_u64 v[8:9], v[8:9], 0, s[0:1]
	v_lshl_add_u64 v[8:9], v[8:9], 0, v[0:1]
	s_lshl_b64 s[0:1], s[24:25], 5
	v_lshl_add_u64 v[2:3], v[2:3], 0, s[0:1]
	v_lshl_add_u64 v[0:1], v[2:3], 0, v[0:1]
	s_waitcnt vmcnt(0) lgkmcnt(0)
	v_mul_f16_e32 v14, s5, v14
	v_fma_f16 v5, s4, v5, v14
	flat_store_short v[6:7], v5
	flat_load_ushort v5, v[12:13] offset:32
	s_waitcnt vmcnt(0) lgkmcnt(0)
	v_mul_f16_e32 v5, s5, v5
	v_fma_f16 v5, s4, v11, v5
	flat_store_short v[6:7], v5 offset:32
	flat_load_ushort v5, v[8:9]
	s_waitcnt vmcnt(0) lgkmcnt(0)
	v_mul_f16_e32 v5, s5, v5
	v_fma_f16 v4, s4, v4, v5
	flat_store_short v[0:1], v4
	flat_load_ushort v2, v[8:9] offset:32
	s_waitcnt vmcnt(0) lgkmcnt(0)
	v_mul_f16_e32 v2, s5, v2
	v_fma_f16 v2, s4, v10, v2
	flat_store_short v[0:1], v2 offset:32
.LBB162_7:
	s_endpgm
.LBB162_8:
	s_branch .LBB162_6
	.section	.rodata,"a",@progbits
	.p2align	6, 0x0
	.amdhsa_kernel _ZN12_GLOBAL__N_127rocblas_gemm_batched_kernelIDF16_Li16ELi16ELi32ELi32ELi8ELi32ELi8ELi8ELi32ELc67ELc84EKPKDF16_S3_KPDF16_EEvlllT_PT11_llS8_llS6_PT12_llPT13_lli
		.amdhsa_group_segment_fixed_size 1024
		.amdhsa_private_segment_fixed_size 0
		.amdhsa_kernarg_size 140
		.amdhsa_user_sgpr_count 2
		.amdhsa_user_sgpr_dispatch_ptr 0
		.amdhsa_user_sgpr_queue_ptr 0
		.amdhsa_user_sgpr_kernarg_segment_ptr 1
		.amdhsa_user_sgpr_dispatch_id 0
		.amdhsa_user_sgpr_kernarg_preload_length 0
		.amdhsa_user_sgpr_kernarg_preload_offset 0
		.amdhsa_user_sgpr_private_segment_size 0
		.amdhsa_uses_dynamic_stack 0
		.amdhsa_enable_private_segment 0
		.amdhsa_system_sgpr_workgroup_id_x 1
		.amdhsa_system_sgpr_workgroup_id_y 1
		.amdhsa_system_sgpr_workgroup_id_z 1
		.amdhsa_system_sgpr_workgroup_info 0
		.amdhsa_system_vgpr_workitem_id 1
		.amdhsa_next_free_vgpr 40
		.amdhsa_next_free_sgpr 36
		.amdhsa_accum_offset 40
		.amdhsa_reserve_vcc 1
		.amdhsa_float_round_mode_32 0
		.amdhsa_float_round_mode_16_64 0
		.amdhsa_float_denorm_mode_32 3
		.amdhsa_float_denorm_mode_16_64 3
		.amdhsa_dx10_clamp 1
		.amdhsa_ieee_mode 1
		.amdhsa_fp16_overflow 0
		.amdhsa_tg_split 0
		.amdhsa_exception_fp_ieee_invalid_op 0
		.amdhsa_exception_fp_denorm_src 0
		.amdhsa_exception_fp_ieee_div_zero 0
		.amdhsa_exception_fp_ieee_overflow 0
		.amdhsa_exception_fp_ieee_underflow 0
		.amdhsa_exception_fp_ieee_inexact 0
		.amdhsa_exception_int_div_zero 0
	.end_amdhsa_kernel
	.section	.text._ZN12_GLOBAL__N_127rocblas_gemm_batched_kernelIDF16_Li16ELi16ELi32ELi32ELi8ELi32ELi8ELi8ELi32ELc67ELc84EKPKDF16_S3_KPDF16_EEvlllT_PT11_llS8_llS6_PT12_llPT13_lli,"axG",@progbits,_ZN12_GLOBAL__N_127rocblas_gemm_batched_kernelIDF16_Li16ELi16ELi32ELi32ELi8ELi32ELi8ELi8ELi32ELc67ELc84EKPKDF16_S3_KPDF16_EEvlllT_PT11_llS8_llS6_PT12_llPT13_lli,comdat
.Lfunc_end162:
	.size	_ZN12_GLOBAL__N_127rocblas_gemm_batched_kernelIDF16_Li16ELi16ELi32ELi32ELi8ELi32ELi8ELi8ELi32ELc67ELc84EKPKDF16_S3_KPDF16_EEvlllT_PT11_llS8_llS6_PT12_llPT13_lli, .Lfunc_end162-_ZN12_GLOBAL__N_127rocblas_gemm_batched_kernelIDF16_Li16ELi16ELi32ELi32ELi8ELi32ELi8ELi8ELi32ELc67ELc84EKPKDF16_S3_KPDF16_EEvlllT_PT11_llS8_llS6_PT12_llPT13_lli
                                        ; -- End function
	.set _ZN12_GLOBAL__N_127rocblas_gemm_batched_kernelIDF16_Li16ELi16ELi32ELi32ELi8ELi32ELi8ELi8ELi32ELc67ELc84EKPKDF16_S3_KPDF16_EEvlllT_PT11_llS8_llS6_PT12_llPT13_lli.num_vgpr, 40
	.set _ZN12_GLOBAL__N_127rocblas_gemm_batched_kernelIDF16_Li16ELi16ELi32ELi32ELi8ELi32ELi8ELi8ELi32ELc67ELc84EKPKDF16_S3_KPDF16_EEvlllT_PT11_llS8_llS6_PT12_llPT13_lli.num_agpr, 0
	.set _ZN12_GLOBAL__N_127rocblas_gemm_batched_kernelIDF16_Li16ELi16ELi32ELi32ELi8ELi32ELi8ELi8ELi32ELc67ELc84EKPKDF16_S3_KPDF16_EEvlllT_PT11_llS8_llS6_PT12_llPT13_lli.numbered_sgpr, 36
	.set _ZN12_GLOBAL__N_127rocblas_gemm_batched_kernelIDF16_Li16ELi16ELi32ELi32ELi8ELi32ELi8ELi8ELi32ELc67ELc84EKPKDF16_S3_KPDF16_EEvlllT_PT11_llS8_llS6_PT12_llPT13_lli.num_named_barrier, 0
	.set _ZN12_GLOBAL__N_127rocblas_gemm_batched_kernelIDF16_Li16ELi16ELi32ELi32ELi8ELi32ELi8ELi8ELi32ELc67ELc84EKPKDF16_S3_KPDF16_EEvlllT_PT11_llS8_llS6_PT12_llPT13_lli.private_seg_size, 0
	.set _ZN12_GLOBAL__N_127rocblas_gemm_batched_kernelIDF16_Li16ELi16ELi32ELi32ELi8ELi32ELi8ELi8ELi32ELc67ELc84EKPKDF16_S3_KPDF16_EEvlllT_PT11_llS8_llS6_PT12_llPT13_lli.uses_vcc, 1
	.set _ZN12_GLOBAL__N_127rocblas_gemm_batched_kernelIDF16_Li16ELi16ELi32ELi32ELi8ELi32ELi8ELi8ELi32ELc67ELc84EKPKDF16_S3_KPDF16_EEvlllT_PT11_llS8_llS6_PT12_llPT13_lli.uses_flat_scratch, 0
	.set _ZN12_GLOBAL__N_127rocblas_gemm_batched_kernelIDF16_Li16ELi16ELi32ELi32ELi8ELi32ELi8ELi8ELi32ELc67ELc84EKPKDF16_S3_KPDF16_EEvlllT_PT11_llS8_llS6_PT12_llPT13_lli.has_dyn_sized_stack, 0
	.set _ZN12_GLOBAL__N_127rocblas_gemm_batched_kernelIDF16_Li16ELi16ELi32ELi32ELi8ELi32ELi8ELi8ELi32ELc67ELc84EKPKDF16_S3_KPDF16_EEvlllT_PT11_llS8_llS6_PT12_llPT13_lli.has_recursion, 0
	.set _ZN12_GLOBAL__N_127rocblas_gemm_batched_kernelIDF16_Li16ELi16ELi32ELi32ELi8ELi32ELi8ELi8ELi32ELc67ELc84EKPKDF16_S3_KPDF16_EEvlllT_PT11_llS8_llS6_PT12_llPT13_lli.has_indirect_call, 0
	.section	.AMDGPU.csdata,"",@progbits
; Kernel info:
; codeLenInByte = 1364
; TotalNumSgprs: 42
; NumVgprs: 40
; NumAgprs: 0
; TotalNumVgprs: 40
; ScratchSize: 0
; MemoryBound: 0
; FloatMode: 240
; IeeeMode: 1
; LDSByteSize: 1024 bytes/workgroup (compile time only)
; SGPRBlocks: 5
; VGPRBlocks: 4
; NumSGPRsForWavesPerEU: 42
; NumVGPRsForWavesPerEU: 40
; AccumOffset: 40
; Occupancy: 8
; WaveLimiterHint : 1
; COMPUTE_PGM_RSRC2:SCRATCH_EN: 0
; COMPUTE_PGM_RSRC2:USER_SGPR: 2
; COMPUTE_PGM_RSRC2:TRAP_HANDLER: 0
; COMPUTE_PGM_RSRC2:TGID_X_EN: 1
; COMPUTE_PGM_RSRC2:TGID_Y_EN: 1
; COMPUTE_PGM_RSRC2:TGID_Z_EN: 1
; COMPUTE_PGM_RSRC2:TIDIG_COMP_CNT: 1
; COMPUTE_PGM_RSRC3_GFX90A:ACCUM_OFFSET: 9
; COMPUTE_PGM_RSRC3_GFX90A:TG_SPLIT: 0
	.section	.text._ZN12_GLOBAL__N_127rocblas_gemm_batched_kernelIDF16_Li16ELi16ELi32ELi32ELi8ELi32ELi8ELi8ELi32ELc78ELc67EKPKDF16_S3_KPDF16_EEvlllT_PT11_llS8_llS6_PT12_llPT13_lli,"axG",@progbits,_ZN12_GLOBAL__N_127rocblas_gemm_batched_kernelIDF16_Li16ELi16ELi32ELi32ELi8ELi32ELi8ELi8ELi32ELc78ELc67EKPKDF16_S3_KPDF16_EEvlllT_PT11_llS8_llS6_PT12_llPT13_lli,comdat
	.globl	_ZN12_GLOBAL__N_127rocblas_gemm_batched_kernelIDF16_Li16ELi16ELi32ELi32ELi8ELi32ELi8ELi8ELi32ELc78ELc67EKPKDF16_S3_KPDF16_EEvlllT_PT11_llS8_llS6_PT12_llPT13_lli ; -- Begin function _ZN12_GLOBAL__N_127rocblas_gemm_batched_kernelIDF16_Li16ELi16ELi32ELi32ELi8ELi32ELi8ELi8ELi32ELc78ELc67EKPKDF16_S3_KPDF16_EEvlllT_PT11_llS8_llS6_PT12_llPT13_lli
	.p2align	8
	.type	_ZN12_GLOBAL__N_127rocblas_gemm_batched_kernelIDF16_Li16ELi16ELi32ELi32ELi8ELi32ELi8ELi8ELi32ELc78ELc67EKPKDF16_S3_KPDF16_EEvlllT_PT11_llS8_llS6_PT12_llPT13_lli,@function
_ZN12_GLOBAL__N_127rocblas_gemm_batched_kernelIDF16_Li16ELi16ELi32ELi32ELi8ELi32ELi8ELi8ELi32ELc78ELc67EKPKDF16_S3_KPDF16_EEvlllT_PT11_llS8_llS6_PT12_llPT13_lli: ; @_ZN12_GLOBAL__N_127rocblas_gemm_batched_kernelIDF16_Li16ELi16ELi32ELi32ELi8ELi32ELi8ELi8ELi32ELc78ELc67EKPKDF16_S3_KPDF16_EEvlllT_PT11_llS8_llS6_PT12_llPT13_lli
; %bb.0:
	s_load_dwordx2 s[30:31], s[0:1], 0x10
	s_load_dwordx4 s[24:27], s[0:1], 0x78
	s_load_dwordx8 s[8:15], s[0:1], 0x58
	s_mov_b32 s5, 0
	s_lshl_b64 s[34:35], s[4:5], 3
	s_mov_b32 s6, s3
	v_mov_b32_e32 v3, 0
	s_waitcnt lgkmcnt(0)
	s_add_u32 s4, s8, s34
	s_addc_u32 s5, s9, s35
	s_load_dwordx2 s[8:9], s[4:5], 0x0
	s_add_u32 s4, s14, s34
	s_addc_u32 s5, s15, s35
	s_load_dwordx2 s[14:15], s[4:5], 0x0
	s_ashr_i32 s3, s2, 31
	s_ashr_i32 s7, s6, 31
	v_cmp_lt_i64_e64 s[4:5], s[30:31], 1
	v_bfe_u32 v2, v0, 10, 10
	v_and_b32_e32 v0, 0x3ff, v0
	v_mov_b32_e32 v1, v3
	s_lshl_b64 s[2:3], s[2:3], 5
	s_lshl_b64 s[28:29], s[6:7], 5
	s_and_b64 vcc, exec, s[4:5]
	s_cbranch_vccnz .LBB163_3
; %bb.1:
	s_load_dwordx8 s[16:23], s[0:1], 0x20
	s_load_dwordx4 s[4:7], s[0:1], 0x40
	v_lshlrev_b32_e32 v8, 4, v2
	v_add_u32_e32 v9, v8, v0
	v_and_b32_e32 v6, 31, v9
	s_waitcnt lgkmcnt(0)
	s_add_u32 s16, s16, s34
	s_addc_u32 s17, s17, s35
	s_add_u32 s22, s22, s34
	s_addc_u32 s23, s23, s35
	s_load_dwordx2 s[22:23], s[22:23], 0x0
	v_lshrrev_b32_e32 v4, 3, v9
	v_and_b32_e32 v10, 7, v0
	v_lshrrev_b32_e32 v11, 5, v9
	v_lshlrev_b32_e32 v9, 1, v6
	v_mov_b32_e32 v5, v3
	v_lshl_or_b32 v12, v11, 6, v9
	v_lshlrev_b32_e32 v9, 1, v10
	v_lshl_or_b32 v9, v4, 4, v9
	v_mad_u64_u32 v[4:5], s[34:35], s4, v10, v[4:5]
	v_add_u32_e32 v15, 0x200, v8
	v_mov_b32_e32 v8, v5
	v_add_u32_e32 v13, 0x200, v9
	s_lshl_b64 s[6:7], s[6:7], 1
	v_mad_u64_u32 v[8:9], s[34:35], s5, v10, v[8:9]
	s_load_dwordx2 s[16:17], s[16:17], 0x0
	v_mov_b32_e32 v5, v8
	s_waitcnt lgkmcnt(0)
	s_add_u32 s6, s22, s6
	v_lshl_add_u64 v[4:5], v[4:5], 0, s[28:29]
	s_addc_u32 s7, s23, s7
	v_mov_b64_e32 v[8:9], s[2:3]
	v_lshl_add_u64 v[4:5], v[4:5], 1, s[6:7]
	s_lshl_b64 s[6:7], s[20:21], 1
	v_mad_u64_u32 v[8:9], s[20:21], s18, v11, v[8:9]
	v_mov_b32_e32 v10, v9
	s_lshl_b64 s[4:5], s[4:5], 4
	v_mad_u64_u32 v[10:11], s[20:21], s19, v11, v[10:11]
	v_mov_b32_e32 v7, v3
	v_mov_b32_e32 v9, v10
	s_add_u32 s6, s16, s6
	v_lshl_add_u64 v[6:7], v[8:9], 0, v[6:7]
	s_addc_u32 s7, s17, s7
	v_lshlrev_b32_e32 v14, 1, v0
	v_lshl_add_u64 v[6:7], v[6:7], 1, s[6:7]
	s_lshl_b64 s[6:7], s[18:19], 4
	s_mov_b64 s[16:17], 0
	s_mov_b32 s18, 0x5040100
	v_mov_b64_e32 v[8:9], s[30:31]
	v_mov_b32_e32 v10, v3
	v_mov_b32_e32 v11, v3
.LBB163_2:                              ; =>This Inner Loop Header: Depth=1
	flat_load_ushort v16, v[6:7]
	s_add_u32 s16, s16, 8
	s_addc_u32 s17, s17, 0
	v_cmp_lt_i64_e32 vcc, s[16:17], v[8:9]
	v_lshl_add_u64 v[6:7], v[6:7], 0, s[6:7]
	s_and_b64 vcc, exec, vcc
	s_waitcnt vmcnt(0) lgkmcnt(0)
	ds_write_b16 v12, v16
	flat_load_ushort v16, v[4:5]
	v_lshl_add_u64 v[4:5], v[4:5], 0, s[4:5]
	s_waitcnt vmcnt(0) lgkmcnt(0)
	ds_write_b16 v13, v16
	s_waitcnt lgkmcnt(0)
	s_barrier
	ds_read_b128 v[16:19], v15
	ds_read_b128 v[20:23], v15 offset:256
	ds_read_u16 v24, v14
	ds_read_u16 v25, v14 offset:32
	ds_read_u16 v26, v14 offset:64
	;; [unrolled: 1-line block ×15, first 2 shown]
	s_waitcnt lgkmcnt(14)
	v_perm_b32 v24, v24, v25, s18
	s_waitcnt lgkmcnt(12)
	v_perm_b32 v25, v26, v27, s18
	v_pk_fma_f16 v11, v24, v16, v11 op_sel_hi:[1,0,1]
	v_pk_fma_f16 v10, v24, v20, v10 op_sel_hi:[1,0,1]
	s_waitcnt lgkmcnt(10)
	v_perm_b32 v26, v28, v29, s18
	v_pk_fma_f16 v11, v25, v16, v11 op_sel:[0,1,0]
	v_pk_fma_f16 v10, v25, v20, v10 op_sel:[0,1,0]
	s_waitcnt lgkmcnt(8)
	v_perm_b32 v27, v30, v31, s18
	v_pk_fma_f16 v11, v26, v17, v11 op_sel_hi:[1,0,1]
	v_pk_fma_f16 v10, v26, v21, v10 op_sel_hi:[1,0,1]
	s_waitcnt lgkmcnt(6)
	v_perm_b32 v28, v32, v33, s18
	v_pk_fma_f16 v11, v27, v17, v11 op_sel:[0,1,0]
	v_pk_fma_f16 v10, v27, v21, v10 op_sel:[0,1,0]
	s_waitcnt lgkmcnt(4)
	v_perm_b32 v29, v34, v35, s18
	v_pk_fma_f16 v11, v28, v18, v11 op_sel_hi:[1,0,1]
	v_pk_fma_f16 v10, v28, v22, v10 op_sel_hi:[1,0,1]
	s_waitcnt lgkmcnt(2)
	v_perm_b32 v30, v36, v37, s18
	v_pk_fma_f16 v11, v29, v18, v11 op_sel:[0,1,0]
	v_pk_fma_f16 v10, v29, v22, v10 op_sel:[0,1,0]
	s_waitcnt lgkmcnt(0)
	v_perm_b32 v31, v38, v39, s18
	v_pk_fma_f16 v11, v30, v19, v11 op_sel_hi:[1,0,1]
	v_pk_fma_f16 v10, v30, v23, v10 op_sel_hi:[1,0,1]
	v_pk_fma_f16 v11, v31, v19, v11 op_sel:[0,1,0]
	v_pk_fma_f16 v10, v31, v23, v10 op_sel:[0,1,0]
	s_barrier
	s_cbranch_vccnz .LBB163_2
	s_branch .LBB163_4
.LBB163_3:
	v_mov_b32_e32 v11, v3
	v_mov_b32_e32 v10, v3
.LBB163_4:
	s_load_dword s4, s[0:1], 0x18
	s_load_dword s5, s[0:1], 0x50
	s_lshl_b64 s[0:1], s[26:27], 1
	s_waitcnt lgkmcnt(0)
	s_add_u32 s0, s14, s0
	v_lshl_add_u64 v[2:3], s[28:29], 0, v[2:3]
	v_lshl_add_u64 v[0:1], s[2:3], 0, v[0:1]
	v_cmp_neq_f16_e64 s[6:7], s5, 0
	s_addc_u32 s1, s15, s1
	s_and_b64 vcc, exec, s[6:7]
	v_mul_lo_u32 v6, v3, s24
	v_mul_lo_u32 v7, v2, s25
	v_lshrrev_b32_e32 v5, 16, v11
	v_lshlrev_b64 v[0:1], 1, v[0:1]
	v_lshrrev_b32_e32 v4, 16, v10
	s_cbranch_vccnz .LBB163_8
; %bb.5:
	v_mad_u64_u32 v[8:9], s[2:3], v2, s24, 0
	v_add3_u32 v9, v9, v7, v6
	v_lshl_add_u64 v[8:9], v[8:9], 1, s[0:1]
	v_mul_f16_sdwa v14, s4, v11 dst_sel:DWORD dst_unused:UNUSED_PAD src0_sel:DWORD src1_sel:WORD_1
	v_lshl_add_u64 v[12:13], v[8:9], 0, v[0:1]
	s_lshl_b64 s[2:3], s[24:25], 5
	flat_store_short v[12:13], v14
	v_mul_f16_e32 v14, s4, v11
	v_lshl_add_u64 v[8:9], v[8:9], 0, s[2:3]
	flat_store_short v[12:13], v14 offset:32
	v_mul_f16_sdwa v12, s4, v10 dst_sel:DWORD dst_unused:UNUSED_PAD src0_sel:DWORD src1_sel:WORD_1
	v_lshl_add_u64 v[8:9], v[8:9], 0, v[0:1]
	flat_store_short v[8:9], v12
	v_mul_f16_e32 v12, s4, v10
	flat_store_short v[8:9], v12 offset:32
	s_cbranch_execnz .LBB163_7
.LBB163_6:
	s_lshl_b64 s[2:3], s[12:13], 1
	s_add_u32 s2, s8, s2
	v_mul_lo_u32 v3, v3, s10
	v_mul_lo_u32 v12, v2, s11
	v_mad_u64_u32 v[8:9], s[6:7], v2, s10, 0
	s_addc_u32 s3, s9, s3
	v_add3_u32 v9, v9, v12, v3
	v_lshl_add_u64 v[8:9], v[8:9], 1, s[2:3]
	v_lshl_add_u64 v[12:13], v[8:9], 0, v[0:1]
	flat_load_ushort v14, v[12:13]
	v_mad_u64_u32 v[2:3], s[2:3], v2, s24, 0
	v_add3_u32 v3, v3, v7, v6
	v_lshl_add_u64 v[2:3], v[2:3], 1, s[0:1]
	v_lshl_add_u64 v[6:7], v[2:3], 0, v[0:1]
	s_lshl_b64 s[0:1], s[10:11], 5
	v_lshl_add_u64 v[8:9], v[8:9], 0, s[0:1]
	v_lshl_add_u64 v[8:9], v[8:9], 0, v[0:1]
	s_lshl_b64 s[0:1], s[24:25], 5
	v_lshl_add_u64 v[2:3], v[2:3], 0, s[0:1]
	v_lshl_add_u64 v[0:1], v[2:3], 0, v[0:1]
	s_waitcnt vmcnt(0) lgkmcnt(0)
	v_mul_f16_e32 v14, s5, v14
	v_fma_f16 v5, s4, v5, v14
	flat_store_short v[6:7], v5
	flat_load_ushort v5, v[12:13] offset:32
	s_waitcnt vmcnt(0) lgkmcnt(0)
	v_mul_f16_e32 v5, s5, v5
	v_fma_f16 v5, s4, v11, v5
	flat_store_short v[6:7], v5 offset:32
	flat_load_ushort v5, v[8:9]
	s_waitcnt vmcnt(0) lgkmcnt(0)
	v_mul_f16_e32 v5, s5, v5
	v_fma_f16 v4, s4, v4, v5
	flat_store_short v[0:1], v4
	flat_load_ushort v2, v[8:9] offset:32
	s_waitcnt vmcnt(0) lgkmcnt(0)
	v_mul_f16_e32 v2, s5, v2
	v_fma_f16 v2, s4, v10, v2
	flat_store_short v[0:1], v2 offset:32
.LBB163_7:
	s_endpgm
.LBB163_8:
	s_branch .LBB163_6
	.section	.rodata,"a",@progbits
	.p2align	6, 0x0
	.amdhsa_kernel _ZN12_GLOBAL__N_127rocblas_gemm_batched_kernelIDF16_Li16ELi16ELi32ELi32ELi8ELi32ELi8ELi8ELi32ELc78ELc67EKPKDF16_S3_KPDF16_EEvlllT_PT11_llS8_llS6_PT12_llPT13_lli
		.amdhsa_group_segment_fixed_size 1024
		.amdhsa_private_segment_fixed_size 0
		.amdhsa_kernarg_size 140
		.amdhsa_user_sgpr_count 2
		.amdhsa_user_sgpr_dispatch_ptr 0
		.amdhsa_user_sgpr_queue_ptr 0
		.amdhsa_user_sgpr_kernarg_segment_ptr 1
		.amdhsa_user_sgpr_dispatch_id 0
		.amdhsa_user_sgpr_kernarg_preload_length 0
		.amdhsa_user_sgpr_kernarg_preload_offset 0
		.amdhsa_user_sgpr_private_segment_size 0
		.amdhsa_uses_dynamic_stack 0
		.amdhsa_enable_private_segment 0
		.amdhsa_system_sgpr_workgroup_id_x 1
		.amdhsa_system_sgpr_workgroup_id_y 1
		.amdhsa_system_sgpr_workgroup_id_z 1
		.amdhsa_system_sgpr_workgroup_info 0
		.amdhsa_system_vgpr_workitem_id 1
		.amdhsa_next_free_vgpr 40
		.amdhsa_next_free_sgpr 36
		.amdhsa_accum_offset 40
		.amdhsa_reserve_vcc 1
		.amdhsa_float_round_mode_32 0
		.amdhsa_float_round_mode_16_64 0
		.amdhsa_float_denorm_mode_32 3
		.amdhsa_float_denorm_mode_16_64 3
		.amdhsa_dx10_clamp 1
		.amdhsa_ieee_mode 1
		.amdhsa_fp16_overflow 0
		.amdhsa_tg_split 0
		.amdhsa_exception_fp_ieee_invalid_op 0
		.amdhsa_exception_fp_denorm_src 0
		.amdhsa_exception_fp_ieee_div_zero 0
		.amdhsa_exception_fp_ieee_overflow 0
		.amdhsa_exception_fp_ieee_underflow 0
		.amdhsa_exception_fp_ieee_inexact 0
		.amdhsa_exception_int_div_zero 0
	.end_amdhsa_kernel
	.section	.text._ZN12_GLOBAL__N_127rocblas_gemm_batched_kernelIDF16_Li16ELi16ELi32ELi32ELi8ELi32ELi8ELi8ELi32ELc78ELc67EKPKDF16_S3_KPDF16_EEvlllT_PT11_llS8_llS6_PT12_llPT13_lli,"axG",@progbits,_ZN12_GLOBAL__N_127rocblas_gemm_batched_kernelIDF16_Li16ELi16ELi32ELi32ELi8ELi32ELi8ELi8ELi32ELc78ELc67EKPKDF16_S3_KPDF16_EEvlllT_PT11_llS8_llS6_PT12_llPT13_lli,comdat
.Lfunc_end163:
	.size	_ZN12_GLOBAL__N_127rocblas_gemm_batched_kernelIDF16_Li16ELi16ELi32ELi32ELi8ELi32ELi8ELi8ELi32ELc78ELc67EKPKDF16_S3_KPDF16_EEvlllT_PT11_llS8_llS6_PT12_llPT13_lli, .Lfunc_end163-_ZN12_GLOBAL__N_127rocblas_gemm_batched_kernelIDF16_Li16ELi16ELi32ELi32ELi8ELi32ELi8ELi8ELi32ELc78ELc67EKPKDF16_S3_KPDF16_EEvlllT_PT11_llS8_llS6_PT12_llPT13_lli
                                        ; -- End function
	.set _ZN12_GLOBAL__N_127rocblas_gemm_batched_kernelIDF16_Li16ELi16ELi32ELi32ELi8ELi32ELi8ELi8ELi32ELc78ELc67EKPKDF16_S3_KPDF16_EEvlllT_PT11_llS8_llS6_PT12_llPT13_lli.num_vgpr, 40
	.set _ZN12_GLOBAL__N_127rocblas_gemm_batched_kernelIDF16_Li16ELi16ELi32ELi32ELi8ELi32ELi8ELi8ELi32ELc78ELc67EKPKDF16_S3_KPDF16_EEvlllT_PT11_llS8_llS6_PT12_llPT13_lli.num_agpr, 0
	.set _ZN12_GLOBAL__N_127rocblas_gemm_batched_kernelIDF16_Li16ELi16ELi32ELi32ELi8ELi32ELi8ELi8ELi32ELc78ELc67EKPKDF16_S3_KPDF16_EEvlllT_PT11_llS8_llS6_PT12_llPT13_lli.numbered_sgpr, 36
	.set _ZN12_GLOBAL__N_127rocblas_gemm_batched_kernelIDF16_Li16ELi16ELi32ELi32ELi8ELi32ELi8ELi8ELi32ELc78ELc67EKPKDF16_S3_KPDF16_EEvlllT_PT11_llS8_llS6_PT12_llPT13_lli.num_named_barrier, 0
	.set _ZN12_GLOBAL__N_127rocblas_gemm_batched_kernelIDF16_Li16ELi16ELi32ELi32ELi8ELi32ELi8ELi8ELi32ELc78ELc67EKPKDF16_S3_KPDF16_EEvlllT_PT11_llS8_llS6_PT12_llPT13_lli.private_seg_size, 0
	.set _ZN12_GLOBAL__N_127rocblas_gemm_batched_kernelIDF16_Li16ELi16ELi32ELi32ELi8ELi32ELi8ELi8ELi32ELc78ELc67EKPKDF16_S3_KPDF16_EEvlllT_PT11_llS8_llS6_PT12_llPT13_lli.uses_vcc, 1
	.set _ZN12_GLOBAL__N_127rocblas_gemm_batched_kernelIDF16_Li16ELi16ELi32ELi32ELi8ELi32ELi8ELi8ELi32ELc78ELc67EKPKDF16_S3_KPDF16_EEvlllT_PT11_llS8_llS6_PT12_llPT13_lli.uses_flat_scratch, 0
	.set _ZN12_GLOBAL__N_127rocblas_gemm_batched_kernelIDF16_Li16ELi16ELi32ELi32ELi8ELi32ELi8ELi8ELi32ELc78ELc67EKPKDF16_S3_KPDF16_EEvlllT_PT11_llS8_llS6_PT12_llPT13_lli.has_dyn_sized_stack, 0
	.set _ZN12_GLOBAL__N_127rocblas_gemm_batched_kernelIDF16_Li16ELi16ELi32ELi32ELi8ELi32ELi8ELi8ELi32ELc78ELc67EKPKDF16_S3_KPDF16_EEvlllT_PT11_llS8_llS6_PT12_llPT13_lli.has_recursion, 0
	.set _ZN12_GLOBAL__N_127rocblas_gemm_batched_kernelIDF16_Li16ELi16ELi32ELi32ELi8ELi32ELi8ELi8ELi32ELc78ELc67EKPKDF16_S3_KPDF16_EEvlllT_PT11_llS8_llS6_PT12_llPT13_lli.has_indirect_call, 0
	.section	.AMDGPU.csdata,"",@progbits
; Kernel info:
; codeLenInByte = 1344
; TotalNumSgprs: 42
; NumVgprs: 40
; NumAgprs: 0
; TotalNumVgprs: 40
; ScratchSize: 0
; MemoryBound: 0
; FloatMode: 240
; IeeeMode: 1
; LDSByteSize: 1024 bytes/workgroup (compile time only)
; SGPRBlocks: 5
; VGPRBlocks: 4
; NumSGPRsForWavesPerEU: 42
; NumVGPRsForWavesPerEU: 40
; AccumOffset: 40
; Occupancy: 8
; WaveLimiterHint : 1
; COMPUTE_PGM_RSRC2:SCRATCH_EN: 0
; COMPUTE_PGM_RSRC2:USER_SGPR: 2
; COMPUTE_PGM_RSRC2:TRAP_HANDLER: 0
; COMPUTE_PGM_RSRC2:TGID_X_EN: 1
; COMPUTE_PGM_RSRC2:TGID_Y_EN: 1
; COMPUTE_PGM_RSRC2:TGID_Z_EN: 1
; COMPUTE_PGM_RSRC2:TIDIG_COMP_CNT: 1
; COMPUTE_PGM_RSRC3_GFX90A:ACCUM_OFFSET: 9
; COMPUTE_PGM_RSRC3_GFX90A:TG_SPLIT: 0
	.section	.text._ZN12_GLOBAL__N_127rocblas_gemm_batched_kernelIDF16_Li16ELi16ELi32ELi32ELi8ELi32ELi8ELi8ELi32ELc84ELc67EKPKDF16_S3_KPDF16_EEvlllT_PT11_llS8_llS6_PT12_llPT13_lli,"axG",@progbits,_ZN12_GLOBAL__N_127rocblas_gemm_batched_kernelIDF16_Li16ELi16ELi32ELi32ELi8ELi32ELi8ELi8ELi32ELc84ELc67EKPKDF16_S3_KPDF16_EEvlllT_PT11_llS8_llS6_PT12_llPT13_lli,comdat
	.globl	_ZN12_GLOBAL__N_127rocblas_gemm_batched_kernelIDF16_Li16ELi16ELi32ELi32ELi8ELi32ELi8ELi8ELi32ELc84ELc67EKPKDF16_S3_KPDF16_EEvlllT_PT11_llS8_llS6_PT12_llPT13_lli ; -- Begin function _ZN12_GLOBAL__N_127rocblas_gemm_batched_kernelIDF16_Li16ELi16ELi32ELi32ELi8ELi32ELi8ELi8ELi32ELc84ELc67EKPKDF16_S3_KPDF16_EEvlllT_PT11_llS8_llS6_PT12_llPT13_lli
	.p2align	8
	.type	_ZN12_GLOBAL__N_127rocblas_gemm_batched_kernelIDF16_Li16ELi16ELi32ELi32ELi8ELi32ELi8ELi8ELi32ELc84ELc67EKPKDF16_S3_KPDF16_EEvlllT_PT11_llS8_llS6_PT12_llPT13_lli,@function
_ZN12_GLOBAL__N_127rocblas_gemm_batched_kernelIDF16_Li16ELi16ELi32ELi32ELi8ELi32ELi8ELi8ELi32ELc84ELc67EKPKDF16_S3_KPDF16_EEvlllT_PT11_llS8_llS6_PT12_llPT13_lli: ; @_ZN12_GLOBAL__N_127rocblas_gemm_batched_kernelIDF16_Li16ELi16ELi32ELi32ELi8ELi32ELi8ELi8ELi32ELc84ELc67EKPKDF16_S3_KPDF16_EEvlllT_PT11_llS8_llS6_PT12_llPT13_lli
; %bb.0:
	s_load_dwordx2 s[30:31], s[0:1], 0x10
	s_load_dwordx4 s[24:27], s[0:1], 0x78
	s_load_dwordx8 s[8:15], s[0:1], 0x58
	s_mov_b32 s5, 0
	s_lshl_b64 s[34:35], s[4:5], 3
	s_mov_b32 s6, s3
	v_mov_b32_e32 v3, 0
	s_waitcnt lgkmcnt(0)
	s_add_u32 s4, s8, s34
	s_addc_u32 s5, s9, s35
	s_load_dwordx2 s[8:9], s[4:5], 0x0
	s_add_u32 s4, s14, s34
	s_addc_u32 s5, s15, s35
	s_load_dwordx2 s[14:15], s[4:5], 0x0
	s_ashr_i32 s3, s2, 31
	s_ashr_i32 s7, s6, 31
	v_cmp_lt_i64_e64 s[4:5], s[30:31], 1
	v_bfe_u32 v2, v0, 10, 10
	v_and_b32_e32 v0, 0x3ff, v0
	v_mov_b32_e32 v1, v3
	s_lshl_b64 s[2:3], s[2:3], 5
	s_lshl_b64 s[28:29], s[6:7], 5
	s_and_b64 vcc, exec, s[4:5]
	s_cbranch_vccnz .LBB164_3
; %bb.1:
	s_load_dwordx8 s[16:23], s[0:1], 0x20
	s_load_dwordx4 s[4:7], s[0:1], 0x40
	v_lshlrev_b32_e32 v8, 4, v2
	v_add_u32_e32 v9, v8, v0
	v_and_b32_e32 v6, 31, v9
	s_waitcnt lgkmcnt(0)
	s_add_u32 s16, s16, s34
	s_addc_u32 s17, s17, s35
	s_add_u32 s22, s22, s34
	s_addc_u32 s23, s23, s35
	s_load_dwordx2 s[22:23], s[22:23], 0x0
	v_lshrrev_b32_e32 v4, 3, v9
	v_and_b32_e32 v10, 7, v0
	v_lshrrev_b32_e32 v11, 5, v9
	v_lshlrev_b32_e32 v9, 1, v6
	v_mov_b32_e32 v5, v3
	v_lshl_or_b32 v12, v11, 6, v9
	v_lshlrev_b32_e32 v9, 1, v10
	v_lshl_or_b32 v9, v4, 4, v9
	v_mad_u64_u32 v[4:5], s[34:35], s4, v10, v[4:5]
	v_add_u32_e32 v15, 0x200, v8
	v_mov_b32_e32 v8, v5
	v_add_u32_e32 v13, 0x200, v9
	s_lshl_b64 s[6:7], s[6:7], 1
	v_mad_u64_u32 v[8:9], s[34:35], s5, v10, v[8:9]
	v_mov_b32_e32 v7, v3
	v_mov_b32_e32 v5, v8
	s_waitcnt lgkmcnt(0)
	s_add_u32 s6, s22, s6
	s_load_dwordx2 s[16:17], s[16:17], 0x0
	v_lshl_add_u64 v[4:5], v[4:5], 0, s[28:29]
	s_addc_u32 s7, s23, s7
	v_lshl_add_u64 v[6:7], s[2:3], 0, v[6:7]
	v_lshl_add_u64 v[4:5], v[4:5], 1, s[6:7]
	v_mul_lo_u32 v8, s19, v6
	v_mul_lo_u32 v9, s18, v7
	v_mad_u64_u32 v[6:7], s[6:7], s18, v6, 0
	v_add3_u32 v7, v7, v9, v8
	s_lshl_b64 s[6:7], s[20:21], 1
	v_lshl_add_u64 v[6:7], v[6:7], 1, s[6:7]
	v_lshlrev_b32_e32 v8, 1, v11
	v_mov_b32_e32 v9, v3
	v_lshl_add_u64 v[6:7], v[6:7], 0, v[8:9]
	v_lshlrev_b32_e32 v14, 1, v0
	s_lshl_b64 s[4:5], s[4:5], 4
	s_waitcnt lgkmcnt(0)
	v_lshl_add_u64 v[6:7], s[16:17], 0, v[6:7]
	s_mov_b64 s[6:7], 0
	s_mov_b32 s16, 0x5040100
	v_mov_b64_e32 v[8:9], s[30:31]
	v_mov_b32_e32 v10, v3
	v_mov_b32_e32 v11, v3
.LBB164_2:                              ; =>This Inner Loop Header: Depth=1
	flat_load_ushort v16, v[6:7]
	s_add_u32 s6, s6, 8
	s_addc_u32 s7, s7, 0
	v_cmp_lt_i64_e32 vcc, s[6:7], v[8:9]
	v_lshl_add_u64 v[6:7], v[6:7], 0, 16
	s_and_b64 vcc, exec, vcc
	s_waitcnt vmcnt(0) lgkmcnt(0)
	ds_write_b16 v12, v16
	flat_load_ushort v16, v[4:5]
	v_lshl_add_u64 v[4:5], v[4:5], 0, s[4:5]
	s_waitcnt vmcnt(0) lgkmcnt(0)
	ds_write_b16 v13, v16
	s_waitcnt lgkmcnt(0)
	s_barrier
	ds_read_b128 v[16:19], v15
	ds_read_b128 v[20:23], v15 offset:256
	ds_read_u16 v24, v14
	ds_read_u16 v25, v14 offset:32
	ds_read_u16 v26, v14 offset:64
	;; [unrolled: 1-line block ×15, first 2 shown]
	s_waitcnt lgkmcnt(14)
	v_perm_b32 v24, v24, v25, s16
	s_waitcnt lgkmcnt(12)
	v_perm_b32 v25, v26, v27, s16
	v_pk_fma_f16 v11, v24, v16, v11 op_sel_hi:[1,0,1]
	v_pk_fma_f16 v10, v24, v20, v10 op_sel_hi:[1,0,1]
	s_waitcnt lgkmcnt(10)
	v_perm_b32 v26, v28, v29, s16
	v_pk_fma_f16 v11, v25, v16, v11 op_sel:[0,1,0]
	v_pk_fma_f16 v10, v25, v20, v10 op_sel:[0,1,0]
	s_waitcnt lgkmcnt(8)
	v_perm_b32 v27, v30, v31, s16
	v_pk_fma_f16 v11, v26, v17, v11 op_sel_hi:[1,0,1]
	v_pk_fma_f16 v10, v26, v21, v10 op_sel_hi:[1,0,1]
	s_waitcnt lgkmcnt(6)
	v_perm_b32 v28, v32, v33, s16
	v_pk_fma_f16 v11, v27, v17, v11 op_sel:[0,1,0]
	v_pk_fma_f16 v10, v27, v21, v10 op_sel:[0,1,0]
	;; [unrolled: 8-line block ×3, first 2 shown]
	s_waitcnt lgkmcnt(0)
	v_perm_b32 v31, v38, v39, s16
	v_pk_fma_f16 v11, v30, v19, v11 op_sel_hi:[1,0,1]
	v_pk_fma_f16 v10, v30, v23, v10 op_sel_hi:[1,0,1]
	v_pk_fma_f16 v11, v31, v19, v11 op_sel:[0,1,0]
	v_pk_fma_f16 v10, v31, v23, v10 op_sel:[0,1,0]
	s_barrier
	s_cbranch_vccnz .LBB164_2
	s_branch .LBB164_4
.LBB164_3:
	v_mov_b32_e32 v11, v3
	v_mov_b32_e32 v10, v3
.LBB164_4:
	s_load_dword s4, s[0:1], 0x18
	s_load_dword s5, s[0:1], 0x50
	s_lshl_b64 s[0:1], s[26:27], 1
	s_waitcnt lgkmcnt(0)
	s_add_u32 s0, s14, s0
	v_lshl_add_u64 v[2:3], s[28:29], 0, v[2:3]
	v_lshl_add_u64 v[0:1], s[2:3], 0, v[0:1]
	v_cmp_neq_f16_e64 s[6:7], s5, 0
	s_addc_u32 s1, s15, s1
	s_and_b64 vcc, exec, s[6:7]
	v_mul_lo_u32 v6, v3, s24
	v_mul_lo_u32 v7, v2, s25
	v_lshrrev_b32_e32 v5, 16, v11
	v_lshlrev_b64 v[0:1], 1, v[0:1]
	v_lshrrev_b32_e32 v4, 16, v10
	s_cbranch_vccnz .LBB164_8
; %bb.5:
	v_mad_u64_u32 v[8:9], s[2:3], v2, s24, 0
	v_add3_u32 v9, v9, v7, v6
	v_lshl_add_u64 v[8:9], v[8:9], 1, s[0:1]
	v_mul_f16_sdwa v14, s4, v11 dst_sel:DWORD dst_unused:UNUSED_PAD src0_sel:DWORD src1_sel:WORD_1
	v_lshl_add_u64 v[12:13], v[8:9], 0, v[0:1]
	s_lshl_b64 s[2:3], s[24:25], 5
	flat_store_short v[12:13], v14
	v_mul_f16_e32 v14, s4, v11
	v_lshl_add_u64 v[8:9], v[8:9], 0, s[2:3]
	flat_store_short v[12:13], v14 offset:32
	v_mul_f16_sdwa v12, s4, v10 dst_sel:DWORD dst_unused:UNUSED_PAD src0_sel:DWORD src1_sel:WORD_1
	v_lshl_add_u64 v[8:9], v[8:9], 0, v[0:1]
	flat_store_short v[8:9], v12
	v_mul_f16_e32 v12, s4, v10
	flat_store_short v[8:9], v12 offset:32
	s_cbranch_execnz .LBB164_7
.LBB164_6:
	s_lshl_b64 s[2:3], s[12:13], 1
	s_add_u32 s2, s8, s2
	v_mul_lo_u32 v3, v3, s10
	v_mul_lo_u32 v12, v2, s11
	v_mad_u64_u32 v[8:9], s[6:7], v2, s10, 0
	s_addc_u32 s3, s9, s3
	v_add3_u32 v9, v9, v12, v3
	v_lshl_add_u64 v[8:9], v[8:9], 1, s[2:3]
	v_lshl_add_u64 v[12:13], v[8:9], 0, v[0:1]
	flat_load_ushort v14, v[12:13]
	v_mad_u64_u32 v[2:3], s[2:3], v2, s24, 0
	v_add3_u32 v3, v3, v7, v6
	v_lshl_add_u64 v[2:3], v[2:3], 1, s[0:1]
	v_lshl_add_u64 v[6:7], v[2:3], 0, v[0:1]
	s_lshl_b64 s[0:1], s[10:11], 5
	v_lshl_add_u64 v[8:9], v[8:9], 0, s[0:1]
	v_lshl_add_u64 v[8:9], v[8:9], 0, v[0:1]
	s_lshl_b64 s[0:1], s[24:25], 5
	v_lshl_add_u64 v[2:3], v[2:3], 0, s[0:1]
	v_lshl_add_u64 v[0:1], v[2:3], 0, v[0:1]
	s_waitcnt vmcnt(0) lgkmcnt(0)
	v_mul_f16_e32 v14, s5, v14
	v_fma_f16 v5, s4, v5, v14
	flat_store_short v[6:7], v5
	flat_load_ushort v5, v[12:13] offset:32
	s_waitcnt vmcnt(0) lgkmcnt(0)
	v_mul_f16_e32 v5, s5, v5
	v_fma_f16 v5, s4, v11, v5
	flat_store_short v[6:7], v5 offset:32
	flat_load_ushort v5, v[8:9]
	s_waitcnt vmcnt(0) lgkmcnt(0)
	v_mul_f16_e32 v5, s5, v5
	v_fma_f16 v4, s4, v4, v5
	flat_store_short v[0:1], v4
	flat_load_ushort v2, v[8:9] offset:32
	s_waitcnt vmcnt(0) lgkmcnt(0)
	v_mul_f16_e32 v2, s5, v2
	v_fma_f16 v2, s4, v10, v2
	flat_store_short v[0:1], v2 offset:32
.LBB164_7:
	s_endpgm
.LBB164_8:
	s_branch .LBB164_6
	.section	.rodata,"a",@progbits
	.p2align	6, 0x0
	.amdhsa_kernel _ZN12_GLOBAL__N_127rocblas_gemm_batched_kernelIDF16_Li16ELi16ELi32ELi32ELi8ELi32ELi8ELi8ELi32ELc84ELc67EKPKDF16_S3_KPDF16_EEvlllT_PT11_llS8_llS6_PT12_llPT13_lli
		.amdhsa_group_segment_fixed_size 1024
		.amdhsa_private_segment_fixed_size 0
		.amdhsa_kernarg_size 140
		.amdhsa_user_sgpr_count 2
		.amdhsa_user_sgpr_dispatch_ptr 0
		.amdhsa_user_sgpr_queue_ptr 0
		.amdhsa_user_sgpr_kernarg_segment_ptr 1
		.amdhsa_user_sgpr_dispatch_id 0
		.amdhsa_user_sgpr_kernarg_preload_length 0
		.amdhsa_user_sgpr_kernarg_preload_offset 0
		.amdhsa_user_sgpr_private_segment_size 0
		.amdhsa_uses_dynamic_stack 0
		.amdhsa_enable_private_segment 0
		.amdhsa_system_sgpr_workgroup_id_x 1
		.amdhsa_system_sgpr_workgroup_id_y 1
		.amdhsa_system_sgpr_workgroup_id_z 1
		.amdhsa_system_sgpr_workgroup_info 0
		.amdhsa_system_vgpr_workitem_id 1
		.amdhsa_next_free_vgpr 40
		.amdhsa_next_free_sgpr 36
		.amdhsa_accum_offset 40
		.amdhsa_reserve_vcc 1
		.amdhsa_float_round_mode_32 0
		.amdhsa_float_round_mode_16_64 0
		.amdhsa_float_denorm_mode_32 3
		.amdhsa_float_denorm_mode_16_64 3
		.amdhsa_dx10_clamp 1
		.amdhsa_ieee_mode 1
		.amdhsa_fp16_overflow 0
		.amdhsa_tg_split 0
		.amdhsa_exception_fp_ieee_invalid_op 0
		.amdhsa_exception_fp_denorm_src 0
		.amdhsa_exception_fp_ieee_div_zero 0
		.amdhsa_exception_fp_ieee_overflow 0
		.amdhsa_exception_fp_ieee_underflow 0
		.amdhsa_exception_fp_ieee_inexact 0
		.amdhsa_exception_int_div_zero 0
	.end_amdhsa_kernel
	.section	.text._ZN12_GLOBAL__N_127rocblas_gemm_batched_kernelIDF16_Li16ELi16ELi32ELi32ELi8ELi32ELi8ELi8ELi32ELc84ELc67EKPKDF16_S3_KPDF16_EEvlllT_PT11_llS8_llS6_PT12_llPT13_lli,"axG",@progbits,_ZN12_GLOBAL__N_127rocblas_gemm_batched_kernelIDF16_Li16ELi16ELi32ELi32ELi8ELi32ELi8ELi8ELi32ELc84ELc67EKPKDF16_S3_KPDF16_EEvlllT_PT11_llS8_llS6_PT12_llPT13_lli,comdat
.Lfunc_end164:
	.size	_ZN12_GLOBAL__N_127rocblas_gemm_batched_kernelIDF16_Li16ELi16ELi32ELi32ELi8ELi32ELi8ELi8ELi32ELc84ELc67EKPKDF16_S3_KPDF16_EEvlllT_PT11_llS8_llS6_PT12_llPT13_lli, .Lfunc_end164-_ZN12_GLOBAL__N_127rocblas_gemm_batched_kernelIDF16_Li16ELi16ELi32ELi32ELi8ELi32ELi8ELi8ELi32ELc84ELc67EKPKDF16_S3_KPDF16_EEvlllT_PT11_llS8_llS6_PT12_llPT13_lli
                                        ; -- End function
	.set _ZN12_GLOBAL__N_127rocblas_gemm_batched_kernelIDF16_Li16ELi16ELi32ELi32ELi8ELi32ELi8ELi8ELi32ELc84ELc67EKPKDF16_S3_KPDF16_EEvlllT_PT11_llS8_llS6_PT12_llPT13_lli.num_vgpr, 40
	.set _ZN12_GLOBAL__N_127rocblas_gemm_batched_kernelIDF16_Li16ELi16ELi32ELi32ELi8ELi32ELi8ELi8ELi32ELc84ELc67EKPKDF16_S3_KPDF16_EEvlllT_PT11_llS8_llS6_PT12_llPT13_lli.num_agpr, 0
	.set _ZN12_GLOBAL__N_127rocblas_gemm_batched_kernelIDF16_Li16ELi16ELi32ELi32ELi8ELi32ELi8ELi8ELi32ELc84ELc67EKPKDF16_S3_KPDF16_EEvlllT_PT11_llS8_llS6_PT12_llPT13_lli.numbered_sgpr, 36
	.set _ZN12_GLOBAL__N_127rocblas_gemm_batched_kernelIDF16_Li16ELi16ELi32ELi32ELi8ELi32ELi8ELi8ELi32ELc84ELc67EKPKDF16_S3_KPDF16_EEvlllT_PT11_llS8_llS6_PT12_llPT13_lli.num_named_barrier, 0
	.set _ZN12_GLOBAL__N_127rocblas_gemm_batched_kernelIDF16_Li16ELi16ELi32ELi32ELi8ELi32ELi8ELi8ELi32ELc84ELc67EKPKDF16_S3_KPDF16_EEvlllT_PT11_llS8_llS6_PT12_llPT13_lli.private_seg_size, 0
	.set _ZN12_GLOBAL__N_127rocblas_gemm_batched_kernelIDF16_Li16ELi16ELi32ELi32ELi8ELi32ELi8ELi8ELi32ELc84ELc67EKPKDF16_S3_KPDF16_EEvlllT_PT11_llS8_llS6_PT12_llPT13_lli.uses_vcc, 1
	.set _ZN12_GLOBAL__N_127rocblas_gemm_batched_kernelIDF16_Li16ELi16ELi32ELi32ELi8ELi32ELi8ELi8ELi32ELc84ELc67EKPKDF16_S3_KPDF16_EEvlllT_PT11_llS8_llS6_PT12_llPT13_lli.uses_flat_scratch, 0
	.set _ZN12_GLOBAL__N_127rocblas_gemm_batched_kernelIDF16_Li16ELi16ELi32ELi32ELi8ELi32ELi8ELi8ELi32ELc84ELc67EKPKDF16_S3_KPDF16_EEvlllT_PT11_llS8_llS6_PT12_llPT13_lli.has_dyn_sized_stack, 0
	.set _ZN12_GLOBAL__N_127rocblas_gemm_batched_kernelIDF16_Li16ELi16ELi32ELi32ELi8ELi32ELi8ELi8ELi32ELc84ELc67EKPKDF16_S3_KPDF16_EEvlllT_PT11_llS8_llS6_PT12_llPT13_lli.has_recursion, 0
	.set _ZN12_GLOBAL__N_127rocblas_gemm_batched_kernelIDF16_Li16ELi16ELi32ELi32ELi8ELi32ELi8ELi8ELi32ELc84ELc67EKPKDF16_S3_KPDF16_EEvlllT_PT11_llS8_llS6_PT12_llPT13_lli.has_indirect_call, 0
	.section	.AMDGPU.csdata,"",@progbits
; Kernel info:
; codeLenInByte = 1364
; TotalNumSgprs: 42
; NumVgprs: 40
; NumAgprs: 0
; TotalNumVgprs: 40
; ScratchSize: 0
; MemoryBound: 0
; FloatMode: 240
; IeeeMode: 1
; LDSByteSize: 1024 bytes/workgroup (compile time only)
; SGPRBlocks: 5
; VGPRBlocks: 4
; NumSGPRsForWavesPerEU: 42
; NumVGPRsForWavesPerEU: 40
; AccumOffset: 40
; Occupancy: 8
; WaveLimiterHint : 1
; COMPUTE_PGM_RSRC2:SCRATCH_EN: 0
; COMPUTE_PGM_RSRC2:USER_SGPR: 2
; COMPUTE_PGM_RSRC2:TRAP_HANDLER: 0
; COMPUTE_PGM_RSRC2:TGID_X_EN: 1
; COMPUTE_PGM_RSRC2:TGID_Y_EN: 1
; COMPUTE_PGM_RSRC2:TGID_Z_EN: 1
; COMPUTE_PGM_RSRC2:TIDIG_COMP_CNT: 1
; COMPUTE_PGM_RSRC3_GFX90A:ACCUM_OFFSET: 9
; COMPUTE_PGM_RSRC3_GFX90A:TG_SPLIT: 0
	.section	.text._ZN12_GLOBAL__N_135rocblas_gemm_batched_general_kernelIDF16_Li16ELi16ELi32ELi32ELi8ELi32ELi8ELi8ELi32ELc78ELc78EKPKDF16_S3_KPDF16_EEvlllT_PT11_llS8_llS6_PT12_llPT13_lli,"axG",@progbits,_ZN12_GLOBAL__N_135rocblas_gemm_batched_general_kernelIDF16_Li16ELi16ELi32ELi32ELi8ELi32ELi8ELi8ELi32ELc78ELc78EKPKDF16_S3_KPDF16_EEvlllT_PT11_llS8_llS6_PT12_llPT13_lli,comdat
	.globl	_ZN12_GLOBAL__N_135rocblas_gemm_batched_general_kernelIDF16_Li16ELi16ELi32ELi32ELi8ELi32ELi8ELi8ELi32ELc78ELc78EKPKDF16_S3_KPDF16_EEvlllT_PT11_llS8_llS6_PT12_llPT13_lli ; -- Begin function _ZN12_GLOBAL__N_135rocblas_gemm_batched_general_kernelIDF16_Li16ELi16ELi32ELi32ELi8ELi32ELi8ELi8ELi32ELc78ELc78EKPKDF16_S3_KPDF16_EEvlllT_PT11_llS8_llS6_PT12_llPT13_lli
	.p2align	8
	.type	_ZN12_GLOBAL__N_135rocblas_gemm_batched_general_kernelIDF16_Li16ELi16ELi32ELi32ELi8ELi32ELi8ELi8ELi32ELc78ELc78EKPKDF16_S3_KPDF16_EEvlllT_PT11_llS8_llS6_PT12_llPT13_lli,@function
_ZN12_GLOBAL__N_135rocblas_gemm_batched_general_kernelIDF16_Li16ELi16ELi32ELi32ELi8ELi32ELi8ELi8ELi32ELc78ELc78EKPKDF16_S3_KPDF16_EEvlllT_PT11_llS8_llS6_PT12_llPT13_lli: ; @_ZN12_GLOBAL__N_135rocblas_gemm_batched_general_kernelIDF16_Li16ELi16ELi32ELi32ELi8ELi32ELi8ELi8ELi32ELc78ELc78EKPKDF16_S3_KPDF16_EEvlllT_PT11_llS8_llS6_PT12_llPT13_lli
; %bb.0:
	s_load_dwordx4 s[28:31], s[0:1], 0x0
	s_load_dwordx2 s[34:35], s[0:1], 0x10
	s_load_dwordx4 s[24:27], s[0:1], 0x78
	s_load_dwordx8 s[8:15], s[0:1], 0x58
	s_mov_b32 s5, 0
	s_lshl_b64 s[4:5], s[4:5], 3
	s_mov_b32 s6, s3
	v_mov_b32_e32 v1, 0
	s_waitcnt lgkmcnt(0)
	s_add_u32 s8, s8, s4
	s_addc_u32 s9, s9, s5
	s_add_u32 s14, s14, s4
	s_addc_u32 s15, s15, s5
	s_load_dwordx2 s[8:9], s[8:9], 0x0
	s_ashr_i32 s7, s6, 31
	s_load_dwordx2 s[40:41], s[14:15], 0x0
	s_ashr_i32 s3, s2, 31
	s_lshl_b64 s[42:43], s[6:7], 5
	v_cmp_lt_i64_e64 s[6:7], s[34:35], 1
	v_and_b32_e32 v2, 0x3ff, v0
	v_bfe_u32 v0, v0, 10, 10
	v_mov_b32_e32 v3, v1
	s_lshl_b64 s[14:15], s[2:3], 5
	s_and_b64 vcc, exec, s[6:7]
	s_cbranch_vccnz .LBB165_7
; %bb.1:
	s_load_dwordx8 s[16:23], s[0:1], 0x20
	s_load_dwordx4 s[36:39], s[0:1], 0x40
	v_lshlrev_b32_e32 v15, 4, v0
	v_add_u32_e32 v12, v15, v2
	v_and_b32_e32 v6, 7, v2
	s_waitcnt lgkmcnt(0)
	s_add_u32 s6, s22, s4
	s_addc_u32 s7, s23, s5
	v_lshrrev_b32_e32 v8, 3, v12
	v_mov_b32_e32 v9, v1
	s_add_u32 s4, s16, s4
	v_lshl_add_u64 v[10:11], v[8:9], 0, s[42:43]
	v_and_b32_e32 v9, 31, v12
	v_lshlrev_b32_e32 v14, 1, v6
	v_lshrrev_b32_e32 v4, 5, v12
	s_load_dwordx2 s[22:23], s[6:7], 0x0
	s_addc_u32 s5, s17, s5
	v_or_b32_e32 v12, s14, v9
	v_mov_b32_e32 v13, s15
	v_lshl_or_b32 v8, v8, 4, v14
	s_load_dwordx2 s[16:17], s[4:5], 0x0
	v_cmp_gt_i64_e64 s[6:7], s[28:29], v[12:13]
	v_lshlrev_b32_e32 v12, 1, v9
	v_cmp_gt_i64_e64 s[4:5], s[30:31], v[10:11]
	v_add_u32_e32 v17, 0x200, v8
	v_mul_lo_u32 v13, s37, v10
	v_mul_lo_u32 v11, s36, v11
	v_mad_u64_u32 v[8:9], s[36:37], s36, v10, 0
	v_add3_u32 v9, v9, v11, v13
	s_lshl_b64 s[36:37], s[38:39], 1
	v_add_u32_e32 v19, 0x200, v15
	v_lshl_add_u64 v[8:9], v[8:9], 1, s[36:37]
	v_mov_b32_e32 v15, v1
	v_lshl_add_u64 v[8:9], v[8:9], 0, v[14:15]
	s_waitcnt lgkmcnt(0)
	v_lshl_add_u64 v[8:9], s[22:23], 0, v[8:9]
	v_mad_u64_u32 v[10:11], s[22:23], s18, v4, 0
	v_mov_b32_e32 v14, v11
	s_lshl_b64 s[2:3], s[2:3], 6
	s_lshl_b64 s[20:21], s[20:21], 1
	v_mad_u64_u32 v[14:15], s[22:23], s19, v4, v[14:15]
	s_add_u32 s2, s20, s2
	v_mov_b32_e32 v11, v14
	s_addc_u32 s3, s21, s3
	v_lshl_add_u64 v[10:11], v[10:11], 1, s[2:3]
	v_mov_b32_e32 v13, v1
	v_lshl_add_u64 v[10:11], v[10:11], 0, v[12:13]
	v_mov_b32_e32 v5, v1
	v_mov_b32_e32 v7, v1
	v_lshl_or_b32 v16, v4, 6, v12
	v_lshlrev_b32_e32 v18, 1, v2
	v_lshl_add_u64 v[10:11], s[16:17], 0, v[10:11]
	s_lshl_b64 s[2:3], s[18:19], 4
	s_mov_b64 s[16:17], 0
	s_mov_b32 s20, 0x5040100
	v_mov_b64_e32 v[12:13], s[34:35]
	v_mov_b32_e32 v15, v1
	v_mov_b32_e32 v14, v1
	s_branch .LBB165_3
.LBB165_2:                              ;   in Loop: Header=BB165_3 Depth=1
	s_or_b64 exec, exec, s[18:19]
	s_waitcnt vmcnt(0) lgkmcnt(0)
	ds_write_b16 v17, v20
	s_waitcnt lgkmcnt(0)
	s_barrier
	ds_read_u16 v28, v18
	ds_read_u16 v29, v18 offset:32
	ds_read_u16 v30, v18 offset:64
	ds_read_u16 v31, v18 offset:96
	ds_read_u16 v32, v18 offset:128
	ds_read_u16 v33, v18 offset:160
	ds_read_u16 v34, v18 offset:192
	ds_read_u16 v35, v18 offset:224
	ds_read_b128 v[20:23], v19
	ds_read_b128 v[24:27], v19 offset:256
	ds_read_u16 v36, v18 offset:256
	ds_read_u16 v37, v18 offset:288
	;; [unrolled: 1-line block ×8, first 2 shown]
	s_waitcnt lgkmcnt(14)
	v_perm_b32 v28, v29, v28, s20
	s_waitcnt lgkmcnt(8)
	v_pk_fma_f16 v14, v28, v24, v14 op_sel_hi:[1,0,1]
	v_pk_fma_f16 v15, v28, v20, v15 op_sel_hi:[1,0,1]
	v_perm_b32 v28, v31, v30, s20
	v_pk_fma_f16 v15, v28, v20, v15 op_sel:[0,1,0]
	v_pk_fma_f16 v14, v28, v24, v14 op_sel:[0,1,0]
	v_perm_b32 v20, v33, v32, s20
	v_pk_fma_f16 v14, v20, v25, v14 op_sel_hi:[1,0,1]
	v_pk_fma_f16 v15, v20, v21, v15 op_sel_hi:[1,0,1]
	v_perm_b32 v20, v35, v34, s20
	v_pk_fma_f16 v15, v20, v21, v15 op_sel:[0,1,0]
	v_pk_fma_f16 v14, v20, v25, v14 op_sel:[0,1,0]
	s_waitcnt lgkmcnt(6)
	v_perm_b32 v20, v37, v36, s20
	v_pk_fma_f16 v14, v20, v26, v14 op_sel_hi:[1,0,1]
	v_pk_fma_f16 v15, v20, v22, v15 op_sel_hi:[1,0,1]
	s_waitcnt lgkmcnt(4)
	v_perm_b32 v20, v39, v38, s20
	s_add_u32 s16, s16, 8
	v_pk_fma_f16 v15, v20, v22, v15 op_sel:[0,1,0]
	v_pk_fma_f16 v14, v20, v26, v14 op_sel:[0,1,0]
	s_waitcnt lgkmcnt(2)
	v_perm_b32 v20, v41, v40, s20
	s_addc_u32 s17, s17, 0
	v_pk_fma_f16 v14, v20, v27, v14 op_sel_hi:[1,0,1]
	v_pk_fma_f16 v15, v20, v23, v15 op_sel_hi:[1,0,1]
	s_waitcnt lgkmcnt(0)
	v_perm_b32 v20, v43, v42, s20
	v_cmp_lt_i64_e32 vcc, s[16:17], v[12:13]
	v_pk_fma_f16 v15, v20, v23, v15 op_sel:[0,1,0]
	v_pk_fma_f16 v14, v20, v27, v14 op_sel:[0,1,0]
	v_lshl_add_u64 v[8:9], v[8:9], 0, 16
	v_lshl_add_u64 v[10:11], v[10:11], 0, s[2:3]
	s_barrier
	s_cbranch_vccz .LBB165_8
.LBB165_3:                              ; =>This Inner Loop Header: Depth=1
	v_lshl_add_u64 v[20:21], v[4:5], 0, s[16:17]
	v_cmp_gt_i64_e32 vcc, s[34:35], v[20:21]
	s_and_b64 s[22:23], s[6:7], vcc
	v_mov_b32_e32 v20, 0
	v_mov_b32_e32 v21, 0
	s_and_saveexec_b64 s[18:19], s[22:23]
	s_cbranch_execz .LBB165_5
; %bb.4:                                ;   in Loop: Header=BB165_3 Depth=1
	flat_load_ushort v21, v[10:11]
.LBB165_5:                              ;   in Loop: Header=BB165_3 Depth=1
	s_or_b64 exec, exec, s[18:19]
	v_lshl_add_u64 v[22:23], v[6:7], 0, s[16:17]
	v_cmp_gt_i64_e32 vcc, s[34:35], v[22:23]
	s_and_b64 s[22:23], vcc, s[4:5]
	s_waitcnt vmcnt(0) lgkmcnt(0)
	ds_write_b16 v16, v21
	s_and_saveexec_b64 s[18:19], s[22:23]
	s_cbranch_execz .LBB165_2
; %bb.6:                                ;   in Loop: Header=BB165_3 Depth=1
	flat_load_ushort v20, v[8:9]
	s_branch .LBB165_2
.LBB165_7:
	v_mov_b32_e32 v14, v1
	v_mov_b32_e32 v15, v1
.LBB165_8:
	s_load_dword s18, s[0:1], 0x18
	s_load_dword s19, s[0:1], 0x50
	s_lshl_b64 s[0:1], s[26:27], 1
	s_waitcnt lgkmcnt(0)
	s_add_u32 s6, s40, s0
	v_lshl_add_u64 v[0:1], s[42:43], 0, v[0:1]
	s_addc_u32 s7, s41, s1
	v_cmp_neq_f16_e64 s[2:3], s19, 0
	v_cmp_gt_i64_e64 s[0:1], s[30:31], v[0:1]
	s_and_b64 vcc, exec, s[2:3]
	s_cbranch_vccnz .LBB165_21
; %bb.9:
	s_and_saveexec_b64 s[16:17], s[0:1]
	s_cbranch_execz .LBB165_19
; %bb.10:
	v_mul_lo_u32 v8, v1, s24
	v_mul_lo_u32 v9, v0, s25
	v_mad_u64_u32 v[6:7], s[2:3], v0, s24, 0
	v_add3_u32 v7, v7, v9, v8
	v_lshl_add_u64 v[4:5], s[14:15], 0, v[2:3]
	v_lshl_add_u64 v[6:7], v[6:7], 1, s[6:7]
	v_cmp_gt_i64_e32 vcc, s[28:29], v[4:5]
	v_lshl_add_u64 v[8:9], v[4:5], 1, v[6:7]
	s_and_saveexec_b64 s[2:3], vcc
	s_cbranch_execz .LBB165_12
; %bb.11:
	v_mul_f16_e32 v10, s18, v15
	flat_store_short v[8:9], v10
.LBB165_12:
	s_or_b64 exec, exec, s[2:3]
	v_lshl_add_u64 v[10:11], v[4:5], 0, 16
	v_cmp_gt_i64_e64 s[2:3], s[28:29], v[10:11]
	s_and_saveexec_b64 s[4:5], s[2:3]
	s_cbranch_execz .LBB165_14
; %bb.13:
	v_mul_f16_sdwa v10, s18, v15 dst_sel:DWORD dst_unused:UNUSED_PAD src0_sel:DWORD src1_sel:WORD_1
	flat_store_short v[8:9], v10 offset:32
.LBB165_14:
	s_or_b64 exec, exec, s[4:5]
	v_lshl_add_u64 v[8:9], v[0:1], 0, 16
	v_cmp_gt_i64_e64 s[4:5], s[30:31], v[8:9]
	s_and_b64 exec, exec, s[4:5]
	s_cbranch_execz .LBB165_19
; %bb.15:
	s_lshl_b64 s[4:5], s[24:25], 5
	v_lshl_add_u64 v[6:7], v[6:7], 0, s[4:5]
	v_lshl_add_u64 v[4:5], v[4:5], 1, v[6:7]
	s_and_saveexec_b64 s[4:5], vcc
	s_cbranch_execz .LBB165_17
; %bb.16:
	v_mul_f16_e32 v6, s18, v14
	flat_store_short v[4:5], v6
.LBB165_17:
	s_or_b64 exec, exec, s[4:5]
	s_and_b64 exec, exec, s[2:3]
	s_cbranch_execz .LBB165_19
; %bb.18:
	v_mul_f16_sdwa v6, s18, v14 dst_sel:DWORD dst_unused:UNUSED_PAD src0_sel:DWORD src1_sel:WORD_1
	flat_store_short v[4:5], v6 offset:32
.LBB165_19:
	s_or_b64 exec, exec, s[16:17]
	s_cbranch_execz .LBB165_22
.LBB165_20:
	s_endpgm
.LBB165_21:
.LBB165_22:
	s_and_saveexec_b64 s[2:3], s[0:1]
	s_cbranch_execz .LBB165_20
; %bb.23:
	s_lshl_b64 s[0:1], s[12:13], 1
	v_lshl_add_u64 v[8:9], s[14:15], 0, v[2:3]
	v_mul_lo_u32 v4, v1, s10
	v_mul_lo_u32 v5, v0, s11
	v_mad_u64_u32 v[2:3], s[2:3], v0, s10, 0
	s_add_u32 s0, s8, s0
	v_add3_u32 v3, v3, v5, v4
	v_mul_lo_u32 v6, v1, s24
	v_mul_lo_u32 v7, v0, s25
	v_mad_u64_u32 v[4:5], s[2:3], v0, s24, 0
	s_addc_u32 s1, s9, s1
	v_add3_u32 v5, v5, v7, v6
	v_cmp_gt_i64_e32 vcc, s[28:29], v[8:9]
	v_lshl_add_u64 v[6:7], v[2:3], 1, s[0:1]
	v_lshl_add_u64 v[4:5], v[4:5], 1, s[6:7]
	v_lshlrev_b64 v[2:3], 1, v[8:9]
	s_and_saveexec_b64 s[0:1], vcc
	s_cbranch_execz .LBB165_25
; %bb.24:
	v_lshl_add_u64 v[10:11], v[6:7], 0, v[2:3]
	flat_load_ushort v10, v[10:11]
	s_waitcnt vmcnt(0) lgkmcnt(0)
	v_mul_f16_e32 v10, s19, v10
	v_fma_f16 v12, s18, v15, v10
	v_lshl_add_u64 v[10:11], v[4:5], 0, v[2:3]
	flat_store_short v[10:11], v12
.LBB165_25:
	s_or_b64 exec, exec, s[0:1]
	v_lshl_add_u64 v[8:9], v[8:9], 0, 16
	v_cmp_gt_i64_e64 s[0:1], s[28:29], v[8:9]
	s_and_saveexec_b64 s[2:3], s[0:1]
	s_cbranch_execz .LBB165_27
; %bb.26:
	v_lshl_add_u64 v[8:9], v[6:7], 0, v[2:3]
	flat_load_ushort v8, v[8:9] offset:32
	v_lshrrev_b32_e32 v9, 16, v15
	s_waitcnt vmcnt(0) lgkmcnt(0)
	v_mul_f16_e32 v8, s19, v8
	v_fma_f16 v10, s18, v9, v8
	v_lshl_add_u64 v[8:9], v[4:5], 0, v[2:3]
	flat_store_short v[8:9], v10 offset:32
.LBB165_27:
	s_or_b64 exec, exec, s[2:3]
	v_lshl_add_u64 v[0:1], v[0:1], 0, 16
	v_cmp_gt_i64_e64 s[2:3], s[30:31], v[0:1]
	s_and_b64 exec, exec, s[2:3]
	s_cbranch_execz .LBB165_20
; %bb.28:
	s_lshl_b64 s[2:3], s[10:11], 5
	v_lshl_add_u64 v[0:1], v[6:7], 0, s[2:3]
	s_lshl_b64 s[2:3], s[24:25], 5
	v_lshl_add_u64 v[6:7], v[4:5], 0, s[2:3]
	v_lshl_add_u64 v[4:5], v[0:1], 0, v[2:3]
	;; [unrolled: 1-line block ×3, first 2 shown]
	s_and_saveexec_b64 s[2:3], vcc
	s_cbranch_execz .LBB165_30
; %bb.29:
	flat_load_ushort v2, v[4:5]
	s_waitcnt vmcnt(0) lgkmcnt(0)
	v_mul_f16_e32 v2, s19, v2
	v_fma_f16 v2, s18, v14, v2
	flat_store_short v[0:1], v2
.LBB165_30:
	s_or_b64 exec, exec, s[2:3]
	s_and_b64 exec, exec, s[0:1]
	s_cbranch_execz .LBB165_20
; %bb.31:
	flat_load_ushort v2, v[4:5] offset:32
	v_lshrrev_b32_e32 v3, 16, v14
	s_waitcnt vmcnt(0) lgkmcnt(0)
	v_mul_f16_e32 v2, s19, v2
	v_fma_f16 v2, s18, v3, v2
	flat_store_short v[0:1], v2 offset:32
	s_endpgm
	.section	.rodata,"a",@progbits
	.p2align	6, 0x0
	.amdhsa_kernel _ZN12_GLOBAL__N_135rocblas_gemm_batched_general_kernelIDF16_Li16ELi16ELi32ELi32ELi8ELi32ELi8ELi8ELi32ELc78ELc78EKPKDF16_S3_KPDF16_EEvlllT_PT11_llS8_llS6_PT12_llPT13_lli
		.amdhsa_group_segment_fixed_size 1024
		.amdhsa_private_segment_fixed_size 0
		.amdhsa_kernarg_size 140
		.amdhsa_user_sgpr_count 2
		.amdhsa_user_sgpr_dispatch_ptr 0
		.amdhsa_user_sgpr_queue_ptr 0
		.amdhsa_user_sgpr_kernarg_segment_ptr 1
		.amdhsa_user_sgpr_dispatch_id 0
		.amdhsa_user_sgpr_kernarg_preload_length 0
		.amdhsa_user_sgpr_kernarg_preload_offset 0
		.amdhsa_user_sgpr_private_segment_size 0
		.amdhsa_uses_dynamic_stack 0
		.amdhsa_enable_private_segment 0
		.amdhsa_system_sgpr_workgroup_id_x 1
		.amdhsa_system_sgpr_workgroup_id_y 1
		.amdhsa_system_sgpr_workgroup_id_z 1
		.amdhsa_system_sgpr_workgroup_info 0
		.amdhsa_system_vgpr_workitem_id 1
		.amdhsa_next_free_vgpr 44
		.amdhsa_next_free_sgpr 44
		.amdhsa_accum_offset 44
		.amdhsa_reserve_vcc 1
		.amdhsa_float_round_mode_32 0
		.amdhsa_float_round_mode_16_64 0
		.amdhsa_float_denorm_mode_32 3
		.amdhsa_float_denorm_mode_16_64 3
		.amdhsa_dx10_clamp 1
		.amdhsa_ieee_mode 1
		.amdhsa_fp16_overflow 0
		.amdhsa_tg_split 0
		.amdhsa_exception_fp_ieee_invalid_op 0
		.amdhsa_exception_fp_denorm_src 0
		.amdhsa_exception_fp_ieee_div_zero 0
		.amdhsa_exception_fp_ieee_overflow 0
		.amdhsa_exception_fp_ieee_underflow 0
		.amdhsa_exception_fp_ieee_inexact 0
		.amdhsa_exception_int_div_zero 0
	.end_amdhsa_kernel
	.section	.text._ZN12_GLOBAL__N_135rocblas_gemm_batched_general_kernelIDF16_Li16ELi16ELi32ELi32ELi8ELi32ELi8ELi8ELi32ELc78ELc78EKPKDF16_S3_KPDF16_EEvlllT_PT11_llS8_llS6_PT12_llPT13_lli,"axG",@progbits,_ZN12_GLOBAL__N_135rocblas_gemm_batched_general_kernelIDF16_Li16ELi16ELi32ELi32ELi8ELi32ELi8ELi8ELi32ELc78ELc78EKPKDF16_S3_KPDF16_EEvlllT_PT11_llS8_llS6_PT12_llPT13_lli,comdat
.Lfunc_end165:
	.size	_ZN12_GLOBAL__N_135rocblas_gemm_batched_general_kernelIDF16_Li16ELi16ELi32ELi32ELi8ELi32ELi8ELi8ELi32ELc78ELc78EKPKDF16_S3_KPDF16_EEvlllT_PT11_llS8_llS6_PT12_llPT13_lli, .Lfunc_end165-_ZN12_GLOBAL__N_135rocblas_gemm_batched_general_kernelIDF16_Li16ELi16ELi32ELi32ELi8ELi32ELi8ELi8ELi32ELc78ELc78EKPKDF16_S3_KPDF16_EEvlllT_PT11_llS8_llS6_PT12_llPT13_lli
                                        ; -- End function
	.set _ZN12_GLOBAL__N_135rocblas_gemm_batched_general_kernelIDF16_Li16ELi16ELi32ELi32ELi8ELi32ELi8ELi8ELi32ELc78ELc78EKPKDF16_S3_KPDF16_EEvlllT_PT11_llS8_llS6_PT12_llPT13_lli.num_vgpr, 44
	.set _ZN12_GLOBAL__N_135rocblas_gemm_batched_general_kernelIDF16_Li16ELi16ELi32ELi32ELi8ELi32ELi8ELi8ELi32ELc78ELc78EKPKDF16_S3_KPDF16_EEvlllT_PT11_llS8_llS6_PT12_llPT13_lli.num_agpr, 0
	.set _ZN12_GLOBAL__N_135rocblas_gemm_batched_general_kernelIDF16_Li16ELi16ELi32ELi32ELi8ELi32ELi8ELi8ELi32ELc78ELc78EKPKDF16_S3_KPDF16_EEvlllT_PT11_llS8_llS6_PT12_llPT13_lli.numbered_sgpr, 44
	.set _ZN12_GLOBAL__N_135rocblas_gemm_batched_general_kernelIDF16_Li16ELi16ELi32ELi32ELi8ELi32ELi8ELi8ELi32ELc78ELc78EKPKDF16_S3_KPDF16_EEvlllT_PT11_llS8_llS6_PT12_llPT13_lli.num_named_barrier, 0
	.set _ZN12_GLOBAL__N_135rocblas_gemm_batched_general_kernelIDF16_Li16ELi16ELi32ELi32ELi8ELi32ELi8ELi8ELi32ELc78ELc78EKPKDF16_S3_KPDF16_EEvlllT_PT11_llS8_llS6_PT12_llPT13_lli.private_seg_size, 0
	.set _ZN12_GLOBAL__N_135rocblas_gemm_batched_general_kernelIDF16_Li16ELi16ELi32ELi32ELi8ELi32ELi8ELi8ELi32ELc78ELc78EKPKDF16_S3_KPDF16_EEvlllT_PT11_llS8_llS6_PT12_llPT13_lli.uses_vcc, 1
	.set _ZN12_GLOBAL__N_135rocblas_gemm_batched_general_kernelIDF16_Li16ELi16ELi32ELi32ELi8ELi32ELi8ELi8ELi32ELc78ELc78EKPKDF16_S3_KPDF16_EEvlllT_PT11_llS8_llS6_PT12_llPT13_lli.uses_flat_scratch, 0
	.set _ZN12_GLOBAL__N_135rocblas_gemm_batched_general_kernelIDF16_Li16ELi16ELi32ELi32ELi8ELi32ELi8ELi8ELi32ELc78ELc78EKPKDF16_S3_KPDF16_EEvlllT_PT11_llS8_llS6_PT12_llPT13_lli.has_dyn_sized_stack, 0
	.set _ZN12_GLOBAL__N_135rocblas_gemm_batched_general_kernelIDF16_Li16ELi16ELi32ELi32ELi8ELi32ELi8ELi8ELi32ELc78ELc78EKPKDF16_S3_KPDF16_EEvlllT_PT11_llS8_llS6_PT12_llPT13_lli.has_recursion, 0
	.set _ZN12_GLOBAL__N_135rocblas_gemm_batched_general_kernelIDF16_Li16ELi16ELi32ELi32ELi8ELi32ELi8ELi8ELi32ELc78ELc78EKPKDF16_S3_KPDF16_EEvlllT_PT11_llS8_llS6_PT12_llPT13_lli.has_indirect_call, 0
	.section	.AMDGPU.csdata,"",@progbits
; Kernel info:
; codeLenInByte = 1708
; TotalNumSgprs: 50
; NumVgprs: 44
; NumAgprs: 0
; TotalNumVgprs: 44
; ScratchSize: 0
; MemoryBound: 0
; FloatMode: 240
; IeeeMode: 1
; LDSByteSize: 1024 bytes/workgroup (compile time only)
; SGPRBlocks: 6
; VGPRBlocks: 5
; NumSGPRsForWavesPerEU: 50
; NumVGPRsForWavesPerEU: 44
; AccumOffset: 44
; Occupancy: 8
; WaveLimiterHint : 1
; COMPUTE_PGM_RSRC2:SCRATCH_EN: 0
; COMPUTE_PGM_RSRC2:USER_SGPR: 2
; COMPUTE_PGM_RSRC2:TRAP_HANDLER: 0
; COMPUTE_PGM_RSRC2:TGID_X_EN: 1
; COMPUTE_PGM_RSRC2:TGID_Y_EN: 1
; COMPUTE_PGM_RSRC2:TGID_Z_EN: 1
; COMPUTE_PGM_RSRC2:TIDIG_COMP_CNT: 1
; COMPUTE_PGM_RSRC3_GFX90A:ACCUM_OFFSET: 10
; COMPUTE_PGM_RSRC3_GFX90A:TG_SPLIT: 0
	.section	.text._ZN12_GLOBAL__N_135rocblas_gemm_batched_general_kernelIDF16_Li16ELi16ELi32ELi32ELi8ELi32ELi8ELi8ELi32ELc84ELc78EKPKDF16_S3_KPDF16_EEvlllT_PT11_llS8_llS6_PT12_llPT13_lli,"axG",@progbits,_ZN12_GLOBAL__N_135rocblas_gemm_batched_general_kernelIDF16_Li16ELi16ELi32ELi32ELi8ELi32ELi8ELi8ELi32ELc84ELc78EKPKDF16_S3_KPDF16_EEvlllT_PT11_llS8_llS6_PT12_llPT13_lli,comdat
	.globl	_ZN12_GLOBAL__N_135rocblas_gemm_batched_general_kernelIDF16_Li16ELi16ELi32ELi32ELi8ELi32ELi8ELi8ELi32ELc84ELc78EKPKDF16_S3_KPDF16_EEvlllT_PT11_llS8_llS6_PT12_llPT13_lli ; -- Begin function _ZN12_GLOBAL__N_135rocblas_gemm_batched_general_kernelIDF16_Li16ELi16ELi32ELi32ELi8ELi32ELi8ELi8ELi32ELc84ELc78EKPKDF16_S3_KPDF16_EEvlllT_PT11_llS8_llS6_PT12_llPT13_lli
	.p2align	8
	.type	_ZN12_GLOBAL__N_135rocblas_gemm_batched_general_kernelIDF16_Li16ELi16ELi32ELi32ELi8ELi32ELi8ELi8ELi32ELc84ELc78EKPKDF16_S3_KPDF16_EEvlllT_PT11_llS8_llS6_PT12_llPT13_lli,@function
_ZN12_GLOBAL__N_135rocblas_gemm_batched_general_kernelIDF16_Li16ELi16ELi32ELi32ELi8ELi32ELi8ELi8ELi32ELc84ELc78EKPKDF16_S3_KPDF16_EEvlllT_PT11_llS8_llS6_PT12_llPT13_lli: ; @_ZN12_GLOBAL__N_135rocblas_gemm_batched_general_kernelIDF16_Li16ELi16ELi32ELi32ELi8ELi32ELi8ELi8ELi32ELc84ELc78EKPKDF16_S3_KPDF16_EEvlllT_PT11_llS8_llS6_PT12_llPT13_lli
; %bb.0:
	s_load_dwordx4 s[28:31], s[0:1], 0x0
	s_load_dwordx2 s[34:35], s[0:1], 0x10
	s_load_dwordx4 s[24:27], s[0:1], 0x78
	s_load_dwordx8 s[8:15], s[0:1], 0x58
	s_mov_b32 s5, 0
	s_lshl_b64 s[4:5], s[4:5], 3
	s_mov_b32 s16, s3
	v_mov_b32_e32 v1, 0
	s_waitcnt lgkmcnt(0)
	s_add_u32 s6, s8, s4
	s_addc_u32 s7, s9, s5
	s_add_u32 s8, s14, s4
	s_addc_u32 s9, s15, s5
	s_load_dwordx2 s[6:7], s[6:7], 0x0
	s_ashr_i32 s3, s2, 31
	s_load_dwordx2 s[14:15], s[8:9], 0x0
	s_lshl_b64 s[8:9], s[2:3], 5
	s_ashr_i32 s17, s16, 31
	v_cmp_lt_i64_e64 s[2:3], s[34:35], 1
	v_and_b32_e32 v2, 0x3ff, v0
	v_bfe_u32 v0, v0, 10, 10
	v_mov_b32_e32 v3, v1
	s_lshl_b64 s[40:41], s[16:17], 5
	s_and_b64 vcc, exec, s[2:3]
	s_cbranch_vccnz .LBB166_7
; %bb.1:
	s_load_dwordx8 s[16:23], s[0:1], 0x20
	s_load_dwordx4 s[36:39], s[0:1], 0x40
	v_lshlrev_b32_e32 v19, 4, v0
	v_add_u32_e32 v12, v19, v2
	v_lshrrev_b32_e32 v4, 5, v12
	s_waitcnt lgkmcnt(0)
	s_add_u32 s2, s22, s4
	s_addc_u32 s3, s23, s5
	s_load_dwordx2 s[22:23], s[2:3], 0x0
	s_add_u32 s2, s16, s4
	v_lshrrev_b32_e32 v8, 3, v12
	v_and_b32_e32 v12, 31, v12
	v_and_b32_e32 v6, 7, v2
	s_addc_u32 s3, s17, s5
	v_or_b32_e32 v14, s8, v12
	v_mov_b32_e32 v15, s9
	s_load_dwordx2 s[16:17], s[2:3], 0x0
	v_mov_b32_e32 v9, v1
	v_cmp_gt_i64_e64 s[2:3], s[28:29], v[14:15]
	v_lshlrev_b32_e32 v14, 1, v6
	v_lshl_add_u64 v[10:11], v[8:9], 0, s[40:41]
	v_lshlrev_b32_e32 v9, 1, v12
	v_lshl_or_b32 v8, v8, 4, v14
	v_mov_b32_e32 v13, v1
	v_lshl_or_b32 v16, v4, 6, v9
	v_cmp_gt_i64_e64 s[4:5], s[30:31], v[10:11]
	v_add_u32_e32 v17, 0x200, v8
	v_mul_lo_u32 v15, s37, v10
	v_mul_lo_u32 v11, s36, v11
	v_mad_u64_u32 v[8:9], s[36:37], s36, v10, 0
	v_add3_u32 v9, v9, v11, v15
	v_lshl_add_u64 v[10:11], s[8:9], 0, v[12:13]
	v_mul_lo_u32 v12, s19, v10
	v_mul_lo_u32 v13, s18, v11
	v_mad_u64_u32 v[10:11], s[18:19], s18, v10, 0
	s_lshl_b64 s[36:37], s[38:39], 1
	v_add3_u32 v11, v11, v13, v12
	s_lshl_b64 s[18:19], s[20:21], 1
	v_lshl_add_u64 v[8:9], v[8:9], 1, s[36:37]
	v_mov_b32_e32 v15, v1
	v_lshl_add_u64 v[10:11], v[10:11], 1, s[18:19]
	v_lshlrev_b32_e32 v12, 1, v4
	v_mov_b32_e32 v13, v1
	v_lshl_add_u64 v[8:9], v[8:9], 0, v[14:15]
	v_lshl_add_u64 v[10:11], v[10:11], 0, v[12:13]
	v_mov_b32_e32 v5, v1
	v_mov_b32_e32 v7, v1
	v_lshlrev_b32_e32 v18, 1, v2
	v_add_u32_e32 v19, 0x200, v19
	s_waitcnt lgkmcnt(0)
	v_lshl_add_u64 v[8:9], s[22:23], 0, v[8:9]
	v_lshl_add_u64 v[10:11], s[16:17], 0, v[10:11]
	s_mov_b64 s[16:17], 0
	s_mov_b32 s20, 0x5040100
	v_mov_b64_e32 v[12:13], s[34:35]
	v_mov_b32_e32 v14, v1
	s_branch .LBB166_3
.LBB166_2:                              ;   in Loop: Header=BB166_3 Depth=1
	s_or_b64 exec, exec, s[18:19]
	s_waitcnt vmcnt(0) lgkmcnt(0)
	ds_write_b16 v17, v20
	s_waitcnt lgkmcnt(0)
	s_barrier
	ds_read_u16 v28, v18
	ds_read_u16 v29, v18 offset:32
	ds_read_u16 v30, v18 offset:64
	;; [unrolled: 1-line block ×7, first 2 shown]
	ds_read_b128 v[20:23], v19
	ds_read_b128 v[24:27], v19 offset:256
	ds_read_u16 v36, v18 offset:256
	ds_read_u16 v37, v18 offset:288
	;; [unrolled: 1-line block ×8, first 2 shown]
	s_waitcnt lgkmcnt(14)
	v_perm_b32 v28, v29, v28, s20
	s_waitcnt lgkmcnt(8)
	v_pk_fma_f16 v14, v28, v24, v14 op_sel_hi:[1,0,1]
	v_pk_fma_f16 v15, v28, v20, v15 op_sel_hi:[1,0,1]
	v_perm_b32 v28, v31, v30, s20
	v_pk_fma_f16 v15, v28, v20, v15 op_sel:[0,1,0]
	v_pk_fma_f16 v14, v28, v24, v14 op_sel:[0,1,0]
	v_perm_b32 v20, v33, v32, s20
	v_pk_fma_f16 v14, v20, v25, v14 op_sel_hi:[1,0,1]
	v_pk_fma_f16 v15, v20, v21, v15 op_sel_hi:[1,0,1]
	v_perm_b32 v20, v35, v34, s20
	v_pk_fma_f16 v15, v20, v21, v15 op_sel:[0,1,0]
	v_pk_fma_f16 v14, v20, v25, v14 op_sel:[0,1,0]
	s_waitcnt lgkmcnt(6)
	v_perm_b32 v20, v37, v36, s20
	v_pk_fma_f16 v14, v20, v26, v14 op_sel_hi:[1,0,1]
	v_pk_fma_f16 v15, v20, v22, v15 op_sel_hi:[1,0,1]
	s_waitcnt lgkmcnt(4)
	v_perm_b32 v20, v39, v38, s20
	s_add_u32 s16, s16, 8
	v_pk_fma_f16 v15, v20, v22, v15 op_sel:[0,1,0]
	v_pk_fma_f16 v14, v20, v26, v14 op_sel:[0,1,0]
	s_waitcnt lgkmcnt(2)
	v_perm_b32 v20, v41, v40, s20
	s_addc_u32 s17, s17, 0
	v_pk_fma_f16 v14, v20, v27, v14 op_sel_hi:[1,0,1]
	v_pk_fma_f16 v15, v20, v23, v15 op_sel_hi:[1,0,1]
	s_waitcnt lgkmcnt(0)
	v_perm_b32 v20, v43, v42, s20
	v_cmp_lt_i64_e32 vcc, s[16:17], v[12:13]
	v_pk_fma_f16 v15, v20, v23, v15 op_sel:[0,1,0]
	v_pk_fma_f16 v14, v20, v27, v14 op_sel:[0,1,0]
	v_lshl_add_u64 v[8:9], v[8:9], 0, 16
	v_lshl_add_u64 v[10:11], v[10:11], 0, 16
	s_barrier
	s_cbranch_vccz .LBB166_8
.LBB166_3:                              ; =>This Inner Loop Header: Depth=1
	v_lshl_add_u64 v[20:21], v[4:5], 0, s[16:17]
	v_cmp_gt_i64_e32 vcc, s[34:35], v[20:21]
	s_and_b64 s[22:23], s[2:3], vcc
	v_mov_b32_e32 v20, 0
	v_mov_b32_e32 v21, 0
	s_and_saveexec_b64 s[18:19], s[22:23]
	s_cbranch_execz .LBB166_5
; %bb.4:                                ;   in Loop: Header=BB166_3 Depth=1
	flat_load_ushort v21, v[10:11]
.LBB166_5:                              ;   in Loop: Header=BB166_3 Depth=1
	s_or_b64 exec, exec, s[18:19]
	v_lshl_add_u64 v[22:23], v[6:7], 0, s[16:17]
	v_cmp_gt_i64_e32 vcc, s[34:35], v[22:23]
	s_and_b64 s[22:23], vcc, s[4:5]
	s_waitcnt vmcnt(0) lgkmcnt(0)
	ds_write_b16 v16, v21
	s_and_saveexec_b64 s[18:19], s[22:23]
	s_cbranch_execz .LBB166_2
; %bb.6:                                ;   in Loop: Header=BB166_3 Depth=1
	flat_load_ushort v20, v[8:9]
	s_branch .LBB166_2
.LBB166_7:
	v_mov_b32_e32 v14, v1
	v_mov_b32_e32 v15, v1
.LBB166_8:
	s_load_dword s18, s[0:1], 0x18
	s_load_dword s19, s[0:1], 0x50
	s_lshl_b64 s[0:1], s[26:27], 1
	s_waitcnt lgkmcnt(0)
	s_add_u32 s14, s14, s0
	v_lshl_add_u64 v[0:1], s[40:41], 0, v[0:1]
	s_addc_u32 s15, s15, s1
	v_cmp_neq_f16_e64 s[2:3], s19, 0
	v_cmp_gt_i64_e64 s[0:1], s[30:31], v[0:1]
	s_and_b64 vcc, exec, s[2:3]
	s_cbranch_vccnz .LBB166_21
; %bb.9:
	s_and_saveexec_b64 s[16:17], s[0:1]
	s_cbranch_execz .LBB166_19
; %bb.10:
	v_mul_lo_u32 v8, v1, s24
	v_mul_lo_u32 v9, v0, s25
	v_mad_u64_u32 v[6:7], s[2:3], v0, s24, 0
	v_add3_u32 v7, v7, v9, v8
	v_lshl_add_u64 v[4:5], s[8:9], 0, v[2:3]
	v_lshl_add_u64 v[6:7], v[6:7], 1, s[14:15]
	v_cmp_gt_i64_e32 vcc, s[28:29], v[4:5]
	v_lshl_add_u64 v[8:9], v[4:5], 1, v[6:7]
	s_and_saveexec_b64 s[2:3], vcc
	s_cbranch_execz .LBB166_12
; %bb.11:
	v_mul_f16_e32 v10, s18, v15
	flat_store_short v[8:9], v10
.LBB166_12:
	s_or_b64 exec, exec, s[2:3]
	v_lshl_add_u64 v[10:11], v[4:5], 0, 16
	v_cmp_gt_i64_e64 s[2:3], s[28:29], v[10:11]
	s_and_saveexec_b64 s[4:5], s[2:3]
	s_cbranch_execz .LBB166_14
; %bb.13:
	v_mul_f16_sdwa v10, s18, v15 dst_sel:DWORD dst_unused:UNUSED_PAD src0_sel:DWORD src1_sel:WORD_1
	flat_store_short v[8:9], v10 offset:32
.LBB166_14:
	s_or_b64 exec, exec, s[4:5]
	v_lshl_add_u64 v[8:9], v[0:1], 0, 16
	v_cmp_gt_i64_e64 s[4:5], s[30:31], v[8:9]
	s_and_b64 exec, exec, s[4:5]
	s_cbranch_execz .LBB166_19
; %bb.15:
	s_lshl_b64 s[4:5], s[24:25], 5
	v_lshl_add_u64 v[6:7], v[6:7], 0, s[4:5]
	v_lshl_add_u64 v[4:5], v[4:5], 1, v[6:7]
	s_and_saveexec_b64 s[4:5], vcc
	s_cbranch_execz .LBB166_17
; %bb.16:
	v_mul_f16_e32 v6, s18, v14
	flat_store_short v[4:5], v6
.LBB166_17:
	s_or_b64 exec, exec, s[4:5]
	s_and_b64 exec, exec, s[2:3]
	s_cbranch_execz .LBB166_19
; %bb.18:
	v_mul_f16_sdwa v6, s18, v14 dst_sel:DWORD dst_unused:UNUSED_PAD src0_sel:DWORD src1_sel:WORD_1
	flat_store_short v[4:5], v6 offset:32
.LBB166_19:
	s_or_b64 exec, exec, s[16:17]
	s_cbranch_execz .LBB166_22
.LBB166_20:
	s_endpgm
.LBB166_21:
.LBB166_22:
	s_and_saveexec_b64 s[2:3], s[0:1]
	s_cbranch_execz .LBB166_20
; %bb.23:
	s_lshl_b64 s[0:1], s[12:13], 1
	v_lshl_add_u64 v[8:9], s[8:9], 0, v[2:3]
	v_mul_lo_u32 v4, v1, s10
	v_mul_lo_u32 v5, v0, s11
	v_mad_u64_u32 v[2:3], s[2:3], v0, s10, 0
	s_add_u32 s0, s6, s0
	v_add3_u32 v3, v3, v5, v4
	v_mul_lo_u32 v6, v1, s24
	v_mul_lo_u32 v7, v0, s25
	v_mad_u64_u32 v[4:5], s[2:3], v0, s24, 0
	s_addc_u32 s1, s7, s1
	v_add3_u32 v5, v5, v7, v6
	v_cmp_gt_i64_e32 vcc, s[28:29], v[8:9]
	v_lshl_add_u64 v[6:7], v[2:3], 1, s[0:1]
	v_lshl_add_u64 v[4:5], v[4:5], 1, s[14:15]
	v_lshlrev_b64 v[2:3], 1, v[8:9]
	s_and_saveexec_b64 s[0:1], vcc
	s_cbranch_execz .LBB166_25
; %bb.24:
	v_lshl_add_u64 v[10:11], v[6:7], 0, v[2:3]
	flat_load_ushort v10, v[10:11]
	s_waitcnt vmcnt(0) lgkmcnt(0)
	v_mul_f16_e32 v10, s19, v10
	v_fma_f16 v12, s18, v15, v10
	v_lshl_add_u64 v[10:11], v[4:5], 0, v[2:3]
	flat_store_short v[10:11], v12
.LBB166_25:
	s_or_b64 exec, exec, s[0:1]
	v_lshl_add_u64 v[8:9], v[8:9], 0, 16
	v_cmp_gt_i64_e64 s[0:1], s[28:29], v[8:9]
	s_and_saveexec_b64 s[2:3], s[0:1]
	s_cbranch_execz .LBB166_27
; %bb.26:
	v_lshl_add_u64 v[8:9], v[6:7], 0, v[2:3]
	flat_load_ushort v8, v[8:9] offset:32
	v_lshrrev_b32_e32 v9, 16, v15
	s_waitcnt vmcnt(0) lgkmcnt(0)
	v_mul_f16_e32 v8, s19, v8
	v_fma_f16 v10, s18, v9, v8
	v_lshl_add_u64 v[8:9], v[4:5], 0, v[2:3]
	flat_store_short v[8:9], v10 offset:32
.LBB166_27:
	s_or_b64 exec, exec, s[2:3]
	v_lshl_add_u64 v[0:1], v[0:1], 0, 16
	v_cmp_gt_i64_e64 s[2:3], s[30:31], v[0:1]
	s_and_b64 exec, exec, s[2:3]
	s_cbranch_execz .LBB166_20
; %bb.28:
	s_lshl_b64 s[2:3], s[10:11], 5
	v_lshl_add_u64 v[0:1], v[6:7], 0, s[2:3]
	s_lshl_b64 s[2:3], s[24:25], 5
	v_lshl_add_u64 v[6:7], v[4:5], 0, s[2:3]
	v_lshl_add_u64 v[4:5], v[0:1], 0, v[2:3]
	;; [unrolled: 1-line block ×3, first 2 shown]
	s_and_saveexec_b64 s[2:3], vcc
	s_cbranch_execz .LBB166_30
; %bb.29:
	flat_load_ushort v2, v[4:5]
	s_waitcnt vmcnt(0) lgkmcnt(0)
	v_mul_f16_e32 v2, s19, v2
	v_fma_f16 v2, s18, v14, v2
	flat_store_short v[0:1], v2
.LBB166_30:
	s_or_b64 exec, exec, s[2:3]
	s_and_b64 exec, exec, s[0:1]
	s_cbranch_execz .LBB166_20
; %bb.31:
	flat_load_ushort v2, v[4:5] offset:32
	v_lshrrev_b32_e32 v3, 16, v14
	s_waitcnt vmcnt(0) lgkmcnt(0)
	v_mul_f16_e32 v2, s19, v2
	v_fma_f16 v2, s18, v3, v2
	flat_store_short v[0:1], v2 offset:32
	s_endpgm
	.section	.rodata,"a",@progbits
	.p2align	6, 0x0
	.amdhsa_kernel _ZN12_GLOBAL__N_135rocblas_gemm_batched_general_kernelIDF16_Li16ELi16ELi32ELi32ELi8ELi32ELi8ELi8ELi32ELc84ELc78EKPKDF16_S3_KPDF16_EEvlllT_PT11_llS8_llS6_PT12_llPT13_lli
		.amdhsa_group_segment_fixed_size 1024
		.amdhsa_private_segment_fixed_size 0
		.amdhsa_kernarg_size 140
		.amdhsa_user_sgpr_count 2
		.amdhsa_user_sgpr_dispatch_ptr 0
		.amdhsa_user_sgpr_queue_ptr 0
		.amdhsa_user_sgpr_kernarg_segment_ptr 1
		.amdhsa_user_sgpr_dispatch_id 0
		.amdhsa_user_sgpr_kernarg_preload_length 0
		.amdhsa_user_sgpr_kernarg_preload_offset 0
		.amdhsa_user_sgpr_private_segment_size 0
		.amdhsa_uses_dynamic_stack 0
		.amdhsa_enable_private_segment 0
		.amdhsa_system_sgpr_workgroup_id_x 1
		.amdhsa_system_sgpr_workgroup_id_y 1
		.amdhsa_system_sgpr_workgroup_id_z 1
		.amdhsa_system_sgpr_workgroup_info 0
		.amdhsa_system_vgpr_workitem_id 1
		.amdhsa_next_free_vgpr 44
		.amdhsa_next_free_sgpr 42
		.amdhsa_accum_offset 44
		.amdhsa_reserve_vcc 1
		.amdhsa_float_round_mode_32 0
		.amdhsa_float_round_mode_16_64 0
		.amdhsa_float_denorm_mode_32 3
		.amdhsa_float_denorm_mode_16_64 3
		.amdhsa_dx10_clamp 1
		.amdhsa_ieee_mode 1
		.amdhsa_fp16_overflow 0
		.amdhsa_tg_split 0
		.amdhsa_exception_fp_ieee_invalid_op 0
		.amdhsa_exception_fp_denorm_src 0
		.amdhsa_exception_fp_ieee_div_zero 0
		.amdhsa_exception_fp_ieee_overflow 0
		.amdhsa_exception_fp_ieee_underflow 0
		.amdhsa_exception_fp_ieee_inexact 0
		.amdhsa_exception_int_div_zero 0
	.end_amdhsa_kernel
	.section	.text._ZN12_GLOBAL__N_135rocblas_gemm_batched_general_kernelIDF16_Li16ELi16ELi32ELi32ELi8ELi32ELi8ELi8ELi32ELc84ELc78EKPKDF16_S3_KPDF16_EEvlllT_PT11_llS8_llS6_PT12_llPT13_lli,"axG",@progbits,_ZN12_GLOBAL__N_135rocblas_gemm_batched_general_kernelIDF16_Li16ELi16ELi32ELi32ELi8ELi32ELi8ELi8ELi32ELc84ELc78EKPKDF16_S3_KPDF16_EEvlllT_PT11_llS8_llS6_PT12_llPT13_lli,comdat
.Lfunc_end166:
	.size	_ZN12_GLOBAL__N_135rocblas_gemm_batched_general_kernelIDF16_Li16ELi16ELi32ELi32ELi8ELi32ELi8ELi8ELi32ELc84ELc78EKPKDF16_S3_KPDF16_EEvlllT_PT11_llS8_llS6_PT12_llPT13_lli, .Lfunc_end166-_ZN12_GLOBAL__N_135rocblas_gemm_batched_general_kernelIDF16_Li16ELi16ELi32ELi32ELi8ELi32ELi8ELi8ELi32ELc84ELc78EKPKDF16_S3_KPDF16_EEvlllT_PT11_llS8_llS6_PT12_llPT13_lli
                                        ; -- End function
	.set _ZN12_GLOBAL__N_135rocblas_gemm_batched_general_kernelIDF16_Li16ELi16ELi32ELi32ELi8ELi32ELi8ELi8ELi32ELc84ELc78EKPKDF16_S3_KPDF16_EEvlllT_PT11_llS8_llS6_PT12_llPT13_lli.num_vgpr, 44
	.set _ZN12_GLOBAL__N_135rocblas_gemm_batched_general_kernelIDF16_Li16ELi16ELi32ELi32ELi8ELi32ELi8ELi8ELi32ELc84ELc78EKPKDF16_S3_KPDF16_EEvlllT_PT11_llS8_llS6_PT12_llPT13_lli.num_agpr, 0
	.set _ZN12_GLOBAL__N_135rocblas_gemm_batched_general_kernelIDF16_Li16ELi16ELi32ELi32ELi8ELi32ELi8ELi8ELi32ELc84ELc78EKPKDF16_S3_KPDF16_EEvlllT_PT11_llS8_llS6_PT12_llPT13_lli.numbered_sgpr, 42
	.set _ZN12_GLOBAL__N_135rocblas_gemm_batched_general_kernelIDF16_Li16ELi16ELi32ELi32ELi8ELi32ELi8ELi8ELi32ELc84ELc78EKPKDF16_S3_KPDF16_EEvlllT_PT11_llS8_llS6_PT12_llPT13_lli.num_named_barrier, 0
	.set _ZN12_GLOBAL__N_135rocblas_gemm_batched_general_kernelIDF16_Li16ELi16ELi32ELi32ELi8ELi32ELi8ELi8ELi32ELc84ELc78EKPKDF16_S3_KPDF16_EEvlllT_PT11_llS8_llS6_PT12_llPT13_lli.private_seg_size, 0
	.set _ZN12_GLOBAL__N_135rocblas_gemm_batched_general_kernelIDF16_Li16ELi16ELi32ELi32ELi8ELi32ELi8ELi8ELi32ELc84ELc78EKPKDF16_S3_KPDF16_EEvlllT_PT11_llS8_llS6_PT12_llPT13_lli.uses_vcc, 1
	.set _ZN12_GLOBAL__N_135rocblas_gemm_batched_general_kernelIDF16_Li16ELi16ELi32ELi32ELi8ELi32ELi8ELi8ELi32ELc84ELc78EKPKDF16_S3_KPDF16_EEvlllT_PT11_llS8_llS6_PT12_llPT13_lli.uses_flat_scratch, 0
	.set _ZN12_GLOBAL__N_135rocblas_gemm_batched_general_kernelIDF16_Li16ELi16ELi32ELi32ELi8ELi32ELi8ELi8ELi32ELc84ELc78EKPKDF16_S3_KPDF16_EEvlllT_PT11_llS8_llS6_PT12_llPT13_lli.has_dyn_sized_stack, 0
	.set _ZN12_GLOBAL__N_135rocblas_gemm_batched_general_kernelIDF16_Li16ELi16ELi32ELi32ELi8ELi32ELi8ELi8ELi32ELc84ELc78EKPKDF16_S3_KPDF16_EEvlllT_PT11_llS8_llS6_PT12_llPT13_lli.has_recursion, 0
	.set _ZN12_GLOBAL__N_135rocblas_gemm_batched_general_kernelIDF16_Li16ELi16ELi32ELi32ELi8ELi32ELi8ELi8ELi32ELc84ELc78EKPKDF16_S3_KPDF16_EEvlllT_PT11_llS8_llS6_PT12_llPT13_lli.has_indirect_call, 0
	.section	.AMDGPU.csdata,"",@progbits
; Kernel info:
; codeLenInByte = 1712
; TotalNumSgprs: 48
; NumVgprs: 44
; NumAgprs: 0
; TotalNumVgprs: 44
; ScratchSize: 0
; MemoryBound: 0
; FloatMode: 240
; IeeeMode: 1
; LDSByteSize: 1024 bytes/workgroup (compile time only)
; SGPRBlocks: 5
; VGPRBlocks: 5
; NumSGPRsForWavesPerEU: 48
; NumVGPRsForWavesPerEU: 44
; AccumOffset: 44
; Occupancy: 8
; WaveLimiterHint : 1
; COMPUTE_PGM_RSRC2:SCRATCH_EN: 0
; COMPUTE_PGM_RSRC2:USER_SGPR: 2
; COMPUTE_PGM_RSRC2:TRAP_HANDLER: 0
; COMPUTE_PGM_RSRC2:TGID_X_EN: 1
; COMPUTE_PGM_RSRC2:TGID_Y_EN: 1
; COMPUTE_PGM_RSRC2:TGID_Z_EN: 1
; COMPUTE_PGM_RSRC2:TIDIG_COMP_CNT: 1
; COMPUTE_PGM_RSRC3_GFX90A:ACCUM_OFFSET: 10
; COMPUTE_PGM_RSRC3_GFX90A:TG_SPLIT: 0
	.section	.text._ZN12_GLOBAL__N_135rocblas_gemm_batched_general_kernelIDF16_Li16ELi16ELi32ELi32ELi8ELi32ELi8ELi8ELi32ELc78ELc84EKPKDF16_S3_KPDF16_EEvlllT_PT11_llS8_llS6_PT12_llPT13_lli,"axG",@progbits,_ZN12_GLOBAL__N_135rocblas_gemm_batched_general_kernelIDF16_Li16ELi16ELi32ELi32ELi8ELi32ELi8ELi8ELi32ELc78ELc84EKPKDF16_S3_KPDF16_EEvlllT_PT11_llS8_llS6_PT12_llPT13_lli,comdat
	.globl	_ZN12_GLOBAL__N_135rocblas_gemm_batched_general_kernelIDF16_Li16ELi16ELi32ELi32ELi8ELi32ELi8ELi8ELi32ELc78ELc84EKPKDF16_S3_KPDF16_EEvlllT_PT11_llS8_llS6_PT12_llPT13_lli ; -- Begin function _ZN12_GLOBAL__N_135rocblas_gemm_batched_general_kernelIDF16_Li16ELi16ELi32ELi32ELi8ELi32ELi8ELi8ELi32ELc78ELc84EKPKDF16_S3_KPDF16_EEvlllT_PT11_llS8_llS6_PT12_llPT13_lli
	.p2align	8
	.type	_ZN12_GLOBAL__N_135rocblas_gemm_batched_general_kernelIDF16_Li16ELi16ELi32ELi32ELi8ELi32ELi8ELi8ELi32ELc78ELc84EKPKDF16_S3_KPDF16_EEvlllT_PT11_llS8_llS6_PT12_llPT13_lli,@function
_ZN12_GLOBAL__N_135rocblas_gemm_batched_general_kernelIDF16_Li16ELi16ELi32ELi32ELi8ELi32ELi8ELi8ELi32ELc78ELc84EKPKDF16_S3_KPDF16_EEvlllT_PT11_llS8_llS6_PT12_llPT13_lli: ; @_ZN12_GLOBAL__N_135rocblas_gemm_batched_general_kernelIDF16_Li16ELi16ELi32ELi32ELi8ELi32ELi8ELi8ELi32ELc78ELc84EKPKDF16_S3_KPDF16_EEvlllT_PT11_llS8_llS6_PT12_llPT13_lli
; %bb.0:
	s_load_dwordx4 s[28:31], s[0:1], 0x0
	s_load_dwordx2 s[34:35], s[0:1], 0x10
	s_load_dwordx4 s[24:27], s[0:1], 0x78
	s_load_dwordx8 s[8:15], s[0:1], 0x58
	s_mov_b32 s5, 0
	s_lshl_b64 s[4:5], s[4:5], 3
	s_mov_b32 s44, s3
	v_mov_b32_e32 v1, 0
	s_waitcnt lgkmcnt(0)
	s_add_u32 s6, s8, s4
	s_addc_u32 s7, s9, s5
	s_load_dwordx2 s[8:9], s[6:7], 0x0
	s_add_u32 s6, s14, s4
	s_addc_u32 s7, s15, s5
	s_load_dwordx2 s[40:41], s[6:7], 0x0
	s_ashr_i32 s3, s2, 31
	s_ashr_i32 s45, s44, 31
	v_cmp_lt_i64_e64 s[6:7], s[34:35], 1
	v_and_b32_e32 v2, 0x3ff, v0
	v_bfe_u32 v0, v0, 10, 10
	v_mov_b32_e32 v3, v1
	s_lshl_b64 s[14:15], s[2:3], 5
	s_lshl_b64 s[42:43], s[44:45], 5
	s_and_b64 vcc, exec, s[6:7]
	s_cbranch_vccnz .LBB167_7
; %bb.1:
	s_load_dwordx8 s[16:23], s[0:1], 0x20
	s_load_dwordx4 s[36:39], s[0:1], 0x40
	v_lshlrev_b32_e32 v14, 4, v0
	v_add_u32_e32 v12, v14, v2
	v_lshrrev_b32_e32 v8, 3, v12
	s_waitcnt lgkmcnt(0)
	s_add_u32 s6, s22, s4
	s_addc_u32 s7, s23, s5
	s_add_u32 s4, s16, s4
	v_mov_b32_e32 v9, v1
	v_and_b32_e32 v6, 7, v2
	s_addc_u32 s5, s17, s5
	v_lshl_add_u64 v[10:11], v[8:9], 0, s[42:43]
	s_load_dwordx2 s[46:47], s[4:5], 0x0
	v_cmp_gt_i64_e64 s[4:5], s[30:31], v[10:11]
	v_mad_u64_u32 v[10:11], s[16:17], s36, v6, 0
	v_add_u32_e32 v19, 0x200, v14
	v_mov_b32_e32 v14, v11
	v_and_b32_e32 v9, 31, v12
	v_mad_u64_u32 v[14:15], s[16:17], s37, v6, v[14:15]
	v_lshrrev_b32_e32 v4, 5, v12
	s_load_dwordx2 s[22:23], s[6:7], 0x0
	v_or_b32_e32 v12, s14, v9
	v_mov_b32_e32 v13, s15
	s_lshl_b64 s[16:17], s[44:45], 6
	s_lshl_b64 s[38:39], s[38:39], 1
	v_cmp_gt_i64_e64 s[6:7], s[28:29], v[12:13]
	v_lshlrev_b32_e32 v12, 1, v9
	v_lshlrev_b32_e32 v9, 1, v6
	s_add_u32 s16, s38, s16
	v_lshl_or_b32 v9, v8, 4, v9
	v_mov_b32_e32 v11, v14
	s_addc_u32 s17, s39, s17
	v_add_u32_e32 v17, 0x200, v9
	v_lshl_add_u64 v[10:11], v[10:11], 1, s[16:17]
	v_lshlrev_b32_e32 v8, 1, v8
	v_mov_b32_e32 v9, v1
	v_lshl_add_u64 v[8:9], v[10:11], 0, v[8:9]
	s_waitcnt lgkmcnt(0)
	v_lshl_add_u64 v[8:9], s[22:23], 0, v[8:9]
	v_mad_u64_u32 v[10:11], s[22:23], s18, v4, 0
	s_lshl_b64 s[16:17], s[36:37], 4
	v_mov_b32_e32 v14, v11
	s_lshl_b64 s[2:3], s[2:3], 6
	s_lshl_b64 s[20:21], s[20:21], 1
	v_mad_u64_u32 v[14:15], s[22:23], s19, v4, v[14:15]
	s_add_u32 s2, s20, s2
	v_mov_b32_e32 v11, v14
	s_addc_u32 s3, s21, s3
	v_lshl_add_u64 v[10:11], v[10:11], 1, s[2:3]
	v_mov_b32_e32 v13, v1
	v_lshl_add_u64 v[10:11], v[10:11], 0, v[12:13]
	v_mov_b32_e32 v5, v1
	v_mov_b32_e32 v7, v1
	v_lshl_or_b32 v16, v4, 6, v12
	v_lshlrev_b32_e32 v18, 1, v2
	v_lshl_add_u64 v[10:11], s[46:47], 0, v[10:11]
	s_lshl_b64 s[2:3], s[18:19], 4
	s_mov_b64 s[18:19], 0
	s_mov_b32 s22, 0x5040100
	v_mov_b64_e32 v[12:13], s[34:35]
	v_mov_b32_e32 v15, v1
	v_mov_b32_e32 v14, v1
	s_branch .LBB167_3
.LBB167_2:                              ;   in Loop: Header=BB167_3 Depth=1
	s_or_b64 exec, exec, s[20:21]
	s_waitcnt vmcnt(0) lgkmcnt(0)
	ds_write_b16 v17, v20
	s_waitcnt lgkmcnt(0)
	s_barrier
	ds_read_u16 v28, v18
	ds_read_u16 v29, v18 offset:32
	ds_read_u16 v30, v18 offset:64
	;; [unrolled: 1-line block ×7, first 2 shown]
	ds_read_b128 v[20:23], v19
	ds_read_b128 v[24:27], v19 offset:256
	ds_read_u16 v36, v18 offset:256
	ds_read_u16 v37, v18 offset:288
	;; [unrolled: 1-line block ×8, first 2 shown]
	s_waitcnt lgkmcnt(14)
	v_perm_b32 v28, v29, v28, s22
	s_waitcnt lgkmcnt(8)
	v_pk_fma_f16 v14, v28, v24, v14 op_sel_hi:[1,0,1]
	v_pk_fma_f16 v15, v28, v20, v15 op_sel_hi:[1,0,1]
	v_perm_b32 v28, v31, v30, s22
	v_pk_fma_f16 v15, v28, v20, v15 op_sel:[0,1,0]
	v_pk_fma_f16 v14, v28, v24, v14 op_sel:[0,1,0]
	v_perm_b32 v20, v33, v32, s22
	v_pk_fma_f16 v14, v20, v25, v14 op_sel_hi:[1,0,1]
	v_pk_fma_f16 v15, v20, v21, v15 op_sel_hi:[1,0,1]
	v_perm_b32 v20, v35, v34, s22
	v_pk_fma_f16 v15, v20, v21, v15 op_sel:[0,1,0]
	v_pk_fma_f16 v14, v20, v25, v14 op_sel:[0,1,0]
	s_waitcnt lgkmcnt(6)
	v_perm_b32 v20, v37, v36, s22
	v_pk_fma_f16 v14, v20, v26, v14 op_sel_hi:[1,0,1]
	v_pk_fma_f16 v15, v20, v22, v15 op_sel_hi:[1,0,1]
	s_waitcnt lgkmcnt(4)
	v_perm_b32 v20, v39, v38, s22
	s_add_u32 s18, s18, 8
	v_pk_fma_f16 v15, v20, v22, v15 op_sel:[0,1,0]
	v_pk_fma_f16 v14, v20, v26, v14 op_sel:[0,1,0]
	s_waitcnt lgkmcnt(2)
	v_perm_b32 v20, v41, v40, s22
	s_addc_u32 s19, s19, 0
	v_pk_fma_f16 v14, v20, v27, v14 op_sel_hi:[1,0,1]
	v_pk_fma_f16 v15, v20, v23, v15 op_sel_hi:[1,0,1]
	s_waitcnt lgkmcnt(0)
	v_perm_b32 v20, v43, v42, s22
	v_cmp_lt_i64_e32 vcc, s[18:19], v[12:13]
	v_pk_fma_f16 v15, v20, v23, v15 op_sel:[0,1,0]
	v_pk_fma_f16 v14, v20, v27, v14 op_sel:[0,1,0]
	v_lshl_add_u64 v[8:9], v[8:9], 0, s[16:17]
	v_lshl_add_u64 v[10:11], v[10:11], 0, s[2:3]
	s_barrier
	s_cbranch_vccz .LBB167_8
.LBB167_3:                              ; =>This Inner Loop Header: Depth=1
	v_lshl_add_u64 v[20:21], v[4:5], 0, s[18:19]
	v_cmp_gt_i64_e32 vcc, s[34:35], v[20:21]
	s_and_b64 s[36:37], s[6:7], vcc
	v_mov_b32_e32 v20, 0
	v_mov_b32_e32 v21, 0
	s_and_saveexec_b64 s[20:21], s[36:37]
	s_cbranch_execz .LBB167_5
; %bb.4:                                ;   in Loop: Header=BB167_3 Depth=1
	flat_load_ushort v21, v[10:11]
.LBB167_5:                              ;   in Loop: Header=BB167_3 Depth=1
	s_or_b64 exec, exec, s[20:21]
	v_lshl_add_u64 v[22:23], v[6:7], 0, s[18:19]
	v_cmp_gt_i64_e32 vcc, s[34:35], v[22:23]
	s_and_b64 s[36:37], vcc, s[4:5]
	s_waitcnt vmcnt(0) lgkmcnt(0)
	ds_write_b16 v16, v21
	s_and_saveexec_b64 s[20:21], s[36:37]
	s_cbranch_execz .LBB167_2
; %bb.6:                                ;   in Loop: Header=BB167_3 Depth=1
	flat_load_ushort v20, v[8:9]
	s_branch .LBB167_2
.LBB167_7:
	v_mov_b32_e32 v14, v1
	v_mov_b32_e32 v15, v1
.LBB167_8:
	s_load_dword s18, s[0:1], 0x18
	s_load_dword s19, s[0:1], 0x50
	s_lshl_b64 s[0:1], s[26:27], 1
	s_waitcnt lgkmcnt(0)
	s_add_u32 s6, s40, s0
	v_lshl_add_u64 v[0:1], s[42:43], 0, v[0:1]
	s_addc_u32 s7, s41, s1
	v_cmp_neq_f16_e64 s[2:3], s19, 0
	v_cmp_gt_i64_e64 s[0:1], s[30:31], v[0:1]
	s_and_b64 vcc, exec, s[2:3]
	s_cbranch_vccnz .LBB167_21
; %bb.9:
	s_and_saveexec_b64 s[16:17], s[0:1]
	s_cbranch_execz .LBB167_19
; %bb.10:
	v_mul_lo_u32 v8, v1, s24
	v_mul_lo_u32 v9, v0, s25
	v_mad_u64_u32 v[6:7], s[2:3], v0, s24, 0
	v_add3_u32 v7, v7, v9, v8
	v_lshl_add_u64 v[4:5], s[14:15], 0, v[2:3]
	v_lshl_add_u64 v[6:7], v[6:7], 1, s[6:7]
	v_cmp_gt_i64_e32 vcc, s[28:29], v[4:5]
	v_lshl_add_u64 v[8:9], v[4:5], 1, v[6:7]
	s_and_saveexec_b64 s[2:3], vcc
	s_cbranch_execz .LBB167_12
; %bb.11:
	v_mul_f16_e32 v10, s18, v15
	flat_store_short v[8:9], v10
.LBB167_12:
	s_or_b64 exec, exec, s[2:3]
	v_lshl_add_u64 v[10:11], v[4:5], 0, 16
	v_cmp_gt_i64_e64 s[2:3], s[28:29], v[10:11]
	s_and_saveexec_b64 s[4:5], s[2:3]
	s_cbranch_execz .LBB167_14
; %bb.13:
	v_mul_f16_sdwa v10, s18, v15 dst_sel:DWORD dst_unused:UNUSED_PAD src0_sel:DWORD src1_sel:WORD_1
	flat_store_short v[8:9], v10 offset:32
.LBB167_14:
	s_or_b64 exec, exec, s[4:5]
	v_lshl_add_u64 v[8:9], v[0:1], 0, 16
	v_cmp_gt_i64_e64 s[4:5], s[30:31], v[8:9]
	s_and_b64 exec, exec, s[4:5]
	s_cbranch_execz .LBB167_19
; %bb.15:
	s_lshl_b64 s[4:5], s[24:25], 5
	v_lshl_add_u64 v[6:7], v[6:7], 0, s[4:5]
	v_lshl_add_u64 v[4:5], v[4:5], 1, v[6:7]
	s_and_saveexec_b64 s[4:5], vcc
	s_cbranch_execz .LBB167_17
; %bb.16:
	v_mul_f16_e32 v6, s18, v14
	flat_store_short v[4:5], v6
.LBB167_17:
	s_or_b64 exec, exec, s[4:5]
	s_and_b64 exec, exec, s[2:3]
	s_cbranch_execz .LBB167_19
; %bb.18:
	v_mul_f16_sdwa v6, s18, v14 dst_sel:DWORD dst_unused:UNUSED_PAD src0_sel:DWORD src1_sel:WORD_1
	flat_store_short v[4:5], v6 offset:32
.LBB167_19:
	s_or_b64 exec, exec, s[16:17]
	s_cbranch_execz .LBB167_22
.LBB167_20:
	s_endpgm
.LBB167_21:
.LBB167_22:
	s_and_saveexec_b64 s[2:3], s[0:1]
	s_cbranch_execz .LBB167_20
; %bb.23:
	s_lshl_b64 s[0:1], s[12:13], 1
	v_lshl_add_u64 v[8:9], s[14:15], 0, v[2:3]
	v_mul_lo_u32 v4, v1, s10
	v_mul_lo_u32 v5, v0, s11
	v_mad_u64_u32 v[2:3], s[2:3], v0, s10, 0
	s_add_u32 s0, s8, s0
	v_add3_u32 v3, v3, v5, v4
	v_mul_lo_u32 v6, v1, s24
	v_mul_lo_u32 v7, v0, s25
	v_mad_u64_u32 v[4:5], s[2:3], v0, s24, 0
	s_addc_u32 s1, s9, s1
	v_add3_u32 v5, v5, v7, v6
	v_cmp_gt_i64_e32 vcc, s[28:29], v[8:9]
	v_lshl_add_u64 v[6:7], v[2:3], 1, s[0:1]
	v_lshl_add_u64 v[4:5], v[4:5], 1, s[6:7]
	v_lshlrev_b64 v[2:3], 1, v[8:9]
	s_and_saveexec_b64 s[0:1], vcc
	s_cbranch_execz .LBB167_25
; %bb.24:
	v_lshl_add_u64 v[10:11], v[6:7], 0, v[2:3]
	flat_load_ushort v10, v[10:11]
	s_waitcnt vmcnt(0) lgkmcnt(0)
	v_mul_f16_e32 v10, s19, v10
	v_fma_f16 v12, s18, v15, v10
	v_lshl_add_u64 v[10:11], v[4:5], 0, v[2:3]
	flat_store_short v[10:11], v12
.LBB167_25:
	s_or_b64 exec, exec, s[0:1]
	v_lshl_add_u64 v[8:9], v[8:9], 0, 16
	v_cmp_gt_i64_e64 s[0:1], s[28:29], v[8:9]
	s_and_saveexec_b64 s[2:3], s[0:1]
	s_cbranch_execz .LBB167_27
; %bb.26:
	v_lshl_add_u64 v[8:9], v[6:7], 0, v[2:3]
	flat_load_ushort v8, v[8:9] offset:32
	v_lshrrev_b32_e32 v9, 16, v15
	s_waitcnt vmcnt(0) lgkmcnt(0)
	v_mul_f16_e32 v8, s19, v8
	v_fma_f16 v10, s18, v9, v8
	v_lshl_add_u64 v[8:9], v[4:5], 0, v[2:3]
	flat_store_short v[8:9], v10 offset:32
.LBB167_27:
	s_or_b64 exec, exec, s[2:3]
	v_lshl_add_u64 v[0:1], v[0:1], 0, 16
	v_cmp_gt_i64_e64 s[2:3], s[30:31], v[0:1]
	s_and_b64 exec, exec, s[2:3]
	s_cbranch_execz .LBB167_20
; %bb.28:
	s_lshl_b64 s[2:3], s[10:11], 5
	v_lshl_add_u64 v[0:1], v[6:7], 0, s[2:3]
	s_lshl_b64 s[2:3], s[24:25], 5
	v_lshl_add_u64 v[6:7], v[4:5], 0, s[2:3]
	v_lshl_add_u64 v[4:5], v[0:1], 0, v[2:3]
	;; [unrolled: 1-line block ×3, first 2 shown]
	s_and_saveexec_b64 s[2:3], vcc
	s_cbranch_execz .LBB167_30
; %bb.29:
	flat_load_ushort v2, v[4:5]
	s_waitcnt vmcnt(0) lgkmcnt(0)
	v_mul_f16_e32 v2, s19, v2
	v_fma_f16 v2, s18, v14, v2
	flat_store_short v[0:1], v2
.LBB167_30:
	s_or_b64 exec, exec, s[2:3]
	s_and_b64 exec, exec, s[0:1]
	s_cbranch_execz .LBB167_20
; %bb.31:
	flat_load_ushort v2, v[4:5] offset:32
	v_lshrrev_b32_e32 v3, 16, v14
	s_waitcnt vmcnt(0) lgkmcnt(0)
	v_mul_f16_e32 v2, s19, v2
	v_fma_f16 v2, s18, v3, v2
	flat_store_short v[0:1], v2 offset:32
	s_endpgm
	.section	.rodata,"a",@progbits
	.p2align	6, 0x0
	.amdhsa_kernel _ZN12_GLOBAL__N_135rocblas_gemm_batched_general_kernelIDF16_Li16ELi16ELi32ELi32ELi8ELi32ELi8ELi8ELi32ELc78ELc84EKPKDF16_S3_KPDF16_EEvlllT_PT11_llS8_llS6_PT12_llPT13_lli
		.amdhsa_group_segment_fixed_size 1024
		.amdhsa_private_segment_fixed_size 0
		.amdhsa_kernarg_size 140
		.amdhsa_user_sgpr_count 2
		.amdhsa_user_sgpr_dispatch_ptr 0
		.amdhsa_user_sgpr_queue_ptr 0
		.amdhsa_user_sgpr_kernarg_segment_ptr 1
		.amdhsa_user_sgpr_dispatch_id 0
		.amdhsa_user_sgpr_kernarg_preload_length 0
		.amdhsa_user_sgpr_kernarg_preload_offset 0
		.amdhsa_user_sgpr_private_segment_size 0
		.amdhsa_uses_dynamic_stack 0
		.amdhsa_enable_private_segment 0
		.amdhsa_system_sgpr_workgroup_id_x 1
		.amdhsa_system_sgpr_workgroup_id_y 1
		.amdhsa_system_sgpr_workgroup_id_z 1
		.amdhsa_system_sgpr_workgroup_info 0
		.amdhsa_system_vgpr_workitem_id 1
		.amdhsa_next_free_vgpr 44
		.amdhsa_next_free_sgpr 48
		.amdhsa_accum_offset 44
		.amdhsa_reserve_vcc 1
		.amdhsa_float_round_mode_32 0
		.amdhsa_float_round_mode_16_64 0
		.amdhsa_float_denorm_mode_32 3
		.amdhsa_float_denorm_mode_16_64 3
		.amdhsa_dx10_clamp 1
		.amdhsa_ieee_mode 1
		.amdhsa_fp16_overflow 0
		.amdhsa_tg_split 0
		.amdhsa_exception_fp_ieee_invalid_op 0
		.amdhsa_exception_fp_denorm_src 0
		.amdhsa_exception_fp_ieee_div_zero 0
		.amdhsa_exception_fp_ieee_overflow 0
		.amdhsa_exception_fp_ieee_underflow 0
		.amdhsa_exception_fp_ieee_inexact 0
		.amdhsa_exception_int_div_zero 0
	.end_amdhsa_kernel
	.section	.text._ZN12_GLOBAL__N_135rocblas_gemm_batched_general_kernelIDF16_Li16ELi16ELi32ELi32ELi8ELi32ELi8ELi8ELi32ELc78ELc84EKPKDF16_S3_KPDF16_EEvlllT_PT11_llS8_llS6_PT12_llPT13_lli,"axG",@progbits,_ZN12_GLOBAL__N_135rocblas_gemm_batched_general_kernelIDF16_Li16ELi16ELi32ELi32ELi8ELi32ELi8ELi8ELi32ELc78ELc84EKPKDF16_S3_KPDF16_EEvlllT_PT11_llS8_llS6_PT12_llPT13_lli,comdat
.Lfunc_end167:
	.size	_ZN12_GLOBAL__N_135rocblas_gemm_batched_general_kernelIDF16_Li16ELi16ELi32ELi32ELi8ELi32ELi8ELi8ELi32ELc78ELc84EKPKDF16_S3_KPDF16_EEvlllT_PT11_llS8_llS6_PT12_llPT13_lli, .Lfunc_end167-_ZN12_GLOBAL__N_135rocblas_gemm_batched_general_kernelIDF16_Li16ELi16ELi32ELi32ELi8ELi32ELi8ELi8ELi32ELc78ELc84EKPKDF16_S3_KPDF16_EEvlllT_PT11_llS8_llS6_PT12_llPT13_lli
                                        ; -- End function
	.set _ZN12_GLOBAL__N_135rocblas_gemm_batched_general_kernelIDF16_Li16ELi16ELi32ELi32ELi8ELi32ELi8ELi8ELi32ELc78ELc84EKPKDF16_S3_KPDF16_EEvlllT_PT11_llS8_llS6_PT12_llPT13_lli.num_vgpr, 44
	.set _ZN12_GLOBAL__N_135rocblas_gemm_batched_general_kernelIDF16_Li16ELi16ELi32ELi32ELi8ELi32ELi8ELi8ELi32ELc78ELc84EKPKDF16_S3_KPDF16_EEvlllT_PT11_llS8_llS6_PT12_llPT13_lli.num_agpr, 0
	.set _ZN12_GLOBAL__N_135rocblas_gemm_batched_general_kernelIDF16_Li16ELi16ELi32ELi32ELi8ELi32ELi8ELi8ELi32ELc78ELc84EKPKDF16_S3_KPDF16_EEvlllT_PT11_llS8_llS6_PT12_llPT13_lli.numbered_sgpr, 48
	.set _ZN12_GLOBAL__N_135rocblas_gemm_batched_general_kernelIDF16_Li16ELi16ELi32ELi32ELi8ELi32ELi8ELi8ELi32ELc78ELc84EKPKDF16_S3_KPDF16_EEvlllT_PT11_llS8_llS6_PT12_llPT13_lli.num_named_barrier, 0
	.set _ZN12_GLOBAL__N_135rocblas_gemm_batched_general_kernelIDF16_Li16ELi16ELi32ELi32ELi8ELi32ELi8ELi8ELi32ELc78ELc84EKPKDF16_S3_KPDF16_EEvlllT_PT11_llS8_llS6_PT12_llPT13_lli.private_seg_size, 0
	.set _ZN12_GLOBAL__N_135rocblas_gemm_batched_general_kernelIDF16_Li16ELi16ELi32ELi32ELi8ELi32ELi8ELi8ELi32ELc78ELc84EKPKDF16_S3_KPDF16_EEvlllT_PT11_llS8_llS6_PT12_llPT13_lli.uses_vcc, 1
	.set _ZN12_GLOBAL__N_135rocblas_gemm_batched_general_kernelIDF16_Li16ELi16ELi32ELi32ELi8ELi32ELi8ELi8ELi32ELc78ELc84EKPKDF16_S3_KPDF16_EEvlllT_PT11_llS8_llS6_PT12_llPT13_lli.uses_flat_scratch, 0
	.set _ZN12_GLOBAL__N_135rocblas_gemm_batched_general_kernelIDF16_Li16ELi16ELi32ELi32ELi8ELi32ELi8ELi8ELi32ELc78ELc84EKPKDF16_S3_KPDF16_EEvlllT_PT11_llS8_llS6_PT12_llPT13_lli.has_dyn_sized_stack, 0
	.set _ZN12_GLOBAL__N_135rocblas_gemm_batched_general_kernelIDF16_Li16ELi16ELi32ELi32ELi8ELi32ELi8ELi8ELi32ELc78ELc84EKPKDF16_S3_KPDF16_EEvlllT_PT11_llS8_llS6_PT12_llPT13_lli.has_recursion, 0
	.set _ZN12_GLOBAL__N_135rocblas_gemm_batched_general_kernelIDF16_Li16ELi16ELi32ELi32ELi8ELi32ELi8ELi8ELi32ELc78ELc84EKPKDF16_S3_KPDF16_EEvlllT_PT11_llS8_llS6_PT12_llPT13_lli.has_indirect_call, 0
	.section	.AMDGPU.csdata,"",@progbits
; Kernel info:
; codeLenInByte = 1720
; TotalNumSgprs: 54
; NumVgprs: 44
; NumAgprs: 0
; TotalNumVgprs: 44
; ScratchSize: 0
; MemoryBound: 0
; FloatMode: 240
; IeeeMode: 1
; LDSByteSize: 1024 bytes/workgroup (compile time only)
; SGPRBlocks: 6
; VGPRBlocks: 5
; NumSGPRsForWavesPerEU: 54
; NumVGPRsForWavesPerEU: 44
; AccumOffset: 44
; Occupancy: 8
; WaveLimiterHint : 1
; COMPUTE_PGM_RSRC2:SCRATCH_EN: 0
; COMPUTE_PGM_RSRC2:USER_SGPR: 2
; COMPUTE_PGM_RSRC2:TRAP_HANDLER: 0
; COMPUTE_PGM_RSRC2:TGID_X_EN: 1
; COMPUTE_PGM_RSRC2:TGID_Y_EN: 1
; COMPUTE_PGM_RSRC2:TGID_Z_EN: 1
; COMPUTE_PGM_RSRC2:TIDIG_COMP_CNT: 1
; COMPUTE_PGM_RSRC3_GFX90A:ACCUM_OFFSET: 10
; COMPUTE_PGM_RSRC3_GFX90A:TG_SPLIT: 0
	.section	.text._ZN12_GLOBAL__N_135rocblas_gemm_batched_general_kernelIDF16_Li16ELi16ELi32ELi32ELi8ELi32ELi8ELi8ELi32ELc84ELc84EKPKDF16_S3_KPDF16_EEvlllT_PT11_llS8_llS6_PT12_llPT13_lli,"axG",@progbits,_ZN12_GLOBAL__N_135rocblas_gemm_batched_general_kernelIDF16_Li16ELi16ELi32ELi32ELi8ELi32ELi8ELi8ELi32ELc84ELc84EKPKDF16_S3_KPDF16_EEvlllT_PT11_llS8_llS6_PT12_llPT13_lli,comdat
	.globl	_ZN12_GLOBAL__N_135rocblas_gemm_batched_general_kernelIDF16_Li16ELi16ELi32ELi32ELi8ELi32ELi8ELi8ELi32ELc84ELc84EKPKDF16_S3_KPDF16_EEvlllT_PT11_llS8_llS6_PT12_llPT13_lli ; -- Begin function _ZN12_GLOBAL__N_135rocblas_gemm_batched_general_kernelIDF16_Li16ELi16ELi32ELi32ELi8ELi32ELi8ELi8ELi32ELc84ELc84EKPKDF16_S3_KPDF16_EEvlllT_PT11_llS8_llS6_PT12_llPT13_lli
	.p2align	8
	.type	_ZN12_GLOBAL__N_135rocblas_gemm_batched_general_kernelIDF16_Li16ELi16ELi32ELi32ELi8ELi32ELi8ELi8ELi32ELc84ELc84EKPKDF16_S3_KPDF16_EEvlllT_PT11_llS8_llS6_PT12_llPT13_lli,@function
_ZN12_GLOBAL__N_135rocblas_gemm_batched_general_kernelIDF16_Li16ELi16ELi32ELi32ELi8ELi32ELi8ELi8ELi32ELc84ELc84EKPKDF16_S3_KPDF16_EEvlllT_PT11_llS8_llS6_PT12_llPT13_lli: ; @_ZN12_GLOBAL__N_135rocblas_gemm_batched_general_kernelIDF16_Li16ELi16ELi32ELi32ELi8ELi32ELi8ELi8ELi32ELc84ELc84EKPKDF16_S3_KPDF16_EEvlllT_PT11_llS8_llS6_PT12_llPT13_lli
; %bb.0:
	s_load_dwordx4 s[28:31], s[0:1], 0x0
	s_load_dwordx2 s[34:35], s[0:1], 0x10
	s_load_dwordx4 s[24:27], s[0:1], 0x78
	s_load_dwordx8 s[8:15], s[0:1], 0x58
	s_mov_b32 s5, 0
	s_lshl_b64 s[4:5], s[4:5], 3
	s_mov_b32 s42, s3
	v_mov_b32_e32 v1, 0
	s_waitcnt lgkmcnt(0)
	s_add_u32 s6, s8, s4
	s_addc_u32 s7, s9, s5
	s_add_u32 s8, s14, s4
	s_addc_u32 s9, s15, s5
	s_load_dwordx2 s[6:7], s[6:7], 0x0
	s_ashr_i32 s3, s2, 31
	s_load_dwordx2 s[14:15], s[8:9], 0x0
	s_lshl_b64 s[8:9], s[2:3], 5
	s_ashr_i32 s43, s42, 31
	v_cmp_lt_i64_e64 s[2:3], s[34:35], 1
	v_and_b32_e32 v2, 0x3ff, v0
	v_bfe_u32 v0, v0, 10, 10
	v_mov_b32_e32 v3, v1
	s_lshl_b64 s[40:41], s[42:43], 5
	s_and_b64 vcc, exec, s[2:3]
	s_cbranch_vccnz .LBB168_7
; %bb.1:
	s_load_dwordx8 s[16:23], s[0:1], 0x20
	s_load_dwordx4 s[36:39], s[0:1], 0x40
	v_lshlrev_b32_e32 v19, 4, v0
	v_add_u32_e32 v12, v19, v2
	v_lshrrev_b32_e32 v8, 3, v12
	s_waitcnt lgkmcnt(0)
	s_add_u32 s2, s22, s4
	s_addc_u32 s3, s23, s5
	v_mov_b32_e32 v9, v1
	v_lshrrev_b32_e32 v4, 5, v12
	v_and_b32_e32 v6, 7, v2
	s_load_dwordx2 s[22:23], s[2:3], 0x0
	s_add_u32 s2, s16, s4
	v_lshl_add_u64 v[10:11], v[8:9], 0, s[40:41]
	v_and_b32_e32 v12, 31, v12
	s_addc_u32 s3, s17, s5
	v_or_b32_e32 v14, s8, v12
	v_mov_b32_e32 v15, s9
	v_cmp_gt_i64_e64 s[4:5], s[30:31], v[10:11]
	v_mad_u64_u32 v[10:11], s[16:17], s36, v6, 0
	s_load_dwordx2 s[44:45], s[2:3], 0x0
	v_cmp_gt_i64_e64 s[2:3], s[28:29], v[14:15]
	v_mov_b32_e32 v14, v11
	v_mad_u64_u32 v[14:15], s[16:17], s37, v6, v[14:15]
	v_lshlrev_b32_e32 v9, 1, v12
	s_lshl_b64 s[16:17], s[42:43], 6
	s_lshl_b64 s[38:39], s[38:39], 1
	v_lshl_or_b32 v16, v4, 6, v9
	v_lshlrev_b32_e32 v9, 1, v6
	s_add_u32 s16, s38, s16
	v_lshl_or_b32 v9, v8, 4, v9
	v_mov_b32_e32 v11, v14
	s_addc_u32 s17, s39, s17
	v_mov_b32_e32 v13, v1
	v_add_u32_e32 v17, 0x200, v9
	v_lshl_add_u64 v[10:11], v[10:11], 1, s[16:17]
	v_lshlrev_b32_e32 v8, 1, v8
	v_mov_b32_e32 v9, v1
	v_lshl_add_u64 v[8:9], v[10:11], 0, v[8:9]
	v_lshl_add_u64 v[10:11], s[8:9], 0, v[12:13]
	v_mul_lo_u32 v12, s19, v10
	v_mul_lo_u32 v13, s18, v11
	v_mad_u64_u32 v[10:11], s[18:19], s18, v10, 0
	v_add3_u32 v11, v11, v13, v12
	s_lshl_b64 s[18:19], s[20:21], 1
	v_lshl_add_u64 v[10:11], v[10:11], 1, s[18:19]
	v_lshlrev_b32_e32 v12, 1, v4
	v_mov_b32_e32 v13, v1
	v_lshl_add_u64 v[10:11], v[10:11], 0, v[12:13]
	v_mov_b32_e32 v5, v1
	v_mov_b32_e32 v7, v1
	v_lshlrev_b32_e32 v18, 1, v2
	v_add_u32_e32 v19, 0x200, v19
	s_waitcnt lgkmcnt(0)
	v_lshl_add_u64 v[8:9], s[22:23], 0, v[8:9]
	s_lshl_b64 s[16:17], s[36:37], 4
	v_lshl_add_u64 v[10:11], s[44:45], 0, v[10:11]
	s_mov_b64 s[18:19], 0
	s_mov_b32 s22, 0x5040100
	v_mov_b64_e32 v[12:13], s[34:35]
	v_mov_b32_e32 v15, v1
	v_mov_b32_e32 v14, v1
	s_branch .LBB168_3
.LBB168_2:                              ;   in Loop: Header=BB168_3 Depth=1
	s_or_b64 exec, exec, s[20:21]
	s_waitcnt vmcnt(0) lgkmcnt(0)
	ds_write_b16 v17, v20
	s_waitcnt lgkmcnt(0)
	s_barrier
	ds_read_u16 v28, v18
	ds_read_u16 v29, v18 offset:32
	ds_read_u16 v30, v18 offset:64
	;; [unrolled: 1-line block ×7, first 2 shown]
	ds_read_b128 v[20:23], v19
	ds_read_b128 v[24:27], v19 offset:256
	ds_read_u16 v36, v18 offset:256
	ds_read_u16 v37, v18 offset:288
	;; [unrolled: 1-line block ×8, first 2 shown]
	s_waitcnt lgkmcnt(14)
	v_perm_b32 v28, v29, v28, s22
	s_waitcnt lgkmcnt(8)
	v_pk_fma_f16 v14, v28, v24, v14 op_sel_hi:[1,0,1]
	v_pk_fma_f16 v15, v28, v20, v15 op_sel_hi:[1,0,1]
	v_perm_b32 v28, v31, v30, s22
	v_pk_fma_f16 v15, v28, v20, v15 op_sel:[0,1,0]
	v_pk_fma_f16 v14, v28, v24, v14 op_sel:[0,1,0]
	v_perm_b32 v20, v33, v32, s22
	v_pk_fma_f16 v14, v20, v25, v14 op_sel_hi:[1,0,1]
	v_pk_fma_f16 v15, v20, v21, v15 op_sel_hi:[1,0,1]
	v_perm_b32 v20, v35, v34, s22
	v_pk_fma_f16 v15, v20, v21, v15 op_sel:[0,1,0]
	v_pk_fma_f16 v14, v20, v25, v14 op_sel:[0,1,0]
	s_waitcnt lgkmcnt(6)
	v_perm_b32 v20, v37, v36, s22
	v_pk_fma_f16 v14, v20, v26, v14 op_sel_hi:[1,0,1]
	v_pk_fma_f16 v15, v20, v22, v15 op_sel_hi:[1,0,1]
	s_waitcnt lgkmcnt(4)
	v_perm_b32 v20, v39, v38, s22
	s_add_u32 s18, s18, 8
	v_pk_fma_f16 v15, v20, v22, v15 op_sel:[0,1,0]
	v_pk_fma_f16 v14, v20, v26, v14 op_sel:[0,1,0]
	s_waitcnt lgkmcnt(2)
	v_perm_b32 v20, v41, v40, s22
	s_addc_u32 s19, s19, 0
	v_pk_fma_f16 v14, v20, v27, v14 op_sel_hi:[1,0,1]
	v_pk_fma_f16 v15, v20, v23, v15 op_sel_hi:[1,0,1]
	s_waitcnt lgkmcnt(0)
	v_perm_b32 v20, v43, v42, s22
	v_cmp_lt_i64_e32 vcc, s[18:19], v[12:13]
	v_pk_fma_f16 v15, v20, v23, v15 op_sel:[0,1,0]
	v_pk_fma_f16 v14, v20, v27, v14 op_sel:[0,1,0]
	v_lshl_add_u64 v[8:9], v[8:9], 0, s[16:17]
	v_lshl_add_u64 v[10:11], v[10:11], 0, 16
	s_barrier
	s_cbranch_vccz .LBB168_8
.LBB168_3:                              ; =>This Inner Loop Header: Depth=1
	v_lshl_add_u64 v[20:21], v[4:5], 0, s[18:19]
	v_cmp_gt_i64_e32 vcc, s[34:35], v[20:21]
	s_and_b64 s[36:37], s[2:3], vcc
	v_mov_b32_e32 v20, 0
	v_mov_b32_e32 v21, 0
	s_and_saveexec_b64 s[20:21], s[36:37]
	s_cbranch_execz .LBB168_5
; %bb.4:                                ;   in Loop: Header=BB168_3 Depth=1
	flat_load_ushort v21, v[10:11]
.LBB168_5:                              ;   in Loop: Header=BB168_3 Depth=1
	s_or_b64 exec, exec, s[20:21]
	v_lshl_add_u64 v[22:23], v[6:7], 0, s[18:19]
	v_cmp_gt_i64_e32 vcc, s[34:35], v[22:23]
	s_and_b64 s[36:37], vcc, s[4:5]
	s_waitcnt vmcnt(0) lgkmcnt(0)
	ds_write_b16 v16, v21
	s_and_saveexec_b64 s[20:21], s[36:37]
	s_cbranch_execz .LBB168_2
; %bb.6:                                ;   in Loop: Header=BB168_3 Depth=1
	flat_load_ushort v20, v[8:9]
	s_branch .LBB168_2
.LBB168_7:
	v_mov_b32_e32 v14, v1
	v_mov_b32_e32 v15, v1
.LBB168_8:
	s_load_dword s18, s[0:1], 0x18
	s_load_dword s19, s[0:1], 0x50
	s_lshl_b64 s[0:1], s[26:27], 1
	s_waitcnt lgkmcnt(0)
	s_add_u32 s14, s14, s0
	v_lshl_add_u64 v[0:1], s[40:41], 0, v[0:1]
	s_addc_u32 s15, s15, s1
	v_cmp_neq_f16_e64 s[2:3], s19, 0
	v_cmp_gt_i64_e64 s[0:1], s[30:31], v[0:1]
	s_and_b64 vcc, exec, s[2:3]
	s_cbranch_vccnz .LBB168_21
; %bb.9:
	s_and_saveexec_b64 s[16:17], s[0:1]
	s_cbranch_execz .LBB168_19
; %bb.10:
	v_mul_lo_u32 v8, v1, s24
	v_mul_lo_u32 v9, v0, s25
	v_mad_u64_u32 v[6:7], s[2:3], v0, s24, 0
	v_add3_u32 v7, v7, v9, v8
	v_lshl_add_u64 v[4:5], s[8:9], 0, v[2:3]
	v_lshl_add_u64 v[6:7], v[6:7], 1, s[14:15]
	v_cmp_gt_i64_e32 vcc, s[28:29], v[4:5]
	v_lshl_add_u64 v[8:9], v[4:5], 1, v[6:7]
	s_and_saveexec_b64 s[2:3], vcc
	s_cbranch_execz .LBB168_12
; %bb.11:
	v_mul_f16_e32 v10, s18, v15
	flat_store_short v[8:9], v10
.LBB168_12:
	s_or_b64 exec, exec, s[2:3]
	v_lshl_add_u64 v[10:11], v[4:5], 0, 16
	v_cmp_gt_i64_e64 s[2:3], s[28:29], v[10:11]
	s_and_saveexec_b64 s[4:5], s[2:3]
	s_cbranch_execz .LBB168_14
; %bb.13:
	v_mul_f16_sdwa v10, s18, v15 dst_sel:DWORD dst_unused:UNUSED_PAD src0_sel:DWORD src1_sel:WORD_1
	flat_store_short v[8:9], v10 offset:32
.LBB168_14:
	s_or_b64 exec, exec, s[4:5]
	v_lshl_add_u64 v[8:9], v[0:1], 0, 16
	v_cmp_gt_i64_e64 s[4:5], s[30:31], v[8:9]
	s_and_b64 exec, exec, s[4:5]
	s_cbranch_execz .LBB168_19
; %bb.15:
	s_lshl_b64 s[4:5], s[24:25], 5
	v_lshl_add_u64 v[6:7], v[6:7], 0, s[4:5]
	v_lshl_add_u64 v[4:5], v[4:5], 1, v[6:7]
	s_and_saveexec_b64 s[4:5], vcc
	s_cbranch_execz .LBB168_17
; %bb.16:
	v_mul_f16_e32 v6, s18, v14
	flat_store_short v[4:5], v6
.LBB168_17:
	s_or_b64 exec, exec, s[4:5]
	s_and_b64 exec, exec, s[2:3]
	s_cbranch_execz .LBB168_19
; %bb.18:
	v_mul_f16_sdwa v6, s18, v14 dst_sel:DWORD dst_unused:UNUSED_PAD src0_sel:DWORD src1_sel:WORD_1
	flat_store_short v[4:5], v6 offset:32
.LBB168_19:
	s_or_b64 exec, exec, s[16:17]
	s_cbranch_execz .LBB168_22
.LBB168_20:
	s_endpgm
.LBB168_21:
.LBB168_22:
	s_and_saveexec_b64 s[2:3], s[0:1]
	s_cbranch_execz .LBB168_20
; %bb.23:
	s_lshl_b64 s[0:1], s[12:13], 1
	v_lshl_add_u64 v[8:9], s[8:9], 0, v[2:3]
	v_mul_lo_u32 v4, v1, s10
	v_mul_lo_u32 v5, v0, s11
	v_mad_u64_u32 v[2:3], s[2:3], v0, s10, 0
	s_add_u32 s0, s6, s0
	v_add3_u32 v3, v3, v5, v4
	v_mul_lo_u32 v6, v1, s24
	v_mul_lo_u32 v7, v0, s25
	v_mad_u64_u32 v[4:5], s[2:3], v0, s24, 0
	s_addc_u32 s1, s7, s1
	v_add3_u32 v5, v5, v7, v6
	v_cmp_gt_i64_e32 vcc, s[28:29], v[8:9]
	v_lshl_add_u64 v[6:7], v[2:3], 1, s[0:1]
	v_lshl_add_u64 v[4:5], v[4:5], 1, s[14:15]
	v_lshlrev_b64 v[2:3], 1, v[8:9]
	s_and_saveexec_b64 s[0:1], vcc
	s_cbranch_execz .LBB168_25
; %bb.24:
	v_lshl_add_u64 v[10:11], v[6:7], 0, v[2:3]
	flat_load_ushort v10, v[10:11]
	s_waitcnt vmcnt(0) lgkmcnt(0)
	v_mul_f16_e32 v10, s19, v10
	v_fma_f16 v12, s18, v15, v10
	v_lshl_add_u64 v[10:11], v[4:5], 0, v[2:3]
	flat_store_short v[10:11], v12
.LBB168_25:
	s_or_b64 exec, exec, s[0:1]
	v_lshl_add_u64 v[8:9], v[8:9], 0, 16
	v_cmp_gt_i64_e64 s[0:1], s[28:29], v[8:9]
	s_and_saveexec_b64 s[2:3], s[0:1]
	s_cbranch_execz .LBB168_27
; %bb.26:
	v_lshl_add_u64 v[8:9], v[6:7], 0, v[2:3]
	flat_load_ushort v8, v[8:9] offset:32
	v_lshrrev_b32_e32 v9, 16, v15
	s_waitcnt vmcnt(0) lgkmcnt(0)
	v_mul_f16_e32 v8, s19, v8
	v_fma_f16 v10, s18, v9, v8
	v_lshl_add_u64 v[8:9], v[4:5], 0, v[2:3]
	flat_store_short v[8:9], v10 offset:32
.LBB168_27:
	s_or_b64 exec, exec, s[2:3]
	v_lshl_add_u64 v[0:1], v[0:1], 0, 16
	v_cmp_gt_i64_e64 s[2:3], s[30:31], v[0:1]
	s_and_b64 exec, exec, s[2:3]
	s_cbranch_execz .LBB168_20
; %bb.28:
	s_lshl_b64 s[2:3], s[10:11], 5
	v_lshl_add_u64 v[0:1], v[6:7], 0, s[2:3]
	s_lshl_b64 s[2:3], s[24:25], 5
	v_lshl_add_u64 v[6:7], v[4:5], 0, s[2:3]
	v_lshl_add_u64 v[4:5], v[0:1], 0, v[2:3]
	;; [unrolled: 1-line block ×3, first 2 shown]
	s_and_saveexec_b64 s[2:3], vcc
	s_cbranch_execz .LBB168_30
; %bb.29:
	flat_load_ushort v2, v[4:5]
	s_waitcnt vmcnt(0) lgkmcnt(0)
	v_mul_f16_e32 v2, s19, v2
	v_fma_f16 v2, s18, v14, v2
	flat_store_short v[0:1], v2
.LBB168_30:
	s_or_b64 exec, exec, s[2:3]
	s_and_b64 exec, exec, s[0:1]
	s_cbranch_execz .LBB168_20
; %bb.31:
	flat_load_ushort v2, v[4:5] offset:32
	v_lshrrev_b32_e32 v3, 16, v14
	s_waitcnt vmcnt(0) lgkmcnt(0)
	v_mul_f16_e32 v2, s19, v2
	v_fma_f16 v2, s18, v3, v2
	flat_store_short v[0:1], v2 offset:32
	s_endpgm
	.section	.rodata,"a",@progbits
	.p2align	6, 0x0
	.amdhsa_kernel _ZN12_GLOBAL__N_135rocblas_gemm_batched_general_kernelIDF16_Li16ELi16ELi32ELi32ELi8ELi32ELi8ELi8ELi32ELc84ELc84EKPKDF16_S3_KPDF16_EEvlllT_PT11_llS8_llS6_PT12_llPT13_lli
		.amdhsa_group_segment_fixed_size 1024
		.amdhsa_private_segment_fixed_size 0
		.amdhsa_kernarg_size 140
		.amdhsa_user_sgpr_count 2
		.amdhsa_user_sgpr_dispatch_ptr 0
		.amdhsa_user_sgpr_queue_ptr 0
		.amdhsa_user_sgpr_kernarg_segment_ptr 1
		.amdhsa_user_sgpr_dispatch_id 0
		.amdhsa_user_sgpr_kernarg_preload_length 0
		.amdhsa_user_sgpr_kernarg_preload_offset 0
		.amdhsa_user_sgpr_private_segment_size 0
		.amdhsa_uses_dynamic_stack 0
		.amdhsa_enable_private_segment 0
		.amdhsa_system_sgpr_workgroup_id_x 1
		.amdhsa_system_sgpr_workgroup_id_y 1
		.amdhsa_system_sgpr_workgroup_id_z 1
		.amdhsa_system_sgpr_workgroup_info 0
		.amdhsa_system_vgpr_workitem_id 1
		.amdhsa_next_free_vgpr 44
		.amdhsa_next_free_sgpr 46
		.amdhsa_accum_offset 44
		.amdhsa_reserve_vcc 1
		.amdhsa_float_round_mode_32 0
		.amdhsa_float_round_mode_16_64 0
		.amdhsa_float_denorm_mode_32 3
		.amdhsa_float_denorm_mode_16_64 3
		.amdhsa_dx10_clamp 1
		.amdhsa_ieee_mode 1
		.amdhsa_fp16_overflow 0
		.amdhsa_tg_split 0
		.amdhsa_exception_fp_ieee_invalid_op 0
		.amdhsa_exception_fp_denorm_src 0
		.amdhsa_exception_fp_ieee_div_zero 0
		.amdhsa_exception_fp_ieee_overflow 0
		.amdhsa_exception_fp_ieee_underflow 0
		.amdhsa_exception_fp_ieee_inexact 0
		.amdhsa_exception_int_div_zero 0
	.end_amdhsa_kernel
	.section	.text._ZN12_GLOBAL__N_135rocblas_gemm_batched_general_kernelIDF16_Li16ELi16ELi32ELi32ELi8ELi32ELi8ELi8ELi32ELc84ELc84EKPKDF16_S3_KPDF16_EEvlllT_PT11_llS8_llS6_PT12_llPT13_lli,"axG",@progbits,_ZN12_GLOBAL__N_135rocblas_gemm_batched_general_kernelIDF16_Li16ELi16ELi32ELi32ELi8ELi32ELi8ELi8ELi32ELc84ELc84EKPKDF16_S3_KPDF16_EEvlllT_PT11_llS8_llS6_PT12_llPT13_lli,comdat
.Lfunc_end168:
	.size	_ZN12_GLOBAL__N_135rocblas_gemm_batched_general_kernelIDF16_Li16ELi16ELi32ELi32ELi8ELi32ELi8ELi8ELi32ELc84ELc84EKPKDF16_S3_KPDF16_EEvlllT_PT11_llS8_llS6_PT12_llPT13_lli, .Lfunc_end168-_ZN12_GLOBAL__N_135rocblas_gemm_batched_general_kernelIDF16_Li16ELi16ELi32ELi32ELi8ELi32ELi8ELi8ELi32ELc84ELc84EKPKDF16_S3_KPDF16_EEvlllT_PT11_llS8_llS6_PT12_llPT13_lli
                                        ; -- End function
	.set _ZN12_GLOBAL__N_135rocblas_gemm_batched_general_kernelIDF16_Li16ELi16ELi32ELi32ELi8ELi32ELi8ELi8ELi32ELc84ELc84EKPKDF16_S3_KPDF16_EEvlllT_PT11_llS8_llS6_PT12_llPT13_lli.num_vgpr, 44
	.set _ZN12_GLOBAL__N_135rocblas_gemm_batched_general_kernelIDF16_Li16ELi16ELi32ELi32ELi8ELi32ELi8ELi8ELi32ELc84ELc84EKPKDF16_S3_KPDF16_EEvlllT_PT11_llS8_llS6_PT12_llPT13_lli.num_agpr, 0
	.set _ZN12_GLOBAL__N_135rocblas_gemm_batched_general_kernelIDF16_Li16ELi16ELi32ELi32ELi8ELi32ELi8ELi8ELi32ELc84ELc84EKPKDF16_S3_KPDF16_EEvlllT_PT11_llS8_llS6_PT12_llPT13_lli.numbered_sgpr, 46
	.set _ZN12_GLOBAL__N_135rocblas_gemm_batched_general_kernelIDF16_Li16ELi16ELi32ELi32ELi8ELi32ELi8ELi8ELi32ELc84ELc84EKPKDF16_S3_KPDF16_EEvlllT_PT11_llS8_llS6_PT12_llPT13_lli.num_named_barrier, 0
	.set _ZN12_GLOBAL__N_135rocblas_gemm_batched_general_kernelIDF16_Li16ELi16ELi32ELi32ELi8ELi32ELi8ELi8ELi32ELc84ELc84EKPKDF16_S3_KPDF16_EEvlllT_PT11_llS8_llS6_PT12_llPT13_lli.private_seg_size, 0
	.set _ZN12_GLOBAL__N_135rocblas_gemm_batched_general_kernelIDF16_Li16ELi16ELi32ELi32ELi8ELi32ELi8ELi8ELi32ELc84ELc84EKPKDF16_S3_KPDF16_EEvlllT_PT11_llS8_llS6_PT12_llPT13_lli.uses_vcc, 1
	.set _ZN12_GLOBAL__N_135rocblas_gemm_batched_general_kernelIDF16_Li16ELi16ELi32ELi32ELi8ELi32ELi8ELi8ELi32ELc84ELc84EKPKDF16_S3_KPDF16_EEvlllT_PT11_llS8_llS6_PT12_llPT13_lli.uses_flat_scratch, 0
	.set _ZN12_GLOBAL__N_135rocblas_gemm_batched_general_kernelIDF16_Li16ELi16ELi32ELi32ELi8ELi32ELi8ELi8ELi32ELc84ELc84EKPKDF16_S3_KPDF16_EEvlllT_PT11_llS8_llS6_PT12_llPT13_lli.has_dyn_sized_stack, 0
	.set _ZN12_GLOBAL__N_135rocblas_gemm_batched_general_kernelIDF16_Li16ELi16ELi32ELi32ELi8ELi32ELi8ELi8ELi32ELc84ELc84EKPKDF16_S3_KPDF16_EEvlllT_PT11_llS8_llS6_PT12_llPT13_lli.has_recursion, 0
	.set _ZN12_GLOBAL__N_135rocblas_gemm_batched_general_kernelIDF16_Li16ELi16ELi32ELi32ELi8ELi32ELi8ELi8ELi32ELc84ELc84EKPKDF16_S3_KPDF16_EEvlllT_PT11_llS8_llS6_PT12_llPT13_lli.has_indirect_call, 0
	.section	.AMDGPU.csdata,"",@progbits
; Kernel info:
; codeLenInByte = 1728
; TotalNumSgprs: 52
; NumVgprs: 44
; NumAgprs: 0
; TotalNumVgprs: 44
; ScratchSize: 0
; MemoryBound: 0
; FloatMode: 240
; IeeeMode: 1
; LDSByteSize: 1024 bytes/workgroup (compile time only)
; SGPRBlocks: 6
; VGPRBlocks: 5
; NumSGPRsForWavesPerEU: 52
; NumVGPRsForWavesPerEU: 44
; AccumOffset: 44
; Occupancy: 8
; WaveLimiterHint : 1
; COMPUTE_PGM_RSRC2:SCRATCH_EN: 0
; COMPUTE_PGM_RSRC2:USER_SGPR: 2
; COMPUTE_PGM_RSRC2:TRAP_HANDLER: 0
; COMPUTE_PGM_RSRC2:TGID_X_EN: 1
; COMPUTE_PGM_RSRC2:TGID_Y_EN: 1
; COMPUTE_PGM_RSRC2:TGID_Z_EN: 1
; COMPUTE_PGM_RSRC2:TIDIG_COMP_CNT: 1
; COMPUTE_PGM_RSRC3_GFX90A:ACCUM_OFFSET: 10
; COMPUTE_PGM_RSRC3_GFX90A:TG_SPLIT: 0
	.section	.text._ZN12_GLOBAL__N_135rocblas_gemm_batched_general_kernelIDF16_Li16ELi16ELi32ELi32ELi8ELi32ELi8ELi8ELi32ELc67ELc67EKPKDF16_S3_KPDF16_EEvlllT_PT11_llS8_llS6_PT12_llPT13_lli,"axG",@progbits,_ZN12_GLOBAL__N_135rocblas_gemm_batched_general_kernelIDF16_Li16ELi16ELi32ELi32ELi8ELi32ELi8ELi8ELi32ELc67ELc67EKPKDF16_S3_KPDF16_EEvlllT_PT11_llS8_llS6_PT12_llPT13_lli,comdat
	.globl	_ZN12_GLOBAL__N_135rocblas_gemm_batched_general_kernelIDF16_Li16ELi16ELi32ELi32ELi8ELi32ELi8ELi8ELi32ELc67ELc67EKPKDF16_S3_KPDF16_EEvlllT_PT11_llS8_llS6_PT12_llPT13_lli ; -- Begin function _ZN12_GLOBAL__N_135rocblas_gemm_batched_general_kernelIDF16_Li16ELi16ELi32ELi32ELi8ELi32ELi8ELi8ELi32ELc67ELc67EKPKDF16_S3_KPDF16_EEvlllT_PT11_llS8_llS6_PT12_llPT13_lli
	.p2align	8
	.type	_ZN12_GLOBAL__N_135rocblas_gemm_batched_general_kernelIDF16_Li16ELi16ELi32ELi32ELi8ELi32ELi8ELi8ELi32ELc67ELc67EKPKDF16_S3_KPDF16_EEvlllT_PT11_llS8_llS6_PT12_llPT13_lli,@function
_ZN12_GLOBAL__N_135rocblas_gemm_batched_general_kernelIDF16_Li16ELi16ELi32ELi32ELi8ELi32ELi8ELi8ELi32ELc67ELc67EKPKDF16_S3_KPDF16_EEvlllT_PT11_llS8_llS6_PT12_llPT13_lli: ; @_ZN12_GLOBAL__N_135rocblas_gemm_batched_general_kernelIDF16_Li16ELi16ELi32ELi32ELi8ELi32ELi8ELi8ELi32ELc67ELc67EKPKDF16_S3_KPDF16_EEvlllT_PT11_llS8_llS6_PT12_llPT13_lli
; %bb.0:
	s_load_dwordx4 s[28:31], s[0:1], 0x0
	s_load_dwordx2 s[34:35], s[0:1], 0x10
	s_load_dwordx4 s[24:27], s[0:1], 0x78
	s_load_dwordx8 s[8:15], s[0:1], 0x58
	s_mov_b32 s5, 0
	s_lshl_b64 s[4:5], s[4:5], 3
	s_mov_b32 s42, s3
	v_mov_b32_e32 v1, 0
	s_waitcnt lgkmcnt(0)
	s_add_u32 s6, s8, s4
	s_addc_u32 s7, s9, s5
	s_add_u32 s8, s14, s4
	s_addc_u32 s9, s15, s5
	s_load_dwordx2 s[6:7], s[6:7], 0x0
	s_ashr_i32 s3, s2, 31
	s_load_dwordx2 s[14:15], s[8:9], 0x0
	s_lshl_b64 s[8:9], s[2:3], 5
	s_ashr_i32 s43, s42, 31
	v_cmp_lt_i64_e64 s[2:3], s[34:35], 1
	v_and_b32_e32 v2, 0x3ff, v0
	v_bfe_u32 v0, v0, 10, 10
	v_mov_b32_e32 v3, v1
	s_lshl_b64 s[40:41], s[42:43], 5
	s_and_b64 vcc, exec, s[2:3]
	s_cbranch_vccnz .LBB169_7
; %bb.1:
	s_load_dwordx8 s[16:23], s[0:1], 0x20
	s_load_dwordx4 s[36:39], s[0:1], 0x40
	v_lshlrev_b32_e32 v19, 4, v0
	v_add_u32_e32 v12, v19, v2
	v_lshrrev_b32_e32 v8, 3, v12
	s_waitcnt lgkmcnt(0)
	s_add_u32 s2, s22, s4
	s_addc_u32 s3, s23, s5
	v_mov_b32_e32 v9, v1
	v_lshrrev_b32_e32 v4, 5, v12
	v_and_b32_e32 v6, 7, v2
	s_load_dwordx2 s[22:23], s[2:3], 0x0
	s_add_u32 s2, s16, s4
	v_lshl_add_u64 v[10:11], v[8:9], 0, s[40:41]
	v_and_b32_e32 v12, 31, v12
	s_addc_u32 s3, s17, s5
	v_or_b32_e32 v14, s8, v12
	v_mov_b32_e32 v15, s9
	v_cmp_gt_i64_e64 s[4:5], s[30:31], v[10:11]
	v_mad_u64_u32 v[10:11], s[16:17], s36, v6, 0
	s_load_dwordx2 s[44:45], s[2:3], 0x0
	v_cmp_gt_i64_e64 s[2:3], s[28:29], v[14:15]
	v_mov_b32_e32 v14, v11
	v_mad_u64_u32 v[14:15], s[16:17], s37, v6, v[14:15]
	v_lshlrev_b32_e32 v9, 1, v12
	s_lshl_b64 s[16:17], s[42:43], 6
	s_lshl_b64 s[38:39], s[38:39], 1
	v_lshl_or_b32 v16, v4, 6, v9
	v_lshlrev_b32_e32 v9, 1, v6
	s_add_u32 s16, s38, s16
	v_lshl_or_b32 v9, v8, 4, v9
	v_mov_b32_e32 v11, v14
	s_addc_u32 s17, s39, s17
	v_mov_b32_e32 v13, v1
	v_add_u32_e32 v17, 0x200, v9
	v_lshl_add_u64 v[10:11], v[10:11], 1, s[16:17]
	v_lshlrev_b32_e32 v8, 1, v8
	v_mov_b32_e32 v9, v1
	v_lshl_add_u64 v[8:9], v[10:11], 0, v[8:9]
	v_lshl_add_u64 v[10:11], s[8:9], 0, v[12:13]
	v_mul_lo_u32 v12, s19, v10
	v_mul_lo_u32 v13, s18, v11
	v_mad_u64_u32 v[10:11], s[18:19], s18, v10, 0
	v_add3_u32 v11, v11, v13, v12
	s_lshl_b64 s[18:19], s[20:21], 1
	v_lshl_add_u64 v[10:11], v[10:11], 1, s[18:19]
	v_lshlrev_b32_e32 v12, 1, v4
	v_mov_b32_e32 v13, v1
	v_lshl_add_u64 v[10:11], v[10:11], 0, v[12:13]
	v_mov_b32_e32 v5, v1
	v_mov_b32_e32 v7, v1
	v_lshlrev_b32_e32 v18, 1, v2
	v_add_u32_e32 v19, 0x200, v19
	s_waitcnt lgkmcnt(0)
	v_lshl_add_u64 v[8:9], s[22:23], 0, v[8:9]
	s_lshl_b64 s[16:17], s[36:37], 4
	v_lshl_add_u64 v[10:11], s[44:45], 0, v[10:11]
	s_mov_b64 s[18:19], 0
	s_mov_b32 s22, 0x5040100
	v_mov_b64_e32 v[12:13], s[34:35]
	v_mov_b32_e32 v15, v1
	v_mov_b32_e32 v14, v1
	s_branch .LBB169_3
.LBB169_2:                              ;   in Loop: Header=BB169_3 Depth=1
	s_or_b64 exec, exec, s[20:21]
	s_waitcnt vmcnt(0) lgkmcnt(0)
	ds_write_b16 v17, v20
	s_waitcnt lgkmcnt(0)
	s_barrier
	ds_read_u16 v28, v18
	ds_read_u16 v29, v18 offset:32
	ds_read_u16 v30, v18 offset:64
	;; [unrolled: 1-line block ×7, first 2 shown]
	ds_read_b128 v[20:23], v19
	ds_read_b128 v[24:27], v19 offset:256
	ds_read_u16 v36, v18 offset:256
	ds_read_u16 v37, v18 offset:288
	;; [unrolled: 1-line block ×8, first 2 shown]
	s_waitcnt lgkmcnt(14)
	v_perm_b32 v28, v29, v28, s22
	s_waitcnt lgkmcnt(8)
	v_pk_fma_f16 v14, v28, v24, v14 op_sel_hi:[1,0,1]
	v_pk_fma_f16 v15, v28, v20, v15 op_sel_hi:[1,0,1]
	v_perm_b32 v28, v31, v30, s22
	v_pk_fma_f16 v15, v28, v20, v15 op_sel:[0,1,0]
	v_pk_fma_f16 v14, v28, v24, v14 op_sel:[0,1,0]
	v_perm_b32 v20, v33, v32, s22
	v_pk_fma_f16 v14, v20, v25, v14 op_sel_hi:[1,0,1]
	v_pk_fma_f16 v15, v20, v21, v15 op_sel_hi:[1,0,1]
	v_perm_b32 v20, v35, v34, s22
	v_pk_fma_f16 v15, v20, v21, v15 op_sel:[0,1,0]
	v_pk_fma_f16 v14, v20, v25, v14 op_sel:[0,1,0]
	s_waitcnt lgkmcnt(6)
	v_perm_b32 v20, v37, v36, s22
	v_pk_fma_f16 v14, v20, v26, v14 op_sel_hi:[1,0,1]
	v_pk_fma_f16 v15, v20, v22, v15 op_sel_hi:[1,0,1]
	s_waitcnt lgkmcnt(4)
	v_perm_b32 v20, v39, v38, s22
	s_add_u32 s18, s18, 8
	v_pk_fma_f16 v15, v20, v22, v15 op_sel:[0,1,0]
	v_pk_fma_f16 v14, v20, v26, v14 op_sel:[0,1,0]
	s_waitcnt lgkmcnt(2)
	v_perm_b32 v20, v41, v40, s22
	s_addc_u32 s19, s19, 0
	v_pk_fma_f16 v14, v20, v27, v14 op_sel_hi:[1,0,1]
	v_pk_fma_f16 v15, v20, v23, v15 op_sel_hi:[1,0,1]
	s_waitcnt lgkmcnt(0)
	v_perm_b32 v20, v43, v42, s22
	v_cmp_lt_i64_e32 vcc, s[18:19], v[12:13]
	v_pk_fma_f16 v15, v20, v23, v15 op_sel:[0,1,0]
	v_pk_fma_f16 v14, v20, v27, v14 op_sel:[0,1,0]
	v_lshl_add_u64 v[8:9], v[8:9], 0, s[16:17]
	v_lshl_add_u64 v[10:11], v[10:11], 0, 16
	s_barrier
	s_cbranch_vccz .LBB169_8
.LBB169_3:                              ; =>This Inner Loop Header: Depth=1
	v_lshl_add_u64 v[20:21], v[4:5], 0, s[18:19]
	v_cmp_gt_i64_e32 vcc, s[34:35], v[20:21]
	s_and_b64 s[36:37], s[2:3], vcc
	v_mov_b32_e32 v20, 0
	v_mov_b32_e32 v21, 0
	s_and_saveexec_b64 s[20:21], s[36:37]
	s_cbranch_execz .LBB169_5
; %bb.4:                                ;   in Loop: Header=BB169_3 Depth=1
	flat_load_ushort v21, v[10:11]
.LBB169_5:                              ;   in Loop: Header=BB169_3 Depth=1
	s_or_b64 exec, exec, s[20:21]
	v_lshl_add_u64 v[22:23], v[6:7], 0, s[18:19]
	v_cmp_gt_i64_e32 vcc, s[34:35], v[22:23]
	s_and_b64 s[36:37], vcc, s[4:5]
	s_waitcnt vmcnt(0) lgkmcnt(0)
	ds_write_b16 v16, v21
	s_and_saveexec_b64 s[20:21], s[36:37]
	s_cbranch_execz .LBB169_2
; %bb.6:                                ;   in Loop: Header=BB169_3 Depth=1
	flat_load_ushort v20, v[8:9]
	s_branch .LBB169_2
.LBB169_7:
	v_mov_b32_e32 v14, v1
	v_mov_b32_e32 v15, v1
.LBB169_8:
	s_load_dword s18, s[0:1], 0x18
	s_load_dword s19, s[0:1], 0x50
	s_lshl_b64 s[0:1], s[26:27], 1
	s_waitcnt lgkmcnt(0)
	s_add_u32 s14, s14, s0
	v_lshl_add_u64 v[0:1], s[40:41], 0, v[0:1]
	s_addc_u32 s15, s15, s1
	v_cmp_neq_f16_e64 s[2:3], s19, 0
	v_cmp_gt_i64_e64 s[0:1], s[30:31], v[0:1]
	s_and_b64 vcc, exec, s[2:3]
	s_cbranch_vccnz .LBB169_21
; %bb.9:
	s_and_saveexec_b64 s[16:17], s[0:1]
	s_cbranch_execz .LBB169_19
; %bb.10:
	v_mul_lo_u32 v8, v1, s24
	v_mul_lo_u32 v9, v0, s25
	v_mad_u64_u32 v[6:7], s[2:3], v0, s24, 0
	v_add3_u32 v7, v7, v9, v8
	v_lshl_add_u64 v[4:5], s[8:9], 0, v[2:3]
	v_lshl_add_u64 v[6:7], v[6:7], 1, s[14:15]
	v_cmp_gt_i64_e32 vcc, s[28:29], v[4:5]
	v_lshl_add_u64 v[8:9], v[4:5], 1, v[6:7]
	s_and_saveexec_b64 s[2:3], vcc
	s_cbranch_execz .LBB169_12
; %bb.11:
	v_mul_f16_e32 v10, s18, v15
	flat_store_short v[8:9], v10
.LBB169_12:
	s_or_b64 exec, exec, s[2:3]
	v_lshl_add_u64 v[10:11], v[4:5], 0, 16
	v_cmp_gt_i64_e64 s[2:3], s[28:29], v[10:11]
	s_and_saveexec_b64 s[4:5], s[2:3]
	s_cbranch_execz .LBB169_14
; %bb.13:
	v_mul_f16_sdwa v10, s18, v15 dst_sel:DWORD dst_unused:UNUSED_PAD src0_sel:DWORD src1_sel:WORD_1
	flat_store_short v[8:9], v10 offset:32
.LBB169_14:
	s_or_b64 exec, exec, s[4:5]
	v_lshl_add_u64 v[8:9], v[0:1], 0, 16
	v_cmp_gt_i64_e64 s[4:5], s[30:31], v[8:9]
	s_and_b64 exec, exec, s[4:5]
	s_cbranch_execz .LBB169_19
; %bb.15:
	s_lshl_b64 s[4:5], s[24:25], 5
	v_lshl_add_u64 v[6:7], v[6:7], 0, s[4:5]
	v_lshl_add_u64 v[4:5], v[4:5], 1, v[6:7]
	s_and_saveexec_b64 s[4:5], vcc
	s_cbranch_execz .LBB169_17
; %bb.16:
	v_mul_f16_e32 v6, s18, v14
	flat_store_short v[4:5], v6
.LBB169_17:
	s_or_b64 exec, exec, s[4:5]
	s_and_b64 exec, exec, s[2:3]
	s_cbranch_execz .LBB169_19
; %bb.18:
	v_mul_f16_sdwa v6, s18, v14 dst_sel:DWORD dst_unused:UNUSED_PAD src0_sel:DWORD src1_sel:WORD_1
	flat_store_short v[4:5], v6 offset:32
.LBB169_19:
	s_or_b64 exec, exec, s[16:17]
	s_cbranch_execz .LBB169_22
.LBB169_20:
	s_endpgm
.LBB169_21:
.LBB169_22:
	s_and_saveexec_b64 s[2:3], s[0:1]
	s_cbranch_execz .LBB169_20
; %bb.23:
	s_lshl_b64 s[0:1], s[12:13], 1
	v_lshl_add_u64 v[8:9], s[8:9], 0, v[2:3]
	v_mul_lo_u32 v4, v1, s10
	v_mul_lo_u32 v5, v0, s11
	v_mad_u64_u32 v[2:3], s[2:3], v0, s10, 0
	s_add_u32 s0, s6, s0
	v_add3_u32 v3, v3, v5, v4
	v_mul_lo_u32 v6, v1, s24
	v_mul_lo_u32 v7, v0, s25
	v_mad_u64_u32 v[4:5], s[2:3], v0, s24, 0
	s_addc_u32 s1, s7, s1
	v_add3_u32 v5, v5, v7, v6
	v_cmp_gt_i64_e32 vcc, s[28:29], v[8:9]
	v_lshl_add_u64 v[6:7], v[2:3], 1, s[0:1]
	v_lshl_add_u64 v[4:5], v[4:5], 1, s[14:15]
	v_lshlrev_b64 v[2:3], 1, v[8:9]
	s_and_saveexec_b64 s[0:1], vcc
	s_cbranch_execz .LBB169_25
; %bb.24:
	v_lshl_add_u64 v[10:11], v[6:7], 0, v[2:3]
	flat_load_ushort v10, v[10:11]
	s_waitcnt vmcnt(0) lgkmcnt(0)
	v_mul_f16_e32 v10, s19, v10
	v_fma_f16 v12, s18, v15, v10
	v_lshl_add_u64 v[10:11], v[4:5], 0, v[2:3]
	flat_store_short v[10:11], v12
.LBB169_25:
	s_or_b64 exec, exec, s[0:1]
	v_lshl_add_u64 v[8:9], v[8:9], 0, 16
	v_cmp_gt_i64_e64 s[0:1], s[28:29], v[8:9]
	s_and_saveexec_b64 s[2:3], s[0:1]
	s_cbranch_execz .LBB169_27
; %bb.26:
	v_lshl_add_u64 v[8:9], v[6:7], 0, v[2:3]
	flat_load_ushort v8, v[8:9] offset:32
	v_lshrrev_b32_e32 v9, 16, v15
	s_waitcnt vmcnt(0) lgkmcnt(0)
	v_mul_f16_e32 v8, s19, v8
	v_fma_f16 v10, s18, v9, v8
	v_lshl_add_u64 v[8:9], v[4:5], 0, v[2:3]
	flat_store_short v[8:9], v10 offset:32
.LBB169_27:
	s_or_b64 exec, exec, s[2:3]
	v_lshl_add_u64 v[0:1], v[0:1], 0, 16
	v_cmp_gt_i64_e64 s[2:3], s[30:31], v[0:1]
	s_and_b64 exec, exec, s[2:3]
	s_cbranch_execz .LBB169_20
; %bb.28:
	s_lshl_b64 s[2:3], s[10:11], 5
	v_lshl_add_u64 v[0:1], v[6:7], 0, s[2:3]
	s_lshl_b64 s[2:3], s[24:25], 5
	v_lshl_add_u64 v[6:7], v[4:5], 0, s[2:3]
	v_lshl_add_u64 v[4:5], v[0:1], 0, v[2:3]
	v_lshl_add_u64 v[0:1], v[6:7], 0, v[2:3]
	s_and_saveexec_b64 s[2:3], vcc
	s_cbranch_execz .LBB169_30
; %bb.29:
	flat_load_ushort v2, v[4:5]
	s_waitcnt vmcnt(0) lgkmcnt(0)
	v_mul_f16_e32 v2, s19, v2
	v_fma_f16 v2, s18, v14, v2
	flat_store_short v[0:1], v2
.LBB169_30:
	s_or_b64 exec, exec, s[2:3]
	s_and_b64 exec, exec, s[0:1]
	s_cbranch_execz .LBB169_20
; %bb.31:
	flat_load_ushort v2, v[4:5] offset:32
	v_lshrrev_b32_e32 v3, 16, v14
	s_waitcnt vmcnt(0) lgkmcnt(0)
	v_mul_f16_e32 v2, s19, v2
	v_fma_f16 v2, s18, v3, v2
	flat_store_short v[0:1], v2 offset:32
	s_endpgm
	.section	.rodata,"a",@progbits
	.p2align	6, 0x0
	.amdhsa_kernel _ZN12_GLOBAL__N_135rocblas_gemm_batched_general_kernelIDF16_Li16ELi16ELi32ELi32ELi8ELi32ELi8ELi8ELi32ELc67ELc67EKPKDF16_S3_KPDF16_EEvlllT_PT11_llS8_llS6_PT12_llPT13_lli
		.amdhsa_group_segment_fixed_size 1024
		.amdhsa_private_segment_fixed_size 0
		.amdhsa_kernarg_size 140
		.amdhsa_user_sgpr_count 2
		.amdhsa_user_sgpr_dispatch_ptr 0
		.amdhsa_user_sgpr_queue_ptr 0
		.amdhsa_user_sgpr_kernarg_segment_ptr 1
		.amdhsa_user_sgpr_dispatch_id 0
		.amdhsa_user_sgpr_kernarg_preload_length 0
		.amdhsa_user_sgpr_kernarg_preload_offset 0
		.amdhsa_user_sgpr_private_segment_size 0
		.amdhsa_uses_dynamic_stack 0
		.amdhsa_enable_private_segment 0
		.amdhsa_system_sgpr_workgroup_id_x 1
		.amdhsa_system_sgpr_workgroup_id_y 1
		.amdhsa_system_sgpr_workgroup_id_z 1
		.amdhsa_system_sgpr_workgroup_info 0
		.amdhsa_system_vgpr_workitem_id 1
		.amdhsa_next_free_vgpr 44
		.amdhsa_next_free_sgpr 46
		.amdhsa_accum_offset 44
		.amdhsa_reserve_vcc 1
		.amdhsa_float_round_mode_32 0
		.amdhsa_float_round_mode_16_64 0
		.amdhsa_float_denorm_mode_32 3
		.amdhsa_float_denorm_mode_16_64 3
		.amdhsa_dx10_clamp 1
		.amdhsa_ieee_mode 1
		.amdhsa_fp16_overflow 0
		.amdhsa_tg_split 0
		.amdhsa_exception_fp_ieee_invalid_op 0
		.amdhsa_exception_fp_denorm_src 0
		.amdhsa_exception_fp_ieee_div_zero 0
		.amdhsa_exception_fp_ieee_overflow 0
		.amdhsa_exception_fp_ieee_underflow 0
		.amdhsa_exception_fp_ieee_inexact 0
		.amdhsa_exception_int_div_zero 0
	.end_amdhsa_kernel
	.section	.text._ZN12_GLOBAL__N_135rocblas_gemm_batched_general_kernelIDF16_Li16ELi16ELi32ELi32ELi8ELi32ELi8ELi8ELi32ELc67ELc67EKPKDF16_S3_KPDF16_EEvlllT_PT11_llS8_llS6_PT12_llPT13_lli,"axG",@progbits,_ZN12_GLOBAL__N_135rocblas_gemm_batched_general_kernelIDF16_Li16ELi16ELi32ELi32ELi8ELi32ELi8ELi8ELi32ELc67ELc67EKPKDF16_S3_KPDF16_EEvlllT_PT11_llS8_llS6_PT12_llPT13_lli,comdat
.Lfunc_end169:
	.size	_ZN12_GLOBAL__N_135rocblas_gemm_batched_general_kernelIDF16_Li16ELi16ELi32ELi32ELi8ELi32ELi8ELi8ELi32ELc67ELc67EKPKDF16_S3_KPDF16_EEvlllT_PT11_llS8_llS6_PT12_llPT13_lli, .Lfunc_end169-_ZN12_GLOBAL__N_135rocblas_gemm_batched_general_kernelIDF16_Li16ELi16ELi32ELi32ELi8ELi32ELi8ELi8ELi32ELc67ELc67EKPKDF16_S3_KPDF16_EEvlllT_PT11_llS8_llS6_PT12_llPT13_lli
                                        ; -- End function
	.set _ZN12_GLOBAL__N_135rocblas_gemm_batched_general_kernelIDF16_Li16ELi16ELi32ELi32ELi8ELi32ELi8ELi8ELi32ELc67ELc67EKPKDF16_S3_KPDF16_EEvlllT_PT11_llS8_llS6_PT12_llPT13_lli.num_vgpr, 44
	.set _ZN12_GLOBAL__N_135rocblas_gemm_batched_general_kernelIDF16_Li16ELi16ELi32ELi32ELi8ELi32ELi8ELi8ELi32ELc67ELc67EKPKDF16_S3_KPDF16_EEvlllT_PT11_llS8_llS6_PT12_llPT13_lli.num_agpr, 0
	.set _ZN12_GLOBAL__N_135rocblas_gemm_batched_general_kernelIDF16_Li16ELi16ELi32ELi32ELi8ELi32ELi8ELi8ELi32ELc67ELc67EKPKDF16_S3_KPDF16_EEvlllT_PT11_llS8_llS6_PT12_llPT13_lli.numbered_sgpr, 46
	.set _ZN12_GLOBAL__N_135rocblas_gemm_batched_general_kernelIDF16_Li16ELi16ELi32ELi32ELi8ELi32ELi8ELi8ELi32ELc67ELc67EKPKDF16_S3_KPDF16_EEvlllT_PT11_llS8_llS6_PT12_llPT13_lli.num_named_barrier, 0
	.set _ZN12_GLOBAL__N_135rocblas_gemm_batched_general_kernelIDF16_Li16ELi16ELi32ELi32ELi8ELi32ELi8ELi8ELi32ELc67ELc67EKPKDF16_S3_KPDF16_EEvlllT_PT11_llS8_llS6_PT12_llPT13_lli.private_seg_size, 0
	.set _ZN12_GLOBAL__N_135rocblas_gemm_batched_general_kernelIDF16_Li16ELi16ELi32ELi32ELi8ELi32ELi8ELi8ELi32ELc67ELc67EKPKDF16_S3_KPDF16_EEvlllT_PT11_llS8_llS6_PT12_llPT13_lli.uses_vcc, 1
	.set _ZN12_GLOBAL__N_135rocblas_gemm_batched_general_kernelIDF16_Li16ELi16ELi32ELi32ELi8ELi32ELi8ELi8ELi32ELc67ELc67EKPKDF16_S3_KPDF16_EEvlllT_PT11_llS8_llS6_PT12_llPT13_lli.uses_flat_scratch, 0
	.set _ZN12_GLOBAL__N_135rocblas_gemm_batched_general_kernelIDF16_Li16ELi16ELi32ELi32ELi8ELi32ELi8ELi8ELi32ELc67ELc67EKPKDF16_S3_KPDF16_EEvlllT_PT11_llS8_llS6_PT12_llPT13_lli.has_dyn_sized_stack, 0
	.set _ZN12_GLOBAL__N_135rocblas_gemm_batched_general_kernelIDF16_Li16ELi16ELi32ELi32ELi8ELi32ELi8ELi8ELi32ELc67ELc67EKPKDF16_S3_KPDF16_EEvlllT_PT11_llS8_llS6_PT12_llPT13_lli.has_recursion, 0
	.set _ZN12_GLOBAL__N_135rocblas_gemm_batched_general_kernelIDF16_Li16ELi16ELi32ELi32ELi8ELi32ELi8ELi8ELi32ELc67ELc67EKPKDF16_S3_KPDF16_EEvlllT_PT11_llS8_llS6_PT12_llPT13_lli.has_indirect_call, 0
	.section	.AMDGPU.csdata,"",@progbits
; Kernel info:
; codeLenInByte = 1728
; TotalNumSgprs: 52
; NumVgprs: 44
; NumAgprs: 0
; TotalNumVgprs: 44
; ScratchSize: 0
; MemoryBound: 0
; FloatMode: 240
; IeeeMode: 1
; LDSByteSize: 1024 bytes/workgroup (compile time only)
; SGPRBlocks: 6
; VGPRBlocks: 5
; NumSGPRsForWavesPerEU: 52
; NumVGPRsForWavesPerEU: 44
; AccumOffset: 44
; Occupancy: 8
; WaveLimiterHint : 1
; COMPUTE_PGM_RSRC2:SCRATCH_EN: 0
; COMPUTE_PGM_RSRC2:USER_SGPR: 2
; COMPUTE_PGM_RSRC2:TRAP_HANDLER: 0
; COMPUTE_PGM_RSRC2:TGID_X_EN: 1
; COMPUTE_PGM_RSRC2:TGID_Y_EN: 1
; COMPUTE_PGM_RSRC2:TGID_Z_EN: 1
; COMPUTE_PGM_RSRC2:TIDIG_COMP_CNT: 1
; COMPUTE_PGM_RSRC3_GFX90A:ACCUM_OFFSET: 10
; COMPUTE_PGM_RSRC3_GFX90A:TG_SPLIT: 0
	.section	.text._ZN12_GLOBAL__N_135rocblas_gemm_batched_general_kernelIDF16_Li16ELi16ELi32ELi32ELi8ELi32ELi8ELi8ELi32ELc67ELc78EKPKDF16_S3_KPDF16_EEvlllT_PT11_llS8_llS6_PT12_llPT13_lli,"axG",@progbits,_ZN12_GLOBAL__N_135rocblas_gemm_batched_general_kernelIDF16_Li16ELi16ELi32ELi32ELi8ELi32ELi8ELi8ELi32ELc67ELc78EKPKDF16_S3_KPDF16_EEvlllT_PT11_llS8_llS6_PT12_llPT13_lli,comdat
	.globl	_ZN12_GLOBAL__N_135rocblas_gemm_batched_general_kernelIDF16_Li16ELi16ELi32ELi32ELi8ELi32ELi8ELi8ELi32ELc67ELc78EKPKDF16_S3_KPDF16_EEvlllT_PT11_llS8_llS6_PT12_llPT13_lli ; -- Begin function _ZN12_GLOBAL__N_135rocblas_gemm_batched_general_kernelIDF16_Li16ELi16ELi32ELi32ELi8ELi32ELi8ELi8ELi32ELc67ELc78EKPKDF16_S3_KPDF16_EEvlllT_PT11_llS8_llS6_PT12_llPT13_lli
	.p2align	8
	.type	_ZN12_GLOBAL__N_135rocblas_gemm_batched_general_kernelIDF16_Li16ELi16ELi32ELi32ELi8ELi32ELi8ELi8ELi32ELc67ELc78EKPKDF16_S3_KPDF16_EEvlllT_PT11_llS8_llS6_PT12_llPT13_lli,@function
_ZN12_GLOBAL__N_135rocblas_gemm_batched_general_kernelIDF16_Li16ELi16ELi32ELi32ELi8ELi32ELi8ELi8ELi32ELc67ELc78EKPKDF16_S3_KPDF16_EEvlllT_PT11_llS8_llS6_PT12_llPT13_lli: ; @_ZN12_GLOBAL__N_135rocblas_gemm_batched_general_kernelIDF16_Li16ELi16ELi32ELi32ELi8ELi32ELi8ELi8ELi32ELc67ELc78EKPKDF16_S3_KPDF16_EEvlllT_PT11_llS8_llS6_PT12_llPT13_lli
; %bb.0:
	s_load_dwordx4 s[28:31], s[0:1], 0x0
	s_load_dwordx2 s[34:35], s[0:1], 0x10
	s_load_dwordx4 s[24:27], s[0:1], 0x78
	s_load_dwordx8 s[8:15], s[0:1], 0x58
	s_mov_b32 s5, 0
	s_lshl_b64 s[4:5], s[4:5], 3
	s_mov_b32 s16, s3
	v_mov_b32_e32 v1, 0
	s_waitcnt lgkmcnt(0)
	s_add_u32 s6, s8, s4
	s_addc_u32 s7, s9, s5
	s_add_u32 s8, s14, s4
	s_addc_u32 s9, s15, s5
	s_load_dwordx2 s[6:7], s[6:7], 0x0
	s_ashr_i32 s3, s2, 31
	s_load_dwordx2 s[14:15], s[8:9], 0x0
	s_lshl_b64 s[8:9], s[2:3], 5
	s_ashr_i32 s17, s16, 31
	v_cmp_lt_i64_e64 s[2:3], s[34:35], 1
	v_and_b32_e32 v2, 0x3ff, v0
	v_bfe_u32 v0, v0, 10, 10
	v_mov_b32_e32 v3, v1
	s_lshl_b64 s[40:41], s[16:17], 5
	s_and_b64 vcc, exec, s[2:3]
	s_cbranch_vccnz .LBB170_7
; %bb.1:
	s_load_dwordx8 s[16:23], s[0:1], 0x20
	s_load_dwordx4 s[36:39], s[0:1], 0x40
	v_lshlrev_b32_e32 v19, 4, v0
	v_add_u32_e32 v12, v19, v2
	v_lshrrev_b32_e32 v4, 5, v12
	s_waitcnt lgkmcnt(0)
	s_add_u32 s2, s22, s4
	s_addc_u32 s3, s23, s5
	s_load_dwordx2 s[22:23], s[2:3], 0x0
	s_add_u32 s2, s16, s4
	v_lshrrev_b32_e32 v8, 3, v12
	v_and_b32_e32 v12, 31, v12
	v_and_b32_e32 v6, 7, v2
	s_addc_u32 s3, s17, s5
	v_or_b32_e32 v14, s8, v12
	v_mov_b32_e32 v15, s9
	s_load_dwordx2 s[16:17], s[2:3], 0x0
	v_mov_b32_e32 v9, v1
	v_cmp_gt_i64_e64 s[2:3], s[28:29], v[14:15]
	v_lshlrev_b32_e32 v14, 1, v6
	v_lshl_add_u64 v[10:11], v[8:9], 0, s[40:41]
	v_lshlrev_b32_e32 v9, 1, v12
	v_lshl_or_b32 v8, v8, 4, v14
	v_mov_b32_e32 v13, v1
	v_lshl_or_b32 v16, v4, 6, v9
	v_cmp_gt_i64_e64 s[4:5], s[30:31], v[10:11]
	v_add_u32_e32 v17, 0x200, v8
	v_mul_lo_u32 v15, s37, v10
	v_mul_lo_u32 v11, s36, v11
	v_mad_u64_u32 v[8:9], s[36:37], s36, v10, 0
	v_add3_u32 v9, v9, v11, v15
	v_lshl_add_u64 v[10:11], s[8:9], 0, v[12:13]
	v_mul_lo_u32 v12, s19, v10
	v_mul_lo_u32 v13, s18, v11
	v_mad_u64_u32 v[10:11], s[18:19], s18, v10, 0
	s_lshl_b64 s[36:37], s[38:39], 1
	v_add3_u32 v11, v11, v13, v12
	s_lshl_b64 s[18:19], s[20:21], 1
	v_lshl_add_u64 v[8:9], v[8:9], 1, s[36:37]
	v_mov_b32_e32 v15, v1
	v_lshl_add_u64 v[10:11], v[10:11], 1, s[18:19]
	v_lshlrev_b32_e32 v12, 1, v4
	v_mov_b32_e32 v13, v1
	v_lshl_add_u64 v[8:9], v[8:9], 0, v[14:15]
	v_lshl_add_u64 v[10:11], v[10:11], 0, v[12:13]
	v_mov_b32_e32 v5, v1
	v_mov_b32_e32 v7, v1
	v_lshlrev_b32_e32 v18, 1, v2
	v_add_u32_e32 v19, 0x200, v19
	s_waitcnt lgkmcnt(0)
	v_lshl_add_u64 v[8:9], s[22:23], 0, v[8:9]
	v_lshl_add_u64 v[10:11], s[16:17], 0, v[10:11]
	s_mov_b64 s[16:17], 0
	s_mov_b32 s20, 0x5040100
	v_mov_b64_e32 v[12:13], s[34:35]
	v_mov_b32_e32 v14, v1
	s_branch .LBB170_3
.LBB170_2:                              ;   in Loop: Header=BB170_3 Depth=1
	s_or_b64 exec, exec, s[18:19]
	s_waitcnt vmcnt(0) lgkmcnt(0)
	ds_write_b16 v17, v20
	s_waitcnt lgkmcnt(0)
	s_barrier
	ds_read_u16 v28, v18
	ds_read_u16 v29, v18 offset:32
	ds_read_u16 v30, v18 offset:64
	;; [unrolled: 1-line block ×7, first 2 shown]
	ds_read_b128 v[20:23], v19
	ds_read_b128 v[24:27], v19 offset:256
	ds_read_u16 v36, v18 offset:256
	ds_read_u16 v37, v18 offset:288
	;; [unrolled: 1-line block ×8, first 2 shown]
	s_waitcnt lgkmcnt(14)
	v_perm_b32 v28, v29, v28, s20
	s_waitcnt lgkmcnt(8)
	v_pk_fma_f16 v14, v28, v24, v14 op_sel_hi:[1,0,1]
	v_pk_fma_f16 v15, v28, v20, v15 op_sel_hi:[1,0,1]
	v_perm_b32 v28, v31, v30, s20
	v_pk_fma_f16 v15, v28, v20, v15 op_sel:[0,1,0]
	v_pk_fma_f16 v14, v28, v24, v14 op_sel:[0,1,0]
	v_perm_b32 v20, v33, v32, s20
	v_pk_fma_f16 v14, v20, v25, v14 op_sel_hi:[1,0,1]
	v_pk_fma_f16 v15, v20, v21, v15 op_sel_hi:[1,0,1]
	v_perm_b32 v20, v35, v34, s20
	v_pk_fma_f16 v15, v20, v21, v15 op_sel:[0,1,0]
	v_pk_fma_f16 v14, v20, v25, v14 op_sel:[0,1,0]
	s_waitcnt lgkmcnt(6)
	v_perm_b32 v20, v37, v36, s20
	v_pk_fma_f16 v14, v20, v26, v14 op_sel_hi:[1,0,1]
	v_pk_fma_f16 v15, v20, v22, v15 op_sel_hi:[1,0,1]
	s_waitcnt lgkmcnt(4)
	v_perm_b32 v20, v39, v38, s20
	s_add_u32 s16, s16, 8
	v_pk_fma_f16 v15, v20, v22, v15 op_sel:[0,1,0]
	v_pk_fma_f16 v14, v20, v26, v14 op_sel:[0,1,0]
	s_waitcnt lgkmcnt(2)
	v_perm_b32 v20, v41, v40, s20
	s_addc_u32 s17, s17, 0
	v_pk_fma_f16 v14, v20, v27, v14 op_sel_hi:[1,0,1]
	v_pk_fma_f16 v15, v20, v23, v15 op_sel_hi:[1,0,1]
	s_waitcnt lgkmcnt(0)
	v_perm_b32 v20, v43, v42, s20
	v_cmp_lt_i64_e32 vcc, s[16:17], v[12:13]
	v_pk_fma_f16 v15, v20, v23, v15 op_sel:[0,1,0]
	v_pk_fma_f16 v14, v20, v27, v14 op_sel:[0,1,0]
	v_lshl_add_u64 v[8:9], v[8:9], 0, 16
	v_lshl_add_u64 v[10:11], v[10:11], 0, 16
	s_barrier
	s_cbranch_vccz .LBB170_8
.LBB170_3:                              ; =>This Inner Loop Header: Depth=1
	v_lshl_add_u64 v[20:21], v[4:5], 0, s[16:17]
	v_cmp_gt_i64_e32 vcc, s[34:35], v[20:21]
	s_and_b64 s[22:23], s[2:3], vcc
	v_mov_b32_e32 v20, 0
	v_mov_b32_e32 v21, 0
	s_and_saveexec_b64 s[18:19], s[22:23]
	s_cbranch_execz .LBB170_5
; %bb.4:                                ;   in Loop: Header=BB170_3 Depth=1
	flat_load_ushort v21, v[10:11]
.LBB170_5:                              ;   in Loop: Header=BB170_3 Depth=1
	s_or_b64 exec, exec, s[18:19]
	v_lshl_add_u64 v[22:23], v[6:7], 0, s[16:17]
	v_cmp_gt_i64_e32 vcc, s[34:35], v[22:23]
	s_and_b64 s[22:23], vcc, s[4:5]
	s_waitcnt vmcnt(0) lgkmcnt(0)
	ds_write_b16 v16, v21
	s_and_saveexec_b64 s[18:19], s[22:23]
	s_cbranch_execz .LBB170_2
; %bb.6:                                ;   in Loop: Header=BB170_3 Depth=1
	flat_load_ushort v20, v[8:9]
	s_branch .LBB170_2
.LBB170_7:
	v_mov_b32_e32 v14, v1
	v_mov_b32_e32 v15, v1
.LBB170_8:
	s_load_dword s18, s[0:1], 0x18
	s_load_dword s19, s[0:1], 0x50
	s_lshl_b64 s[0:1], s[26:27], 1
	s_waitcnt lgkmcnt(0)
	s_add_u32 s14, s14, s0
	v_lshl_add_u64 v[0:1], s[40:41], 0, v[0:1]
	s_addc_u32 s15, s15, s1
	v_cmp_neq_f16_e64 s[2:3], s19, 0
	v_cmp_gt_i64_e64 s[0:1], s[30:31], v[0:1]
	s_and_b64 vcc, exec, s[2:3]
	s_cbranch_vccnz .LBB170_21
; %bb.9:
	s_and_saveexec_b64 s[16:17], s[0:1]
	s_cbranch_execz .LBB170_19
; %bb.10:
	v_mul_lo_u32 v8, v1, s24
	v_mul_lo_u32 v9, v0, s25
	v_mad_u64_u32 v[6:7], s[2:3], v0, s24, 0
	v_add3_u32 v7, v7, v9, v8
	v_lshl_add_u64 v[4:5], s[8:9], 0, v[2:3]
	v_lshl_add_u64 v[6:7], v[6:7], 1, s[14:15]
	v_cmp_gt_i64_e32 vcc, s[28:29], v[4:5]
	v_lshl_add_u64 v[8:9], v[4:5], 1, v[6:7]
	s_and_saveexec_b64 s[2:3], vcc
	s_cbranch_execz .LBB170_12
; %bb.11:
	v_mul_f16_e32 v10, s18, v15
	flat_store_short v[8:9], v10
.LBB170_12:
	s_or_b64 exec, exec, s[2:3]
	v_lshl_add_u64 v[10:11], v[4:5], 0, 16
	v_cmp_gt_i64_e64 s[2:3], s[28:29], v[10:11]
	s_and_saveexec_b64 s[4:5], s[2:3]
	s_cbranch_execz .LBB170_14
; %bb.13:
	v_mul_f16_sdwa v10, s18, v15 dst_sel:DWORD dst_unused:UNUSED_PAD src0_sel:DWORD src1_sel:WORD_1
	flat_store_short v[8:9], v10 offset:32
.LBB170_14:
	s_or_b64 exec, exec, s[4:5]
	v_lshl_add_u64 v[8:9], v[0:1], 0, 16
	v_cmp_gt_i64_e64 s[4:5], s[30:31], v[8:9]
	s_and_b64 exec, exec, s[4:5]
	s_cbranch_execz .LBB170_19
; %bb.15:
	s_lshl_b64 s[4:5], s[24:25], 5
	v_lshl_add_u64 v[6:7], v[6:7], 0, s[4:5]
	v_lshl_add_u64 v[4:5], v[4:5], 1, v[6:7]
	s_and_saveexec_b64 s[4:5], vcc
	s_cbranch_execz .LBB170_17
; %bb.16:
	v_mul_f16_e32 v6, s18, v14
	flat_store_short v[4:5], v6
.LBB170_17:
	s_or_b64 exec, exec, s[4:5]
	s_and_b64 exec, exec, s[2:3]
	s_cbranch_execz .LBB170_19
; %bb.18:
	v_mul_f16_sdwa v6, s18, v14 dst_sel:DWORD dst_unused:UNUSED_PAD src0_sel:DWORD src1_sel:WORD_1
	flat_store_short v[4:5], v6 offset:32
.LBB170_19:
	s_or_b64 exec, exec, s[16:17]
	s_cbranch_execz .LBB170_22
.LBB170_20:
	s_endpgm
.LBB170_21:
.LBB170_22:
	s_and_saveexec_b64 s[2:3], s[0:1]
	s_cbranch_execz .LBB170_20
; %bb.23:
	s_lshl_b64 s[0:1], s[12:13], 1
	v_lshl_add_u64 v[8:9], s[8:9], 0, v[2:3]
	v_mul_lo_u32 v4, v1, s10
	v_mul_lo_u32 v5, v0, s11
	v_mad_u64_u32 v[2:3], s[2:3], v0, s10, 0
	s_add_u32 s0, s6, s0
	v_add3_u32 v3, v3, v5, v4
	v_mul_lo_u32 v6, v1, s24
	v_mul_lo_u32 v7, v0, s25
	v_mad_u64_u32 v[4:5], s[2:3], v0, s24, 0
	s_addc_u32 s1, s7, s1
	v_add3_u32 v5, v5, v7, v6
	v_cmp_gt_i64_e32 vcc, s[28:29], v[8:9]
	v_lshl_add_u64 v[6:7], v[2:3], 1, s[0:1]
	v_lshl_add_u64 v[4:5], v[4:5], 1, s[14:15]
	v_lshlrev_b64 v[2:3], 1, v[8:9]
	s_and_saveexec_b64 s[0:1], vcc
	s_cbranch_execz .LBB170_25
; %bb.24:
	v_lshl_add_u64 v[10:11], v[6:7], 0, v[2:3]
	flat_load_ushort v10, v[10:11]
	s_waitcnt vmcnt(0) lgkmcnt(0)
	v_mul_f16_e32 v10, s19, v10
	v_fma_f16 v12, s18, v15, v10
	v_lshl_add_u64 v[10:11], v[4:5], 0, v[2:3]
	flat_store_short v[10:11], v12
.LBB170_25:
	s_or_b64 exec, exec, s[0:1]
	v_lshl_add_u64 v[8:9], v[8:9], 0, 16
	v_cmp_gt_i64_e64 s[0:1], s[28:29], v[8:9]
	s_and_saveexec_b64 s[2:3], s[0:1]
	s_cbranch_execz .LBB170_27
; %bb.26:
	v_lshl_add_u64 v[8:9], v[6:7], 0, v[2:3]
	flat_load_ushort v8, v[8:9] offset:32
	v_lshrrev_b32_e32 v9, 16, v15
	s_waitcnt vmcnt(0) lgkmcnt(0)
	v_mul_f16_e32 v8, s19, v8
	v_fma_f16 v10, s18, v9, v8
	v_lshl_add_u64 v[8:9], v[4:5], 0, v[2:3]
	flat_store_short v[8:9], v10 offset:32
.LBB170_27:
	s_or_b64 exec, exec, s[2:3]
	v_lshl_add_u64 v[0:1], v[0:1], 0, 16
	v_cmp_gt_i64_e64 s[2:3], s[30:31], v[0:1]
	s_and_b64 exec, exec, s[2:3]
	s_cbranch_execz .LBB170_20
; %bb.28:
	s_lshl_b64 s[2:3], s[10:11], 5
	v_lshl_add_u64 v[0:1], v[6:7], 0, s[2:3]
	s_lshl_b64 s[2:3], s[24:25], 5
	v_lshl_add_u64 v[6:7], v[4:5], 0, s[2:3]
	v_lshl_add_u64 v[4:5], v[0:1], 0, v[2:3]
	;; [unrolled: 1-line block ×3, first 2 shown]
	s_and_saveexec_b64 s[2:3], vcc
	s_cbranch_execz .LBB170_30
; %bb.29:
	flat_load_ushort v2, v[4:5]
	s_waitcnt vmcnt(0) lgkmcnt(0)
	v_mul_f16_e32 v2, s19, v2
	v_fma_f16 v2, s18, v14, v2
	flat_store_short v[0:1], v2
.LBB170_30:
	s_or_b64 exec, exec, s[2:3]
	s_and_b64 exec, exec, s[0:1]
	s_cbranch_execz .LBB170_20
; %bb.31:
	flat_load_ushort v2, v[4:5] offset:32
	v_lshrrev_b32_e32 v3, 16, v14
	s_waitcnt vmcnt(0) lgkmcnt(0)
	v_mul_f16_e32 v2, s19, v2
	v_fma_f16 v2, s18, v3, v2
	flat_store_short v[0:1], v2 offset:32
	s_endpgm
	.section	.rodata,"a",@progbits
	.p2align	6, 0x0
	.amdhsa_kernel _ZN12_GLOBAL__N_135rocblas_gemm_batched_general_kernelIDF16_Li16ELi16ELi32ELi32ELi8ELi32ELi8ELi8ELi32ELc67ELc78EKPKDF16_S3_KPDF16_EEvlllT_PT11_llS8_llS6_PT12_llPT13_lli
		.amdhsa_group_segment_fixed_size 1024
		.amdhsa_private_segment_fixed_size 0
		.amdhsa_kernarg_size 140
		.amdhsa_user_sgpr_count 2
		.amdhsa_user_sgpr_dispatch_ptr 0
		.amdhsa_user_sgpr_queue_ptr 0
		.amdhsa_user_sgpr_kernarg_segment_ptr 1
		.amdhsa_user_sgpr_dispatch_id 0
		.amdhsa_user_sgpr_kernarg_preload_length 0
		.amdhsa_user_sgpr_kernarg_preload_offset 0
		.amdhsa_user_sgpr_private_segment_size 0
		.amdhsa_uses_dynamic_stack 0
		.amdhsa_enable_private_segment 0
		.amdhsa_system_sgpr_workgroup_id_x 1
		.amdhsa_system_sgpr_workgroup_id_y 1
		.amdhsa_system_sgpr_workgroup_id_z 1
		.amdhsa_system_sgpr_workgroup_info 0
		.amdhsa_system_vgpr_workitem_id 1
		.amdhsa_next_free_vgpr 44
		.amdhsa_next_free_sgpr 42
		.amdhsa_accum_offset 44
		.amdhsa_reserve_vcc 1
		.amdhsa_float_round_mode_32 0
		.amdhsa_float_round_mode_16_64 0
		.amdhsa_float_denorm_mode_32 3
		.amdhsa_float_denorm_mode_16_64 3
		.amdhsa_dx10_clamp 1
		.amdhsa_ieee_mode 1
		.amdhsa_fp16_overflow 0
		.amdhsa_tg_split 0
		.amdhsa_exception_fp_ieee_invalid_op 0
		.amdhsa_exception_fp_denorm_src 0
		.amdhsa_exception_fp_ieee_div_zero 0
		.amdhsa_exception_fp_ieee_overflow 0
		.amdhsa_exception_fp_ieee_underflow 0
		.amdhsa_exception_fp_ieee_inexact 0
		.amdhsa_exception_int_div_zero 0
	.end_amdhsa_kernel
	.section	.text._ZN12_GLOBAL__N_135rocblas_gemm_batched_general_kernelIDF16_Li16ELi16ELi32ELi32ELi8ELi32ELi8ELi8ELi32ELc67ELc78EKPKDF16_S3_KPDF16_EEvlllT_PT11_llS8_llS6_PT12_llPT13_lli,"axG",@progbits,_ZN12_GLOBAL__N_135rocblas_gemm_batched_general_kernelIDF16_Li16ELi16ELi32ELi32ELi8ELi32ELi8ELi8ELi32ELc67ELc78EKPKDF16_S3_KPDF16_EEvlllT_PT11_llS8_llS6_PT12_llPT13_lli,comdat
.Lfunc_end170:
	.size	_ZN12_GLOBAL__N_135rocblas_gemm_batched_general_kernelIDF16_Li16ELi16ELi32ELi32ELi8ELi32ELi8ELi8ELi32ELc67ELc78EKPKDF16_S3_KPDF16_EEvlllT_PT11_llS8_llS6_PT12_llPT13_lli, .Lfunc_end170-_ZN12_GLOBAL__N_135rocblas_gemm_batched_general_kernelIDF16_Li16ELi16ELi32ELi32ELi8ELi32ELi8ELi8ELi32ELc67ELc78EKPKDF16_S3_KPDF16_EEvlllT_PT11_llS8_llS6_PT12_llPT13_lli
                                        ; -- End function
	.set _ZN12_GLOBAL__N_135rocblas_gemm_batched_general_kernelIDF16_Li16ELi16ELi32ELi32ELi8ELi32ELi8ELi8ELi32ELc67ELc78EKPKDF16_S3_KPDF16_EEvlllT_PT11_llS8_llS6_PT12_llPT13_lli.num_vgpr, 44
	.set _ZN12_GLOBAL__N_135rocblas_gemm_batched_general_kernelIDF16_Li16ELi16ELi32ELi32ELi8ELi32ELi8ELi8ELi32ELc67ELc78EKPKDF16_S3_KPDF16_EEvlllT_PT11_llS8_llS6_PT12_llPT13_lli.num_agpr, 0
	.set _ZN12_GLOBAL__N_135rocblas_gemm_batched_general_kernelIDF16_Li16ELi16ELi32ELi32ELi8ELi32ELi8ELi8ELi32ELc67ELc78EKPKDF16_S3_KPDF16_EEvlllT_PT11_llS8_llS6_PT12_llPT13_lli.numbered_sgpr, 42
	.set _ZN12_GLOBAL__N_135rocblas_gemm_batched_general_kernelIDF16_Li16ELi16ELi32ELi32ELi8ELi32ELi8ELi8ELi32ELc67ELc78EKPKDF16_S3_KPDF16_EEvlllT_PT11_llS8_llS6_PT12_llPT13_lli.num_named_barrier, 0
	.set _ZN12_GLOBAL__N_135rocblas_gemm_batched_general_kernelIDF16_Li16ELi16ELi32ELi32ELi8ELi32ELi8ELi8ELi32ELc67ELc78EKPKDF16_S3_KPDF16_EEvlllT_PT11_llS8_llS6_PT12_llPT13_lli.private_seg_size, 0
	.set _ZN12_GLOBAL__N_135rocblas_gemm_batched_general_kernelIDF16_Li16ELi16ELi32ELi32ELi8ELi32ELi8ELi8ELi32ELc67ELc78EKPKDF16_S3_KPDF16_EEvlllT_PT11_llS8_llS6_PT12_llPT13_lli.uses_vcc, 1
	.set _ZN12_GLOBAL__N_135rocblas_gemm_batched_general_kernelIDF16_Li16ELi16ELi32ELi32ELi8ELi32ELi8ELi8ELi32ELc67ELc78EKPKDF16_S3_KPDF16_EEvlllT_PT11_llS8_llS6_PT12_llPT13_lli.uses_flat_scratch, 0
	.set _ZN12_GLOBAL__N_135rocblas_gemm_batched_general_kernelIDF16_Li16ELi16ELi32ELi32ELi8ELi32ELi8ELi8ELi32ELc67ELc78EKPKDF16_S3_KPDF16_EEvlllT_PT11_llS8_llS6_PT12_llPT13_lli.has_dyn_sized_stack, 0
	.set _ZN12_GLOBAL__N_135rocblas_gemm_batched_general_kernelIDF16_Li16ELi16ELi32ELi32ELi8ELi32ELi8ELi8ELi32ELc67ELc78EKPKDF16_S3_KPDF16_EEvlllT_PT11_llS8_llS6_PT12_llPT13_lli.has_recursion, 0
	.set _ZN12_GLOBAL__N_135rocblas_gemm_batched_general_kernelIDF16_Li16ELi16ELi32ELi32ELi8ELi32ELi8ELi8ELi32ELc67ELc78EKPKDF16_S3_KPDF16_EEvlllT_PT11_llS8_llS6_PT12_llPT13_lli.has_indirect_call, 0
	.section	.AMDGPU.csdata,"",@progbits
; Kernel info:
; codeLenInByte = 1712
; TotalNumSgprs: 48
; NumVgprs: 44
; NumAgprs: 0
; TotalNumVgprs: 44
; ScratchSize: 0
; MemoryBound: 0
; FloatMode: 240
; IeeeMode: 1
; LDSByteSize: 1024 bytes/workgroup (compile time only)
; SGPRBlocks: 5
; VGPRBlocks: 5
; NumSGPRsForWavesPerEU: 48
; NumVGPRsForWavesPerEU: 44
; AccumOffset: 44
; Occupancy: 8
; WaveLimiterHint : 1
; COMPUTE_PGM_RSRC2:SCRATCH_EN: 0
; COMPUTE_PGM_RSRC2:USER_SGPR: 2
; COMPUTE_PGM_RSRC2:TRAP_HANDLER: 0
; COMPUTE_PGM_RSRC2:TGID_X_EN: 1
; COMPUTE_PGM_RSRC2:TGID_Y_EN: 1
; COMPUTE_PGM_RSRC2:TGID_Z_EN: 1
; COMPUTE_PGM_RSRC2:TIDIG_COMP_CNT: 1
; COMPUTE_PGM_RSRC3_GFX90A:ACCUM_OFFSET: 10
; COMPUTE_PGM_RSRC3_GFX90A:TG_SPLIT: 0
	.section	.text._ZN12_GLOBAL__N_135rocblas_gemm_batched_general_kernelIDF16_Li16ELi16ELi32ELi32ELi8ELi32ELi8ELi8ELi32ELc67ELc84EKPKDF16_S3_KPDF16_EEvlllT_PT11_llS8_llS6_PT12_llPT13_lli,"axG",@progbits,_ZN12_GLOBAL__N_135rocblas_gemm_batched_general_kernelIDF16_Li16ELi16ELi32ELi32ELi8ELi32ELi8ELi8ELi32ELc67ELc84EKPKDF16_S3_KPDF16_EEvlllT_PT11_llS8_llS6_PT12_llPT13_lli,comdat
	.globl	_ZN12_GLOBAL__N_135rocblas_gemm_batched_general_kernelIDF16_Li16ELi16ELi32ELi32ELi8ELi32ELi8ELi8ELi32ELc67ELc84EKPKDF16_S3_KPDF16_EEvlllT_PT11_llS8_llS6_PT12_llPT13_lli ; -- Begin function _ZN12_GLOBAL__N_135rocblas_gemm_batched_general_kernelIDF16_Li16ELi16ELi32ELi32ELi8ELi32ELi8ELi8ELi32ELc67ELc84EKPKDF16_S3_KPDF16_EEvlllT_PT11_llS8_llS6_PT12_llPT13_lli
	.p2align	8
	.type	_ZN12_GLOBAL__N_135rocblas_gemm_batched_general_kernelIDF16_Li16ELi16ELi32ELi32ELi8ELi32ELi8ELi8ELi32ELc67ELc84EKPKDF16_S3_KPDF16_EEvlllT_PT11_llS8_llS6_PT12_llPT13_lli,@function
_ZN12_GLOBAL__N_135rocblas_gemm_batched_general_kernelIDF16_Li16ELi16ELi32ELi32ELi8ELi32ELi8ELi8ELi32ELc67ELc84EKPKDF16_S3_KPDF16_EEvlllT_PT11_llS8_llS6_PT12_llPT13_lli: ; @_ZN12_GLOBAL__N_135rocblas_gemm_batched_general_kernelIDF16_Li16ELi16ELi32ELi32ELi8ELi32ELi8ELi8ELi32ELc67ELc84EKPKDF16_S3_KPDF16_EEvlllT_PT11_llS8_llS6_PT12_llPT13_lli
; %bb.0:
	s_load_dwordx4 s[28:31], s[0:1], 0x0
	s_load_dwordx2 s[34:35], s[0:1], 0x10
	s_load_dwordx4 s[24:27], s[0:1], 0x78
	s_load_dwordx8 s[8:15], s[0:1], 0x58
	s_mov_b32 s5, 0
	s_lshl_b64 s[4:5], s[4:5], 3
	s_mov_b32 s42, s3
	v_mov_b32_e32 v1, 0
	s_waitcnt lgkmcnt(0)
	s_add_u32 s6, s8, s4
	s_addc_u32 s7, s9, s5
	s_add_u32 s8, s14, s4
	s_addc_u32 s9, s15, s5
	s_load_dwordx2 s[6:7], s[6:7], 0x0
	s_ashr_i32 s3, s2, 31
	s_load_dwordx2 s[14:15], s[8:9], 0x0
	s_lshl_b64 s[8:9], s[2:3], 5
	s_ashr_i32 s43, s42, 31
	v_cmp_lt_i64_e64 s[2:3], s[34:35], 1
	v_and_b32_e32 v2, 0x3ff, v0
	v_bfe_u32 v0, v0, 10, 10
	v_mov_b32_e32 v3, v1
	s_lshl_b64 s[40:41], s[42:43], 5
	s_and_b64 vcc, exec, s[2:3]
	s_cbranch_vccnz .LBB171_7
; %bb.1:
	s_load_dwordx8 s[16:23], s[0:1], 0x20
	s_load_dwordx4 s[36:39], s[0:1], 0x40
	v_lshlrev_b32_e32 v19, 4, v0
	v_add_u32_e32 v12, v19, v2
	v_lshrrev_b32_e32 v8, 3, v12
	s_waitcnt lgkmcnt(0)
	s_add_u32 s2, s22, s4
	s_addc_u32 s3, s23, s5
	v_mov_b32_e32 v9, v1
	v_lshrrev_b32_e32 v4, 5, v12
	v_and_b32_e32 v6, 7, v2
	s_load_dwordx2 s[22:23], s[2:3], 0x0
	s_add_u32 s2, s16, s4
	v_lshl_add_u64 v[10:11], v[8:9], 0, s[40:41]
	v_and_b32_e32 v12, 31, v12
	s_addc_u32 s3, s17, s5
	v_or_b32_e32 v14, s8, v12
	v_mov_b32_e32 v15, s9
	v_cmp_gt_i64_e64 s[4:5], s[30:31], v[10:11]
	v_mad_u64_u32 v[10:11], s[16:17], s36, v6, 0
	s_load_dwordx2 s[44:45], s[2:3], 0x0
	v_cmp_gt_i64_e64 s[2:3], s[28:29], v[14:15]
	v_mov_b32_e32 v14, v11
	v_mad_u64_u32 v[14:15], s[16:17], s37, v6, v[14:15]
	v_lshlrev_b32_e32 v9, 1, v12
	s_lshl_b64 s[16:17], s[42:43], 6
	s_lshl_b64 s[38:39], s[38:39], 1
	v_lshl_or_b32 v16, v4, 6, v9
	v_lshlrev_b32_e32 v9, 1, v6
	s_add_u32 s16, s38, s16
	v_lshl_or_b32 v9, v8, 4, v9
	v_mov_b32_e32 v11, v14
	s_addc_u32 s17, s39, s17
	v_mov_b32_e32 v13, v1
	v_add_u32_e32 v17, 0x200, v9
	v_lshl_add_u64 v[10:11], v[10:11], 1, s[16:17]
	v_lshlrev_b32_e32 v8, 1, v8
	v_mov_b32_e32 v9, v1
	v_lshl_add_u64 v[8:9], v[10:11], 0, v[8:9]
	v_lshl_add_u64 v[10:11], s[8:9], 0, v[12:13]
	v_mul_lo_u32 v12, s19, v10
	v_mul_lo_u32 v13, s18, v11
	v_mad_u64_u32 v[10:11], s[18:19], s18, v10, 0
	v_add3_u32 v11, v11, v13, v12
	s_lshl_b64 s[18:19], s[20:21], 1
	v_lshl_add_u64 v[10:11], v[10:11], 1, s[18:19]
	v_lshlrev_b32_e32 v12, 1, v4
	v_mov_b32_e32 v13, v1
	v_lshl_add_u64 v[10:11], v[10:11], 0, v[12:13]
	v_mov_b32_e32 v5, v1
	v_mov_b32_e32 v7, v1
	v_lshlrev_b32_e32 v18, 1, v2
	v_add_u32_e32 v19, 0x200, v19
	s_waitcnt lgkmcnt(0)
	v_lshl_add_u64 v[8:9], s[22:23], 0, v[8:9]
	s_lshl_b64 s[16:17], s[36:37], 4
	v_lshl_add_u64 v[10:11], s[44:45], 0, v[10:11]
	s_mov_b64 s[18:19], 0
	s_mov_b32 s22, 0x5040100
	v_mov_b64_e32 v[12:13], s[34:35]
	v_mov_b32_e32 v15, v1
	v_mov_b32_e32 v14, v1
	s_branch .LBB171_3
.LBB171_2:                              ;   in Loop: Header=BB171_3 Depth=1
	s_or_b64 exec, exec, s[20:21]
	s_waitcnt vmcnt(0) lgkmcnt(0)
	ds_write_b16 v17, v20
	s_waitcnt lgkmcnt(0)
	s_barrier
	ds_read_u16 v28, v18
	ds_read_u16 v29, v18 offset:32
	ds_read_u16 v30, v18 offset:64
	;; [unrolled: 1-line block ×7, first 2 shown]
	ds_read_b128 v[20:23], v19
	ds_read_b128 v[24:27], v19 offset:256
	ds_read_u16 v36, v18 offset:256
	ds_read_u16 v37, v18 offset:288
	;; [unrolled: 1-line block ×8, first 2 shown]
	s_waitcnt lgkmcnt(14)
	v_perm_b32 v28, v29, v28, s22
	s_waitcnt lgkmcnt(8)
	v_pk_fma_f16 v14, v28, v24, v14 op_sel_hi:[1,0,1]
	v_pk_fma_f16 v15, v28, v20, v15 op_sel_hi:[1,0,1]
	v_perm_b32 v28, v31, v30, s22
	v_pk_fma_f16 v15, v28, v20, v15 op_sel:[0,1,0]
	v_pk_fma_f16 v14, v28, v24, v14 op_sel:[0,1,0]
	v_perm_b32 v20, v33, v32, s22
	v_pk_fma_f16 v14, v20, v25, v14 op_sel_hi:[1,0,1]
	v_pk_fma_f16 v15, v20, v21, v15 op_sel_hi:[1,0,1]
	v_perm_b32 v20, v35, v34, s22
	v_pk_fma_f16 v15, v20, v21, v15 op_sel:[0,1,0]
	v_pk_fma_f16 v14, v20, v25, v14 op_sel:[0,1,0]
	s_waitcnt lgkmcnt(6)
	v_perm_b32 v20, v37, v36, s22
	v_pk_fma_f16 v14, v20, v26, v14 op_sel_hi:[1,0,1]
	v_pk_fma_f16 v15, v20, v22, v15 op_sel_hi:[1,0,1]
	s_waitcnt lgkmcnt(4)
	v_perm_b32 v20, v39, v38, s22
	s_add_u32 s18, s18, 8
	v_pk_fma_f16 v15, v20, v22, v15 op_sel:[0,1,0]
	v_pk_fma_f16 v14, v20, v26, v14 op_sel:[0,1,0]
	s_waitcnt lgkmcnt(2)
	v_perm_b32 v20, v41, v40, s22
	s_addc_u32 s19, s19, 0
	v_pk_fma_f16 v14, v20, v27, v14 op_sel_hi:[1,0,1]
	v_pk_fma_f16 v15, v20, v23, v15 op_sel_hi:[1,0,1]
	s_waitcnt lgkmcnt(0)
	v_perm_b32 v20, v43, v42, s22
	v_cmp_lt_i64_e32 vcc, s[18:19], v[12:13]
	v_pk_fma_f16 v15, v20, v23, v15 op_sel:[0,1,0]
	v_pk_fma_f16 v14, v20, v27, v14 op_sel:[0,1,0]
	v_lshl_add_u64 v[8:9], v[8:9], 0, s[16:17]
	v_lshl_add_u64 v[10:11], v[10:11], 0, 16
	s_barrier
	s_cbranch_vccz .LBB171_8
.LBB171_3:                              ; =>This Inner Loop Header: Depth=1
	v_lshl_add_u64 v[20:21], v[4:5], 0, s[18:19]
	v_cmp_gt_i64_e32 vcc, s[34:35], v[20:21]
	s_and_b64 s[36:37], s[2:3], vcc
	v_mov_b32_e32 v20, 0
	v_mov_b32_e32 v21, 0
	s_and_saveexec_b64 s[20:21], s[36:37]
	s_cbranch_execz .LBB171_5
; %bb.4:                                ;   in Loop: Header=BB171_3 Depth=1
	flat_load_ushort v21, v[10:11]
.LBB171_5:                              ;   in Loop: Header=BB171_3 Depth=1
	s_or_b64 exec, exec, s[20:21]
	v_lshl_add_u64 v[22:23], v[6:7], 0, s[18:19]
	v_cmp_gt_i64_e32 vcc, s[34:35], v[22:23]
	s_and_b64 s[36:37], vcc, s[4:5]
	s_waitcnt vmcnt(0) lgkmcnt(0)
	ds_write_b16 v16, v21
	s_and_saveexec_b64 s[20:21], s[36:37]
	s_cbranch_execz .LBB171_2
; %bb.6:                                ;   in Loop: Header=BB171_3 Depth=1
	flat_load_ushort v20, v[8:9]
	s_branch .LBB171_2
.LBB171_7:
	v_mov_b32_e32 v14, v1
	v_mov_b32_e32 v15, v1
.LBB171_8:
	s_load_dword s18, s[0:1], 0x18
	s_load_dword s19, s[0:1], 0x50
	s_lshl_b64 s[0:1], s[26:27], 1
	s_waitcnt lgkmcnt(0)
	s_add_u32 s14, s14, s0
	v_lshl_add_u64 v[0:1], s[40:41], 0, v[0:1]
	s_addc_u32 s15, s15, s1
	v_cmp_neq_f16_e64 s[2:3], s19, 0
	v_cmp_gt_i64_e64 s[0:1], s[30:31], v[0:1]
	s_and_b64 vcc, exec, s[2:3]
	s_cbranch_vccnz .LBB171_21
; %bb.9:
	s_and_saveexec_b64 s[16:17], s[0:1]
	s_cbranch_execz .LBB171_19
; %bb.10:
	v_mul_lo_u32 v8, v1, s24
	v_mul_lo_u32 v9, v0, s25
	v_mad_u64_u32 v[6:7], s[2:3], v0, s24, 0
	v_add3_u32 v7, v7, v9, v8
	v_lshl_add_u64 v[4:5], s[8:9], 0, v[2:3]
	v_lshl_add_u64 v[6:7], v[6:7], 1, s[14:15]
	v_cmp_gt_i64_e32 vcc, s[28:29], v[4:5]
	v_lshl_add_u64 v[8:9], v[4:5], 1, v[6:7]
	s_and_saveexec_b64 s[2:3], vcc
	s_cbranch_execz .LBB171_12
; %bb.11:
	v_mul_f16_e32 v10, s18, v15
	flat_store_short v[8:9], v10
.LBB171_12:
	s_or_b64 exec, exec, s[2:3]
	v_lshl_add_u64 v[10:11], v[4:5], 0, 16
	v_cmp_gt_i64_e64 s[2:3], s[28:29], v[10:11]
	s_and_saveexec_b64 s[4:5], s[2:3]
	s_cbranch_execz .LBB171_14
; %bb.13:
	v_mul_f16_sdwa v10, s18, v15 dst_sel:DWORD dst_unused:UNUSED_PAD src0_sel:DWORD src1_sel:WORD_1
	flat_store_short v[8:9], v10 offset:32
.LBB171_14:
	s_or_b64 exec, exec, s[4:5]
	v_lshl_add_u64 v[8:9], v[0:1], 0, 16
	v_cmp_gt_i64_e64 s[4:5], s[30:31], v[8:9]
	s_and_b64 exec, exec, s[4:5]
	s_cbranch_execz .LBB171_19
; %bb.15:
	s_lshl_b64 s[4:5], s[24:25], 5
	v_lshl_add_u64 v[6:7], v[6:7], 0, s[4:5]
	v_lshl_add_u64 v[4:5], v[4:5], 1, v[6:7]
	s_and_saveexec_b64 s[4:5], vcc
	s_cbranch_execz .LBB171_17
; %bb.16:
	v_mul_f16_e32 v6, s18, v14
	flat_store_short v[4:5], v6
.LBB171_17:
	s_or_b64 exec, exec, s[4:5]
	s_and_b64 exec, exec, s[2:3]
	s_cbranch_execz .LBB171_19
; %bb.18:
	v_mul_f16_sdwa v6, s18, v14 dst_sel:DWORD dst_unused:UNUSED_PAD src0_sel:DWORD src1_sel:WORD_1
	flat_store_short v[4:5], v6 offset:32
.LBB171_19:
	s_or_b64 exec, exec, s[16:17]
	s_cbranch_execz .LBB171_22
.LBB171_20:
	s_endpgm
.LBB171_21:
.LBB171_22:
	s_and_saveexec_b64 s[2:3], s[0:1]
	s_cbranch_execz .LBB171_20
; %bb.23:
	s_lshl_b64 s[0:1], s[12:13], 1
	v_lshl_add_u64 v[8:9], s[8:9], 0, v[2:3]
	v_mul_lo_u32 v4, v1, s10
	v_mul_lo_u32 v5, v0, s11
	v_mad_u64_u32 v[2:3], s[2:3], v0, s10, 0
	s_add_u32 s0, s6, s0
	v_add3_u32 v3, v3, v5, v4
	v_mul_lo_u32 v6, v1, s24
	v_mul_lo_u32 v7, v0, s25
	v_mad_u64_u32 v[4:5], s[2:3], v0, s24, 0
	s_addc_u32 s1, s7, s1
	v_add3_u32 v5, v5, v7, v6
	v_cmp_gt_i64_e32 vcc, s[28:29], v[8:9]
	v_lshl_add_u64 v[6:7], v[2:3], 1, s[0:1]
	v_lshl_add_u64 v[4:5], v[4:5], 1, s[14:15]
	v_lshlrev_b64 v[2:3], 1, v[8:9]
	s_and_saveexec_b64 s[0:1], vcc
	s_cbranch_execz .LBB171_25
; %bb.24:
	v_lshl_add_u64 v[10:11], v[6:7], 0, v[2:3]
	flat_load_ushort v10, v[10:11]
	s_waitcnt vmcnt(0) lgkmcnt(0)
	v_mul_f16_e32 v10, s19, v10
	v_fma_f16 v12, s18, v15, v10
	v_lshl_add_u64 v[10:11], v[4:5], 0, v[2:3]
	flat_store_short v[10:11], v12
.LBB171_25:
	s_or_b64 exec, exec, s[0:1]
	v_lshl_add_u64 v[8:9], v[8:9], 0, 16
	v_cmp_gt_i64_e64 s[0:1], s[28:29], v[8:9]
	s_and_saveexec_b64 s[2:3], s[0:1]
	s_cbranch_execz .LBB171_27
; %bb.26:
	v_lshl_add_u64 v[8:9], v[6:7], 0, v[2:3]
	flat_load_ushort v8, v[8:9] offset:32
	v_lshrrev_b32_e32 v9, 16, v15
	s_waitcnt vmcnt(0) lgkmcnt(0)
	v_mul_f16_e32 v8, s19, v8
	v_fma_f16 v10, s18, v9, v8
	v_lshl_add_u64 v[8:9], v[4:5], 0, v[2:3]
	flat_store_short v[8:9], v10 offset:32
.LBB171_27:
	s_or_b64 exec, exec, s[2:3]
	v_lshl_add_u64 v[0:1], v[0:1], 0, 16
	v_cmp_gt_i64_e64 s[2:3], s[30:31], v[0:1]
	s_and_b64 exec, exec, s[2:3]
	s_cbranch_execz .LBB171_20
; %bb.28:
	s_lshl_b64 s[2:3], s[10:11], 5
	v_lshl_add_u64 v[0:1], v[6:7], 0, s[2:3]
	s_lshl_b64 s[2:3], s[24:25], 5
	v_lshl_add_u64 v[6:7], v[4:5], 0, s[2:3]
	v_lshl_add_u64 v[4:5], v[0:1], 0, v[2:3]
	;; [unrolled: 1-line block ×3, first 2 shown]
	s_and_saveexec_b64 s[2:3], vcc
	s_cbranch_execz .LBB171_30
; %bb.29:
	flat_load_ushort v2, v[4:5]
	s_waitcnt vmcnt(0) lgkmcnt(0)
	v_mul_f16_e32 v2, s19, v2
	v_fma_f16 v2, s18, v14, v2
	flat_store_short v[0:1], v2
.LBB171_30:
	s_or_b64 exec, exec, s[2:3]
	s_and_b64 exec, exec, s[0:1]
	s_cbranch_execz .LBB171_20
; %bb.31:
	flat_load_ushort v2, v[4:5] offset:32
	v_lshrrev_b32_e32 v3, 16, v14
	s_waitcnt vmcnt(0) lgkmcnt(0)
	v_mul_f16_e32 v2, s19, v2
	v_fma_f16 v2, s18, v3, v2
	flat_store_short v[0:1], v2 offset:32
	s_endpgm
	.section	.rodata,"a",@progbits
	.p2align	6, 0x0
	.amdhsa_kernel _ZN12_GLOBAL__N_135rocblas_gemm_batched_general_kernelIDF16_Li16ELi16ELi32ELi32ELi8ELi32ELi8ELi8ELi32ELc67ELc84EKPKDF16_S3_KPDF16_EEvlllT_PT11_llS8_llS6_PT12_llPT13_lli
		.amdhsa_group_segment_fixed_size 1024
		.amdhsa_private_segment_fixed_size 0
		.amdhsa_kernarg_size 140
		.amdhsa_user_sgpr_count 2
		.amdhsa_user_sgpr_dispatch_ptr 0
		.amdhsa_user_sgpr_queue_ptr 0
		.amdhsa_user_sgpr_kernarg_segment_ptr 1
		.amdhsa_user_sgpr_dispatch_id 0
		.amdhsa_user_sgpr_kernarg_preload_length 0
		.amdhsa_user_sgpr_kernarg_preload_offset 0
		.amdhsa_user_sgpr_private_segment_size 0
		.amdhsa_uses_dynamic_stack 0
		.amdhsa_enable_private_segment 0
		.amdhsa_system_sgpr_workgroup_id_x 1
		.amdhsa_system_sgpr_workgroup_id_y 1
		.amdhsa_system_sgpr_workgroup_id_z 1
		.amdhsa_system_sgpr_workgroup_info 0
		.amdhsa_system_vgpr_workitem_id 1
		.amdhsa_next_free_vgpr 44
		.amdhsa_next_free_sgpr 46
		.amdhsa_accum_offset 44
		.amdhsa_reserve_vcc 1
		.amdhsa_float_round_mode_32 0
		.amdhsa_float_round_mode_16_64 0
		.amdhsa_float_denorm_mode_32 3
		.amdhsa_float_denorm_mode_16_64 3
		.amdhsa_dx10_clamp 1
		.amdhsa_ieee_mode 1
		.amdhsa_fp16_overflow 0
		.amdhsa_tg_split 0
		.amdhsa_exception_fp_ieee_invalid_op 0
		.amdhsa_exception_fp_denorm_src 0
		.amdhsa_exception_fp_ieee_div_zero 0
		.amdhsa_exception_fp_ieee_overflow 0
		.amdhsa_exception_fp_ieee_underflow 0
		.amdhsa_exception_fp_ieee_inexact 0
		.amdhsa_exception_int_div_zero 0
	.end_amdhsa_kernel
	.section	.text._ZN12_GLOBAL__N_135rocblas_gemm_batched_general_kernelIDF16_Li16ELi16ELi32ELi32ELi8ELi32ELi8ELi8ELi32ELc67ELc84EKPKDF16_S3_KPDF16_EEvlllT_PT11_llS8_llS6_PT12_llPT13_lli,"axG",@progbits,_ZN12_GLOBAL__N_135rocblas_gemm_batched_general_kernelIDF16_Li16ELi16ELi32ELi32ELi8ELi32ELi8ELi8ELi32ELc67ELc84EKPKDF16_S3_KPDF16_EEvlllT_PT11_llS8_llS6_PT12_llPT13_lli,comdat
.Lfunc_end171:
	.size	_ZN12_GLOBAL__N_135rocblas_gemm_batched_general_kernelIDF16_Li16ELi16ELi32ELi32ELi8ELi32ELi8ELi8ELi32ELc67ELc84EKPKDF16_S3_KPDF16_EEvlllT_PT11_llS8_llS6_PT12_llPT13_lli, .Lfunc_end171-_ZN12_GLOBAL__N_135rocblas_gemm_batched_general_kernelIDF16_Li16ELi16ELi32ELi32ELi8ELi32ELi8ELi8ELi32ELc67ELc84EKPKDF16_S3_KPDF16_EEvlllT_PT11_llS8_llS6_PT12_llPT13_lli
                                        ; -- End function
	.set _ZN12_GLOBAL__N_135rocblas_gemm_batched_general_kernelIDF16_Li16ELi16ELi32ELi32ELi8ELi32ELi8ELi8ELi32ELc67ELc84EKPKDF16_S3_KPDF16_EEvlllT_PT11_llS8_llS6_PT12_llPT13_lli.num_vgpr, 44
	.set _ZN12_GLOBAL__N_135rocblas_gemm_batched_general_kernelIDF16_Li16ELi16ELi32ELi32ELi8ELi32ELi8ELi8ELi32ELc67ELc84EKPKDF16_S3_KPDF16_EEvlllT_PT11_llS8_llS6_PT12_llPT13_lli.num_agpr, 0
	.set _ZN12_GLOBAL__N_135rocblas_gemm_batched_general_kernelIDF16_Li16ELi16ELi32ELi32ELi8ELi32ELi8ELi8ELi32ELc67ELc84EKPKDF16_S3_KPDF16_EEvlllT_PT11_llS8_llS6_PT12_llPT13_lli.numbered_sgpr, 46
	.set _ZN12_GLOBAL__N_135rocblas_gemm_batched_general_kernelIDF16_Li16ELi16ELi32ELi32ELi8ELi32ELi8ELi8ELi32ELc67ELc84EKPKDF16_S3_KPDF16_EEvlllT_PT11_llS8_llS6_PT12_llPT13_lli.num_named_barrier, 0
	.set _ZN12_GLOBAL__N_135rocblas_gemm_batched_general_kernelIDF16_Li16ELi16ELi32ELi32ELi8ELi32ELi8ELi8ELi32ELc67ELc84EKPKDF16_S3_KPDF16_EEvlllT_PT11_llS8_llS6_PT12_llPT13_lli.private_seg_size, 0
	.set _ZN12_GLOBAL__N_135rocblas_gemm_batched_general_kernelIDF16_Li16ELi16ELi32ELi32ELi8ELi32ELi8ELi8ELi32ELc67ELc84EKPKDF16_S3_KPDF16_EEvlllT_PT11_llS8_llS6_PT12_llPT13_lli.uses_vcc, 1
	.set _ZN12_GLOBAL__N_135rocblas_gemm_batched_general_kernelIDF16_Li16ELi16ELi32ELi32ELi8ELi32ELi8ELi8ELi32ELc67ELc84EKPKDF16_S3_KPDF16_EEvlllT_PT11_llS8_llS6_PT12_llPT13_lli.uses_flat_scratch, 0
	.set _ZN12_GLOBAL__N_135rocblas_gemm_batched_general_kernelIDF16_Li16ELi16ELi32ELi32ELi8ELi32ELi8ELi8ELi32ELc67ELc84EKPKDF16_S3_KPDF16_EEvlllT_PT11_llS8_llS6_PT12_llPT13_lli.has_dyn_sized_stack, 0
	.set _ZN12_GLOBAL__N_135rocblas_gemm_batched_general_kernelIDF16_Li16ELi16ELi32ELi32ELi8ELi32ELi8ELi8ELi32ELc67ELc84EKPKDF16_S3_KPDF16_EEvlllT_PT11_llS8_llS6_PT12_llPT13_lli.has_recursion, 0
	.set _ZN12_GLOBAL__N_135rocblas_gemm_batched_general_kernelIDF16_Li16ELi16ELi32ELi32ELi8ELi32ELi8ELi8ELi32ELc67ELc84EKPKDF16_S3_KPDF16_EEvlllT_PT11_llS8_llS6_PT12_llPT13_lli.has_indirect_call, 0
	.section	.AMDGPU.csdata,"",@progbits
; Kernel info:
; codeLenInByte = 1728
; TotalNumSgprs: 52
; NumVgprs: 44
; NumAgprs: 0
; TotalNumVgprs: 44
; ScratchSize: 0
; MemoryBound: 0
; FloatMode: 240
; IeeeMode: 1
; LDSByteSize: 1024 bytes/workgroup (compile time only)
; SGPRBlocks: 6
; VGPRBlocks: 5
; NumSGPRsForWavesPerEU: 52
; NumVGPRsForWavesPerEU: 44
; AccumOffset: 44
; Occupancy: 8
; WaveLimiterHint : 1
; COMPUTE_PGM_RSRC2:SCRATCH_EN: 0
; COMPUTE_PGM_RSRC2:USER_SGPR: 2
; COMPUTE_PGM_RSRC2:TRAP_HANDLER: 0
; COMPUTE_PGM_RSRC2:TGID_X_EN: 1
; COMPUTE_PGM_RSRC2:TGID_Y_EN: 1
; COMPUTE_PGM_RSRC2:TGID_Z_EN: 1
; COMPUTE_PGM_RSRC2:TIDIG_COMP_CNT: 1
; COMPUTE_PGM_RSRC3_GFX90A:ACCUM_OFFSET: 10
; COMPUTE_PGM_RSRC3_GFX90A:TG_SPLIT: 0
	.section	.text._ZN12_GLOBAL__N_135rocblas_gemm_batched_general_kernelIDF16_Li16ELi16ELi32ELi32ELi8ELi32ELi8ELi8ELi32ELc78ELc67EKPKDF16_S3_KPDF16_EEvlllT_PT11_llS8_llS6_PT12_llPT13_lli,"axG",@progbits,_ZN12_GLOBAL__N_135rocblas_gemm_batched_general_kernelIDF16_Li16ELi16ELi32ELi32ELi8ELi32ELi8ELi8ELi32ELc78ELc67EKPKDF16_S3_KPDF16_EEvlllT_PT11_llS8_llS6_PT12_llPT13_lli,comdat
	.globl	_ZN12_GLOBAL__N_135rocblas_gemm_batched_general_kernelIDF16_Li16ELi16ELi32ELi32ELi8ELi32ELi8ELi8ELi32ELc78ELc67EKPKDF16_S3_KPDF16_EEvlllT_PT11_llS8_llS6_PT12_llPT13_lli ; -- Begin function _ZN12_GLOBAL__N_135rocblas_gemm_batched_general_kernelIDF16_Li16ELi16ELi32ELi32ELi8ELi32ELi8ELi8ELi32ELc78ELc67EKPKDF16_S3_KPDF16_EEvlllT_PT11_llS8_llS6_PT12_llPT13_lli
	.p2align	8
	.type	_ZN12_GLOBAL__N_135rocblas_gemm_batched_general_kernelIDF16_Li16ELi16ELi32ELi32ELi8ELi32ELi8ELi8ELi32ELc78ELc67EKPKDF16_S3_KPDF16_EEvlllT_PT11_llS8_llS6_PT12_llPT13_lli,@function
_ZN12_GLOBAL__N_135rocblas_gemm_batched_general_kernelIDF16_Li16ELi16ELi32ELi32ELi8ELi32ELi8ELi8ELi32ELc78ELc67EKPKDF16_S3_KPDF16_EEvlllT_PT11_llS8_llS6_PT12_llPT13_lli: ; @_ZN12_GLOBAL__N_135rocblas_gemm_batched_general_kernelIDF16_Li16ELi16ELi32ELi32ELi8ELi32ELi8ELi8ELi32ELc78ELc67EKPKDF16_S3_KPDF16_EEvlllT_PT11_llS8_llS6_PT12_llPT13_lli
; %bb.0:
	s_load_dwordx4 s[28:31], s[0:1], 0x0
	s_load_dwordx2 s[34:35], s[0:1], 0x10
	s_load_dwordx4 s[24:27], s[0:1], 0x78
	s_load_dwordx8 s[8:15], s[0:1], 0x58
	s_mov_b32 s5, 0
	s_lshl_b64 s[4:5], s[4:5], 3
	s_mov_b32 s44, s3
	v_mov_b32_e32 v1, 0
	s_waitcnt lgkmcnt(0)
	s_add_u32 s6, s8, s4
	s_addc_u32 s7, s9, s5
	s_load_dwordx2 s[8:9], s[6:7], 0x0
	s_add_u32 s6, s14, s4
	s_addc_u32 s7, s15, s5
	s_load_dwordx2 s[40:41], s[6:7], 0x0
	s_ashr_i32 s3, s2, 31
	s_ashr_i32 s45, s44, 31
	v_cmp_lt_i64_e64 s[6:7], s[34:35], 1
	v_and_b32_e32 v2, 0x3ff, v0
	v_bfe_u32 v0, v0, 10, 10
	v_mov_b32_e32 v3, v1
	s_lshl_b64 s[14:15], s[2:3], 5
	s_lshl_b64 s[42:43], s[44:45], 5
	s_and_b64 vcc, exec, s[6:7]
	s_cbranch_vccnz .LBB172_7
; %bb.1:
	s_load_dwordx8 s[16:23], s[0:1], 0x20
	s_load_dwordx4 s[36:39], s[0:1], 0x40
	v_lshlrev_b32_e32 v14, 4, v0
	v_add_u32_e32 v12, v14, v2
	v_lshrrev_b32_e32 v8, 3, v12
	s_waitcnt lgkmcnt(0)
	s_add_u32 s6, s22, s4
	s_addc_u32 s7, s23, s5
	s_add_u32 s4, s16, s4
	v_mov_b32_e32 v9, v1
	v_and_b32_e32 v6, 7, v2
	s_addc_u32 s5, s17, s5
	v_lshl_add_u64 v[10:11], v[8:9], 0, s[42:43]
	s_load_dwordx2 s[46:47], s[4:5], 0x0
	v_cmp_gt_i64_e64 s[4:5], s[30:31], v[10:11]
	v_mad_u64_u32 v[10:11], s[16:17], s36, v6, 0
	v_add_u32_e32 v19, 0x200, v14
	v_mov_b32_e32 v14, v11
	v_and_b32_e32 v9, 31, v12
	v_mad_u64_u32 v[14:15], s[16:17], s37, v6, v[14:15]
	v_lshrrev_b32_e32 v4, 5, v12
	s_load_dwordx2 s[22:23], s[6:7], 0x0
	v_or_b32_e32 v12, s14, v9
	v_mov_b32_e32 v13, s15
	s_lshl_b64 s[16:17], s[44:45], 6
	s_lshl_b64 s[38:39], s[38:39], 1
	v_cmp_gt_i64_e64 s[6:7], s[28:29], v[12:13]
	v_lshlrev_b32_e32 v12, 1, v9
	v_lshlrev_b32_e32 v9, 1, v6
	s_add_u32 s16, s38, s16
	v_lshl_or_b32 v9, v8, 4, v9
	v_mov_b32_e32 v11, v14
	s_addc_u32 s17, s39, s17
	v_add_u32_e32 v17, 0x200, v9
	v_lshl_add_u64 v[10:11], v[10:11], 1, s[16:17]
	v_lshlrev_b32_e32 v8, 1, v8
	v_mov_b32_e32 v9, v1
	v_lshl_add_u64 v[8:9], v[10:11], 0, v[8:9]
	s_waitcnt lgkmcnt(0)
	v_lshl_add_u64 v[8:9], s[22:23], 0, v[8:9]
	v_mad_u64_u32 v[10:11], s[22:23], s18, v4, 0
	s_lshl_b64 s[16:17], s[36:37], 4
	v_mov_b32_e32 v14, v11
	s_lshl_b64 s[2:3], s[2:3], 6
	s_lshl_b64 s[20:21], s[20:21], 1
	v_mad_u64_u32 v[14:15], s[22:23], s19, v4, v[14:15]
	s_add_u32 s2, s20, s2
	v_mov_b32_e32 v11, v14
	s_addc_u32 s3, s21, s3
	v_lshl_add_u64 v[10:11], v[10:11], 1, s[2:3]
	v_mov_b32_e32 v13, v1
	v_lshl_add_u64 v[10:11], v[10:11], 0, v[12:13]
	v_mov_b32_e32 v5, v1
	v_mov_b32_e32 v7, v1
	v_lshl_or_b32 v16, v4, 6, v12
	v_lshlrev_b32_e32 v18, 1, v2
	v_lshl_add_u64 v[10:11], s[46:47], 0, v[10:11]
	s_lshl_b64 s[2:3], s[18:19], 4
	s_mov_b64 s[18:19], 0
	s_mov_b32 s22, 0x5040100
	v_mov_b64_e32 v[12:13], s[34:35]
	v_mov_b32_e32 v15, v1
	v_mov_b32_e32 v14, v1
	s_branch .LBB172_3
.LBB172_2:                              ;   in Loop: Header=BB172_3 Depth=1
	s_or_b64 exec, exec, s[20:21]
	s_waitcnt vmcnt(0) lgkmcnt(0)
	ds_write_b16 v17, v20
	s_waitcnt lgkmcnt(0)
	s_barrier
	ds_read_u16 v28, v18
	ds_read_u16 v29, v18 offset:32
	ds_read_u16 v30, v18 offset:64
	;; [unrolled: 1-line block ×7, first 2 shown]
	ds_read_b128 v[20:23], v19
	ds_read_b128 v[24:27], v19 offset:256
	ds_read_u16 v36, v18 offset:256
	ds_read_u16 v37, v18 offset:288
	;; [unrolled: 1-line block ×8, first 2 shown]
	s_waitcnt lgkmcnt(14)
	v_perm_b32 v28, v29, v28, s22
	s_waitcnt lgkmcnt(8)
	v_pk_fma_f16 v14, v28, v24, v14 op_sel_hi:[1,0,1]
	v_pk_fma_f16 v15, v28, v20, v15 op_sel_hi:[1,0,1]
	v_perm_b32 v28, v31, v30, s22
	v_pk_fma_f16 v15, v28, v20, v15 op_sel:[0,1,0]
	v_pk_fma_f16 v14, v28, v24, v14 op_sel:[0,1,0]
	v_perm_b32 v20, v33, v32, s22
	v_pk_fma_f16 v14, v20, v25, v14 op_sel_hi:[1,0,1]
	v_pk_fma_f16 v15, v20, v21, v15 op_sel_hi:[1,0,1]
	v_perm_b32 v20, v35, v34, s22
	v_pk_fma_f16 v15, v20, v21, v15 op_sel:[0,1,0]
	v_pk_fma_f16 v14, v20, v25, v14 op_sel:[0,1,0]
	s_waitcnt lgkmcnt(6)
	v_perm_b32 v20, v37, v36, s22
	v_pk_fma_f16 v14, v20, v26, v14 op_sel_hi:[1,0,1]
	v_pk_fma_f16 v15, v20, v22, v15 op_sel_hi:[1,0,1]
	s_waitcnt lgkmcnt(4)
	v_perm_b32 v20, v39, v38, s22
	s_add_u32 s18, s18, 8
	v_pk_fma_f16 v15, v20, v22, v15 op_sel:[0,1,0]
	v_pk_fma_f16 v14, v20, v26, v14 op_sel:[0,1,0]
	s_waitcnt lgkmcnt(2)
	v_perm_b32 v20, v41, v40, s22
	s_addc_u32 s19, s19, 0
	v_pk_fma_f16 v14, v20, v27, v14 op_sel_hi:[1,0,1]
	v_pk_fma_f16 v15, v20, v23, v15 op_sel_hi:[1,0,1]
	s_waitcnt lgkmcnt(0)
	v_perm_b32 v20, v43, v42, s22
	v_cmp_lt_i64_e32 vcc, s[18:19], v[12:13]
	v_pk_fma_f16 v15, v20, v23, v15 op_sel:[0,1,0]
	v_pk_fma_f16 v14, v20, v27, v14 op_sel:[0,1,0]
	v_lshl_add_u64 v[8:9], v[8:9], 0, s[16:17]
	v_lshl_add_u64 v[10:11], v[10:11], 0, s[2:3]
	s_barrier
	s_cbranch_vccz .LBB172_8
.LBB172_3:                              ; =>This Inner Loop Header: Depth=1
	v_lshl_add_u64 v[20:21], v[4:5], 0, s[18:19]
	v_cmp_gt_i64_e32 vcc, s[34:35], v[20:21]
	s_and_b64 s[36:37], s[6:7], vcc
	v_mov_b32_e32 v20, 0
	v_mov_b32_e32 v21, 0
	s_and_saveexec_b64 s[20:21], s[36:37]
	s_cbranch_execz .LBB172_5
; %bb.4:                                ;   in Loop: Header=BB172_3 Depth=1
	flat_load_ushort v21, v[10:11]
.LBB172_5:                              ;   in Loop: Header=BB172_3 Depth=1
	s_or_b64 exec, exec, s[20:21]
	v_lshl_add_u64 v[22:23], v[6:7], 0, s[18:19]
	v_cmp_gt_i64_e32 vcc, s[34:35], v[22:23]
	s_and_b64 s[36:37], vcc, s[4:5]
	s_waitcnt vmcnt(0) lgkmcnt(0)
	ds_write_b16 v16, v21
	s_and_saveexec_b64 s[20:21], s[36:37]
	s_cbranch_execz .LBB172_2
; %bb.6:                                ;   in Loop: Header=BB172_3 Depth=1
	flat_load_ushort v20, v[8:9]
	s_branch .LBB172_2
.LBB172_7:
	v_mov_b32_e32 v14, v1
	v_mov_b32_e32 v15, v1
.LBB172_8:
	s_load_dword s18, s[0:1], 0x18
	s_load_dword s19, s[0:1], 0x50
	s_lshl_b64 s[0:1], s[26:27], 1
	s_waitcnt lgkmcnt(0)
	s_add_u32 s6, s40, s0
	v_lshl_add_u64 v[0:1], s[42:43], 0, v[0:1]
	s_addc_u32 s7, s41, s1
	v_cmp_neq_f16_e64 s[2:3], s19, 0
	v_cmp_gt_i64_e64 s[0:1], s[30:31], v[0:1]
	s_and_b64 vcc, exec, s[2:3]
	s_cbranch_vccnz .LBB172_21
; %bb.9:
	s_and_saveexec_b64 s[16:17], s[0:1]
	s_cbranch_execz .LBB172_19
; %bb.10:
	v_mul_lo_u32 v8, v1, s24
	v_mul_lo_u32 v9, v0, s25
	v_mad_u64_u32 v[6:7], s[2:3], v0, s24, 0
	v_add3_u32 v7, v7, v9, v8
	v_lshl_add_u64 v[4:5], s[14:15], 0, v[2:3]
	v_lshl_add_u64 v[6:7], v[6:7], 1, s[6:7]
	v_cmp_gt_i64_e32 vcc, s[28:29], v[4:5]
	v_lshl_add_u64 v[8:9], v[4:5], 1, v[6:7]
	s_and_saveexec_b64 s[2:3], vcc
	s_cbranch_execz .LBB172_12
; %bb.11:
	v_mul_f16_e32 v10, s18, v15
	flat_store_short v[8:9], v10
.LBB172_12:
	s_or_b64 exec, exec, s[2:3]
	v_lshl_add_u64 v[10:11], v[4:5], 0, 16
	v_cmp_gt_i64_e64 s[2:3], s[28:29], v[10:11]
	s_and_saveexec_b64 s[4:5], s[2:3]
	s_cbranch_execz .LBB172_14
; %bb.13:
	v_mul_f16_sdwa v10, s18, v15 dst_sel:DWORD dst_unused:UNUSED_PAD src0_sel:DWORD src1_sel:WORD_1
	flat_store_short v[8:9], v10 offset:32
.LBB172_14:
	s_or_b64 exec, exec, s[4:5]
	v_lshl_add_u64 v[8:9], v[0:1], 0, 16
	v_cmp_gt_i64_e64 s[4:5], s[30:31], v[8:9]
	s_and_b64 exec, exec, s[4:5]
	s_cbranch_execz .LBB172_19
; %bb.15:
	s_lshl_b64 s[4:5], s[24:25], 5
	v_lshl_add_u64 v[6:7], v[6:7], 0, s[4:5]
	v_lshl_add_u64 v[4:5], v[4:5], 1, v[6:7]
	s_and_saveexec_b64 s[4:5], vcc
	s_cbranch_execz .LBB172_17
; %bb.16:
	v_mul_f16_e32 v6, s18, v14
	flat_store_short v[4:5], v6
.LBB172_17:
	s_or_b64 exec, exec, s[4:5]
	s_and_b64 exec, exec, s[2:3]
	s_cbranch_execz .LBB172_19
; %bb.18:
	v_mul_f16_sdwa v6, s18, v14 dst_sel:DWORD dst_unused:UNUSED_PAD src0_sel:DWORD src1_sel:WORD_1
	flat_store_short v[4:5], v6 offset:32
.LBB172_19:
	s_or_b64 exec, exec, s[16:17]
	s_cbranch_execz .LBB172_22
.LBB172_20:
	s_endpgm
.LBB172_21:
.LBB172_22:
	s_and_saveexec_b64 s[2:3], s[0:1]
	s_cbranch_execz .LBB172_20
; %bb.23:
	s_lshl_b64 s[0:1], s[12:13], 1
	v_lshl_add_u64 v[8:9], s[14:15], 0, v[2:3]
	v_mul_lo_u32 v4, v1, s10
	v_mul_lo_u32 v5, v0, s11
	v_mad_u64_u32 v[2:3], s[2:3], v0, s10, 0
	s_add_u32 s0, s8, s0
	v_add3_u32 v3, v3, v5, v4
	v_mul_lo_u32 v6, v1, s24
	v_mul_lo_u32 v7, v0, s25
	v_mad_u64_u32 v[4:5], s[2:3], v0, s24, 0
	s_addc_u32 s1, s9, s1
	v_add3_u32 v5, v5, v7, v6
	v_cmp_gt_i64_e32 vcc, s[28:29], v[8:9]
	v_lshl_add_u64 v[6:7], v[2:3], 1, s[0:1]
	v_lshl_add_u64 v[4:5], v[4:5], 1, s[6:7]
	v_lshlrev_b64 v[2:3], 1, v[8:9]
	s_and_saveexec_b64 s[0:1], vcc
	s_cbranch_execz .LBB172_25
; %bb.24:
	v_lshl_add_u64 v[10:11], v[6:7], 0, v[2:3]
	flat_load_ushort v10, v[10:11]
	s_waitcnt vmcnt(0) lgkmcnt(0)
	v_mul_f16_e32 v10, s19, v10
	v_fma_f16 v12, s18, v15, v10
	v_lshl_add_u64 v[10:11], v[4:5], 0, v[2:3]
	flat_store_short v[10:11], v12
.LBB172_25:
	s_or_b64 exec, exec, s[0:1]
	v_lshl_add_u64 v[8:9], v[8:9], 0, 16
	v_cmp_gt_i64_e64 s[0:1], s[28:29], v[8:9]
	s_and_saveexec_b64 s[2:3], s[0:1]
	s_cbranch_execz .LBB172_27
; %bb.26:
	v_lshl_add_u64 v[8:9], v[6:7], 0, v[2:3]
	flat_load_ushort v8, v[8:9] offset:32
	v_lshrrev_b32_e32 v9, 16, v15
	s_waitcnt vmcnt(0) lgkmcnt(0)
	v_mul_f16_e32 v8, s19, v8
	v_fma_f16 v10, s18, v9, v8
	v_lshl_add_u64 v[8:9], v[4:5], 0, v[2:3]
	flat_store_short v[8:9], v10 offset:32
.LBB172_27:
	s_or_b64 exec, exec, s[2:3]
	v_lshl_add_u64 v[0:1], v[0:1], 0, 16
	v_cmp_gt_i64_e64 s[2:3], s[30:31], v[0:1]
	s_and_b64 exec, exec, s[2:3]
	s_cbranch_execz .LBB172_20
; %bb.28:
	s_lshl_b64 s[2:3], s[10:11], 5
	v_lshl_add_u64 v[0:1], v[6:7], 0, s[2:3]
	s_lshl_b64 s[2:3], s[24:25], 5
	v_lshl_add_u64 v[6:7], v[4:5], 0, s[2:3]
	v_lshl_add_u64 v[4:5], v[0:1], 0, v[2:3]
	;; [unrolled: 1-line block ×3, first 2 shown]
	s_and_saveexec_b64 s[2:3], vcc
	s_cbranch_execz .LBB172_30
; %bb.29:
	flat_load_ushort v2, v[4:5]
	s_waitcnt vmcnt(0) lgkmcnt(0)
	v_mul_f16_e32 v2, s19, v2
	v_fma_f16 v2, s18, v14, v2
	flat_store_short v[0:1], v2
.LBB172_30:
	s_or_b64 exec, exec, s[2:3]
	s_and_b64 exec, exec, s[0:1]
	s_cbranch_execz .LBB172_20
; %bb.31:
	flat_load_ushort v2, v[4:5] offset:32
	v_lshrrev_b32_e32 v3, 16, v14
	s_waitcnt vmcnt(0) lgkmcnt(0)
	v_mul_f16_e32 v2, s19, v2
	v_fma_f16 v2, s18, v3, v2
	flat_store_short v[0:1], v2 offset:32
	s_endpgm
	.section	.rodata,"a",@progbits
	.p2align	6, 0x0
	.amdhsa_kernel _ZN12_GLOBAL__N_135rocblas_gemm_batched_general_kernelIDF16_Li16ELi16ELi32ELi32ELi8ELi32ELi8ELi8ELi32ELc78ELc67EKPKDF16_S3_KPDF16_EEvlllT_PT11_llS8_llS6_PT12_llPT13_lli
		.amdhsa_group_segment_fixed_size 1024
		.amdhsa_private_segment_fixed_size 0
		.amdhsa_kernarg_size 140
		.amdhsa_user_sgpr_count 2
		.amdhsa_user_sgpr_dispatch_ptr 0
		.amdhsa_user_sgpr_queue_ptr 0
		.amdhsa_user_sgpr_kernarg_segment_ptr 1
		.amdhsa_user_sgpr_dispatch_id 0
		.amdhsa_user_sgpr_kernarg_preload_length 0
		.amdhsa_user_sgpr_kernarg_preload_offset 0
		.amdhsa_user_sgpr_private_segment_size 0
		.amdhsa_uses_dynamic_stack 0
		.amdhsa_enable_private_segment 0
		.amdhsa_system_sgpr_workgroup_id_x 1
		.amdhsa_system_sgpr_workgroup_id_y 1
		.amdhsa_system_sgpr_workgroup_id_z 1
		.amdhsa_system_sgpr_workgroup_info 0
		.amdhsa_system_vgpr_workitem_id 1
		.amdhsa_next_free_vgpr 44
		.amdhsa_next_free_sgpr 48
		.amdhsa_accum_offset 44
		.amdhsa_reserve_vcc 1
		.amdhsa_float_round_mode_32 0
		.amdhsa_float_round_mode_16_64 0
		.amdhsa_float_denorm_mode_32 3
		.amdhsa_float_denorm_mode_16_64 3
		.amdhsa_dx10_clamp 1
		.amdhsa_ieee_mode 1
		.amdhsa_fp16_overflow 0
		.amdhsa_tg_split 0
		.amdhsa_exception_fp_ieee_invalid_op 0
		.amdhsa_exception_fp_denorm_src 0
		.amdhsa_exception_fp_ieee_div_zero 0
		.amdhsa_exception_fp_ieee_overflow 0
		.amdhsa_exception_fp_ieee_underflow 0
		.amdhsa_exception_fp_ieee_inexact 0
		.amdhsa_exception_int_div_zero 0
	.end_amdhsa_kernel
	.section	.text._ZN12_GLOBAL__N_135rocblas_gemm_batched_general_kernelIDF16_Li16ELi16ELi32ELi32ELi8ELi32ELi8ELi8ELi32ELc78ELc67EKPKDF16_S3_KPDF16_EEvlllT_PT11_llS8_llS6_PT12_llPT13_lli,"axG",@progbits,_ZN12_GLOBAL__N_135rocblas_gemm_batched_general_kernelIDF16_Li16ELi16ELi32ELi32ELi8ELi32ELi8ELi8ELi32ELc78ELc67EKPKDF16_S3_KPDF16_EEvlllT_PT11_llS8_llS6_PT12_llPT13_lli,comdat
.Lfunc_end172:
	.size	_ZN12_GLOBAL__N_135rocblas_gemm_batched_general_kernelIDF16_Li16ELi16ELi32ELi32ELi8ELi32ELi8ELi8ELi32ELc78ELc67EKPKDF16_S3_KPDF16_EEvlllT_PT11_llS8_llS6_PT12_llPT13_lli, .Lfunc_end172-_ZN12_GLOBAL__N_135rocblas_gemm_batched_general_kernelIDF16_Li16ELi16ELi32ELi32ELi8ELi32ELi8ELi8ELi32ELc78ELc67EKPKDF16_S3_KPDF16_EEvlllT_PT11_llS8_llS6_PT12_llPT13_lli
                                        ; -- End function
	.set _ZN12_GLOBAL__N_135rocblas_gemm_batched_general_kernelIDF16_Li16ELi16ELi32ELi32ELi8ELi32ELi8ELi8ELi32ELc78ELc67EKPKDF16_S3_KPDF16_EEvlllT_PT11_llS8_llS6_PT12_llPT13_lli.num_vgpr, 44
	.set _ZN12_GLOBAL__N_135rocblas_gemm_batched_general_kernelIDF16_Li16ELi16ELi32ELi32ELi8ELi32ELi8ELi8ELi32ELc78ELc67EKPKDF16_S3_KPDF16_EEvlllT_PT11_llS8_llS6_PT12_llPT13_lli.num_agpr, 0
	.set _ZN12_GLOBAL__N_135rocblas_gemm_batched_general_kernelIDF16_Li16ELi16ELi32ELi32ELi8ELi32ELi8ELi8ELi32ELc78ELc67EKPKDF16_S3_KPDF16_EEvlllT_PT11_llS8_llS6_PT12_llPT13_lli.numbered_sgpr, 48
	.set _ZN12_GLOBAL__N_135rocblas_gemm_batched_general_kernelIDF16_Li16ELi16ELi32ELi32ELi8ELi32ELi8ELi8ELi32ELc78ELc67EKPKDF16_S3_KPDF16_EEvlllT_PT11_llS8_llS6_PT12_llPT13_lli.num_named_barrier, 0
	.set _ZN12_GLOBAL__N_135rocblas_gemm_batched_general_kernelIDF16_Li16ELi16ELi32ELi32ELi8ELi32ELi8ELi8ELi32ELc78ELc67EKPKDF16_S3_KPDF16_EEvlllT_PT11_llS8_llS6_PT12_llPT13_lli.private_seg_size, 0
	.set _ZN12_GLOBAL__N_135rocblas_gemm_batched_general_kernelIDF16_Li16ELi16ELi32ELi32ELi8ELi32ELi8ELi8ELi32ELc78ELc67EKPKDF16_S3_KPDF16_EEvlllT_PT11_llS8_llS6_PT12_llPT13_lli.uses_vcc, 1
	.set _ZN12_GLOBAL__N_135rocblas_gemm_batched_general_kernelIDF16_Li16ELi16ELi32ELi32ELi8ELi32ELi8ELi8ELi32ELc78ELc67EKPKDF16_S3_KPDF16_EEvlllT_PT11_llS8_llS6_PT12_llPT13_lli.uses_flat_scratch, 0
	.set _ZN12_GLOBAL__N_135rocblas_gemm_batched_general_kernelIDF16_Li16ELi16ELi32ELi32ELi8ELi32ELi8ELi8ELi32ELc78ELc67EKPKDF16_S3_KPDF16_EEvlllT_PT11_llS8_llS6_PT12_llPT13_lli.has_dyn_sized_stack, 0
	.set _ZN12_GLOBAL__N_135rocblas_gemm_batched_general_kernelIDF16_Li16ELi16ELi32ELi32ELi8ELi32ELi8ELi8ELi32ELc78ELc67EKPKDF16_S3_KPDF16_EEvlllT_PT11_llS8_llS6_PT12_llPT13_lli.has_recursion, 0
	.set _ZN12_GLOBAL__N_135rocblas_gemm_batched_general_kernelIDF16_Li16ELi16ELi32ELi32ELi8ELi32ELi8ELi8ELi32ELc78ELc67EKPKDF16_S3_KPDF16_EEvlllT_PT11_llS8_llS6_PT12_llPT13_lli.has_indirect_call, 0
	.section	.AMDGPU.csdata,"",@progbits
; Kernel info:
; codeLenInByte = 1720
; TotalNumSgprs: 54
; NumVgprs: 44
; NumAgprs: 0
; TotalNumVgprs: 44
; ScratchSize: 0
; MemoryBound: 0
; FloatMode: 240
; IeeeMode: 1
; LDSByteSize: 1024 bytes/workgroup (compile time only)
; SGPRBlocks: 6
; VGPRBlocks: 5
; NumSGPRsForWavesPerEU: 54
; NumVGPRsForWavesPerEU: 44
; AccumOffset: 44
; Occupancy: 8
; WaveLimiterHint : 1
; COMPUTE_PGM_RSRC2:SCRATCH_EN: 0
; COMPUTE_PGM_RSRC2:USER_SGPR: 2
; COMPUTE_PGM_RSRC2:TRAP_HANDLER: 0
; COMPUTE_PGM_RSRC2:TGID_X_EN: 1
; COMPUTE_PGM_RSRC2:TGID_Y_EN: 1
; COMPUTE_PGM_RSRC2:TGID_Z_EN: 1
; COMPUTE_PGM_RSRC2:TIDIG_COMP_CNT: 1
; COMPUTE_PGM_RSRC3_GFX90A:ACCUM_OFFSET: 10
; COMPUTE_PGM_RSRC3_GFX90A:TG_SPLIT: 0
	.section	.text._ZN12_GLOBAL__N_135rocblas_gemm_batched_general_kernelIDF16_Li16ELi16ELi32ELi32ELi8ELi32ELi8ELi8ELi32ELc84ELc67EKPKDF16_S3_KPDF16_EEvlllT_PT11_llS8_llS6_PT12_llPT13_lli,"axG",@progbits,_ZN12_GLOBAL__N_135rocblas_gemm_batched_general_kernelIDF16_Li16ELi16ELi32ELi32ELi8ELi32ELi8ELi8ELi32ELc84ELc67EKPKDF16_S3_KPDF16_EEvlllT_PT11_llS8_llS6_PT12_llPT13_lli,comdat
	.globl	_ZN12_GLOBAL__N_135rocblas_gemm_batched_general_kernelIDF16_Li16ELi16ELi32ELi32ELi8ELi32ELi8ELi8ELi32ELc84ELc67EKPKDF16_S3_KPDF16_EEvlllT_PT11_llS8_llS6_PT12_llPT13_lli ; -- Begin function _ZN12_GLOBAL__N_135rocblas_gemm_batched_general_kernelIDF16_Li16ELi16ELi32ELi32ELi8ELi32ELi8ELi8ELi32ELc84ELc67EKPKDF16_S3_KPDF16_EEvlllT_PT11_llS8_llS6_PT12_llPT13_lli
	.p2align	8
	.type	_ZN12_GLOBAL__N_135rocblas_gemm_batched_general_kernelIDF16_Li16ELi16ELi32ELi32ELi8ELi32ELi8ELi8ELi32ELc84ELc67EKPKDF16_S3_KPDF16_EEvlllT_PT11_llS8_llS6_PT12_llPT13_lli,@function
_ZN12_GLOBAL__N_135rocblas_gemm_batched_general_kernelIDF16_Li16ELi16ELi32ELi32ELi8ELi32ELi8ELi8ELi32ELc84ELc67EKPKDF16_S3_KPDF16_EEvlllT_PT11_llS8_llS6_PT12_llPT13_lli: ; @_ZN12_GLOBAL__N_135rocblas_gemm_batched_general_kernelIDF16_Li16ELi16ELi32ELi32ELi8ELi32ELi8ELi8ELi32ELc84ELc67EKPKDF16_S3_KPDF16_EEvlllT_PT11_llS8_llS6_PT12_llPT13_lli
; %bb.0:
	s_load_dwordx4 s[28:31], s[0:1], 0x0
	s_load_dwordx2 s[34:35], s[0:1], 0x10
	s_load_dwordx4 s[24:27], s[0:1], 0x78
	s_load_dwordx8 s[8:15], s[0:1], 0x58
	s_mov_b32 s5, 0
	s_lshl_b64 s[4:5], s[4:5], 3
	s_mov_b32 s42, s3
	v_mov_b32_e32 v1, 0
	s_waitcnt lgkmcnt(0)
	s_add_u32 s6, s8, s4
	s_addc_u32 s7, s9, s5
	s_add_u32 s8, s14, s4
	s_addc_u32 s9, s15, s5
	s_load_dwordx2 s[6:7], s[6:7], 0x0
	s_ashr_i32 s3, s2, 31
	s_load_dwordx2 s[14:15], s[8:9], 0x0
	s_lshl_b64 s[8:9], s[2:3], 5
	s_ashr_i32 s43, s42, 31
	v_cmp_lt_i64_e64 s[2:3], s[34:35], 1
	v_and_b32_e32 v2, 0x3ff, v0
	v_bfe_u32 v0, v0, 10, 10
	v_mov_b32_e32 v3, v1
	s_lshl_b64 s[40:41], s[42:43], 5
	s_and_b64 vcc, exec, s[2:3]
	s_cbranch_vccnz .LBB173_7
; %bb.1:
	s_load_dwordx8 s[16:23], s[0:1], 0x20
	s_load_dwordx4 s[36:39], s[0:1], 0x40
	v_lshlrev_b32_e32 v19, 4, v0
	v_add_u32_e32 v12, v19, v2
	v_lshrrev_b32_e32 v8, 3, v12
	s_waitcnt lgkmcnt(0)
	s_add_u32 s2, s22, s4
	s_addc_u32 s3, s23, s5
	v_mov_b32_e32 v9, v1
	v_lshrrev_b32_e32 v4, 5, v12
	v_and_b32_e32 v6, 7, v2
	s_load_dwordx2 s[22:23], s[2:3], 0x0
	s_add_u32 s2, s16, s4
	v_lshl_add_u64 v[10:11], v[8:9], 0, s[40:41]
	v_and_b32_e32 v12, 31, v12
	s_addc_u32 s3, s17, s5
	v_or_b32_e32 v14, s8, v12
	v_mov_b32_e32 v15, s9
	v_cmp_gt_i64_e64 s[4:5], s[30:31], v[10:11]
	v_mad_u64_u32 v[10:11], s[16:17], s36, v6, 0
	s_load_dwordx2 s[44:45], s[2:3], 0x0
	v_cmp_gt_i64_e64 s[2:3], s[28:29], v[14:15]
	v_mov_b32_e32 v14, v11
	v_mad_u64_u32 v[14:15], s[16:17], s37, v6, v[14:15]
	v_lshlrev_b32_e32 v9, 1, v12
	s_lshl_b64 s[16:17], s[42:43], 6
	s_lshl_b64 s[38:39], s[38:39], 1
	v_lshl_or_b32 v16, v4, 6, v9
	v_lshlrev_b32_e32 v9, 1, v6
	s_add_u32 s16, s38, s16
	v_lshl_or_b32 v9, v8, 4, v9
	v_mov_b32_e32 v11, v14
	s_addc_u32 s17, s39, s17
	v_mov_b32_e32 v13, v1
	v_add_u32_e32 v17, 0x200, v9
	v_lshl_add_u64 v[10:11], v[10:11], 1, s[16:17]
	v_lshlrev_b32_e32 v8, 1, v8
	v_mov_b32_e32 v9, v1
	v_lshl_add_u64 v[8:9], v[10:11], 0, v[8:9]
	v_lshl_add_u64 v[10:11], s[8:9], 0, v[12:13]
	v_mul_lo_u32 v12, s19, v10
	v_mul_lo_u32 v13, s18, v11
	v_mad_u64_u32 v[10:11], s[18:19], s18, v10, 0
	v_add3_u32 v11, v11, v13, v12
	s_lshl_b64 s[18:19], s[20:21], 1
	v_lshl_add_u64 v[10:11], v[10:11], 1, s[18:19]
	v_lshlrev_b32_e32 v12, 1, v4
	v_mov_b32_e32 v13, v1
	v_lshl_add_u64 v[10:11], v[10:11], 0, v[12:13]
	v_mov_b32_e32 v5, v1
	v_mov_b32_e32 v7, v1
	v_lshlrev_b32_e32 v18, 1, v2
	v_add_u32_e32 v19, 0x200, v19
	s_waitcnt lgkmcnt(0)
	v_lshl_add_u64 v[8:9], s[22:23], 0, v[8:9]
	s_lshl_b64 s[16:17], s[36:37], 4
	v_lshl_add_u64 v[10:11], s[44:45], 0, v[10:11]
	s_mov_b64 s[18:19], 0
	s_mov_b32 s22, 0x5040100
	v_mov_b64_e32 v[12:13], s[34:35]
	v_mov_b32_e32 v15, v1
	v_mov_b32_e32 v14, v1
	s_branch .LBB173_3
.LBB173_2:                              ;   in Loop: Header=BB173_3 Depth=1
	s_or_b64 exec, exec, s[20:21]
	s_waitcnt vmcnt(0) lgkmcnt(0)
	ds_write_b16 v17, v20
	s_waitcnt lgkmcnt(0)
	s_barrier
	ds_read_u16 v28, v18
	ds_read_u16 v29, v18 offset:32
	ds_read_u16 v30, v18 offset:64
	;; [unrolled: 1-line block ×7, first 2 shown]
	ds_read_b128 v[20:23], v19
	ds_read_b128 v[24:27], v19 offset:256
	ds_read_u16 v36, v18 offset:256
	ds_read_u16 v37, v18 offset:288
	;; [unrolled: 1-line block ×8, first 2 shown]
	s_waitcnt lgkmcnt(14)
	v_perm_b32 v28, v29, v28, s22
	s_waitcnt lgkmcnt(8)
	v_pk_fma_f16 v14, v28, v24, v14 op_sel_hi:[1,0,1]
	v_pk_fma_f16 v15, v28, v20, v15 op_sel_hi:[1,0,1]
	v_perm_b32 v28, v31, v30, s22
	v_pk_fma_f16 v15, v28, v20, v15 op_sel:[0,1,0]
	v_pk_fma_f16 v14, v28, v24, v14 op_sel:[0,1,0]
	v_perm_b32 v20, v33, v32, s22
	v_pk_fma_f16 v14, v20, v25, v14 op_sel_hi:[1,0,1]
	v_pk_fma_f16 v15, v20, v21, v15 op_sel_hi:[1,0,1]
	v_perm_b32 v20, v35, v34, s22
	v_pk_fma_f16 v15, v20, v21, v15 op_sel:[0,1,0]
	v_pk_fma_f16 v14, v20, v25, v14 op_sel:[0,1,0]
	s_waitcnt lgkmcnt(6)
	v_perm_b32 v20, v37, v36, s22
	v_pk_fma_f16 v14, v20, v26, v14 op_sel_hi:[1,0,1]
	v_pk_fma_f16 v15, v20, v22, v15 op_sel_hi:[1,0,1]
	s_waitcnt lgkmcnt(4)
	v_perm_b32 v20, v39, v38, s22
	s_add_u32 s18, s18, 8
	v_pk_fma_f16 v15, v20, v22, v15 op_sel:[0,1,0]
	v_pk_fma_f16 v14, v20, v26, v14 op_sel:[0,1,0]
	s_waitcnt lgkmcnt(2)
	v_perm_b32 v20, v41, v40, s22
	s_addc_u32 s19, s19, 0
	v_pk_fma_f16 v14, v20, v27, v14 op_sel_hi:[1,0,1]
	v_pk_fma_f16 v15, v20, v23, v15 op_sel_hi:[1,0,1]
	s_waitcnt lgkmcnt(0)
	v_perm_b32 v20, v43, v42, s22
	v_cmp_lt_i64_e32 vcc, s[18:19], v[12:13]
	v_pk_fma_f16 v15, v20, v23, v15 op_sel:[0,1,0]
	v_pk_fma_f16 v14, v20, v27, v14 op_sel:[0,1,0]
	v_lshl_add_u64 v[8:9], v[8:9], 0, s[16:17]
	v_lshl_add_u64 v[10:11], v[10:11], 0, 16
	s_barrier
	s_cbranch_vccz .LBB173_8
.LBB173_3:                              ; =>This Inner Loop Header: Depth=1
	v_lshl_add_u64 v[20:21], v[4:5], 0, s[18:19]
	v_cmp_gt_i64_e32 vcc, s[34:35], v[20:21]
	s_and_b64 s[36:37], s[2:3], vcc
	v_mov_b32_e32 v20, 0
	v_mov_b32_e32 v21, 0
	s_and_saveexec_b64 s[20:21], s[36:37]
	s_cbranch_execz .LBB173_5
; %bb.4:                                ;   in Loop: Header=BB173_3 Depth=1
	flat_load_ushort v21, v[10:11]
.LBB173_5:                              ;   in Loop: Header=BB173_3 Depth=1
	s_or_b64 exec, exec, s[20:21]
	v_lshl_add_u64 v[22:23], v[6:7], 0, s[18:19]
	v_cmp_gt_i64_e32 vcc, s[34:35], v[22:23]
	s_and_b64 s[36:37], vcc, s[4:5]
	s_waitcnt vmcnt(0) lgkmcnt(0)
	ds_write_b16 v16, v21
	s_and_saveexec_b64 s[20:21], s[36:37]
	s_cbranch_execz .LBB173_2
; %bb.6:                                ;   in Loop: Header=BB173_3 Depth=1
	flat_load_ushort v20, v[8:9]
	s_branch .LBB173_2
.LBB173_7:
	v_mov_b32_e32 v14, v1
	v_mov_b32_e32 v15, v1
.LBB173_8:
	s_load_dword s18, s[0:1], 0x18
	s_load_dword s19, s[0:1], 0x50
	s_lshl_b64 s[0:1], s[26:27], 1
	s_waitcnt lgkmcnt(0)
	s_add_u32 s14, s14, s0
	v_lshl_add_u64 v[0:1], s[40:41], 0, v[0:1]
	s_addc_u32 s15, s15, s1
	v_cmp_neq_f16_e64 s[2:3], s19, 0
	v_cmp_gt_i64_e64 s[0:1], s[30:31], v[0:1]
	s_and_b64 vcc, exec, s[2:3]
	s_cbranch_vccnz .LBB173_21
; %bb.9:
	s_and_saveexec_b64 s[16:17], s[0:1]
	s_cbranch_execz .LBB173_19
; %bb.10:
	v_mul_lo_u32 v8, v1, s24
	v_mul_lo_u32 v9, v0, s25
	v_mad_u64_u32 v[6:7], s[2:3], v0, s24, 0
	v_add3_u32 v7, v7, v9, v8
	v_lshl_add_u64 v[4:5], s[8:9], 0, v[2:3]
	v_lshl_add_u64 v[6:7], v[6:7], 1, s[14:15]
	v_cmp_gt_i64_e32 vcc, s[28:29], v[4:5]
	v_lshl_add_u64 v[8:9], v[4:5], 1, v[6:7]
	s_and_saveexec_b64 s[2:3], vcc
	s_cbranch_execz .LBB173_12
; %bb.11:
	v_mul_f16_e32 v10, s18, v15
	flat_store_short v[8:9], v10
.LBB173_12:
	s_or_b64 exec, exec, s[2:3]
	v_lshl_add_u64 v[10:11], v[4:5], 0, 16
	v_cmp_gt_i64_e64 s[2:3], s[28:29], v[10:11]
	s_and_saveexec_b64 s[4:5], s[2:3]
	s_cbranch_execz .LBB173_14
; %bb.13:
	v_mul_f16_sdwa v10, s18, v15 dst_sel:DWORD dst_unused:UNUSED_PAD src0_sel:DWORD src1_sel:WORD_1
	flat_store_short v[8:9], v10 offset:32
.LBB173_14:
	s_or_b64 exec, exec, s[4:5]
	v_lshl_add_u64 v[8:9], v[0:1], 0, 16
	v_cmp_gt_i64_e64 s[4:5], s[30:31], v[8:9]
	s_and_b64 exec, exec, s[4:5]
	s_cbranch_execz .LBB173_19
; %bb.15:
	s_lshl_b64 s[4:5], s[24:25], 5
	v_lshl_add_u64 v[6:7], v[6:7], 0, s[4:5]
	v_lshl_add_u64 v[4:5], v[4:5], 1, v[6:7]
	s_and_saveexec_b64 s[4:5], vcc
	s_cbranch_execz .LBB173_17
; %bb.16:
	v_mul_f16_e32 v6, s18, v14
	flat_store_short v[4:5], v6
.LBB173_17:
	s_or_b64 exec, exec, s[4:5]
	s_and_b64 exec, exec, s[2:3]
	s_cbranch_execz .LBB173_19
; %bb.18:
	v_mul_f16_sdwa v6, s18, v14 dst_sel:DWORD dst_unused:UNUSED_PAD src0_sel:DWORD src1_sel:WORD_1
	flat_store_short v[4:5], v6 offset:32
.LBB173_19:
	s_or_b64 exec, exec, s[16:17]
	s_cbranch_execz .LBB173_22
.LBB173_20:
	s_endpgm
.LBB173_21:
.LBB173_22:
	s_and_saveexec_b64 s[2:3], s[0:1]
	s_cbranch_execz .LBB173_20
; %bb.23:
	s_lshl_b64 s[0:1], s[12:13], 1
	v_lshl_add_u64 v[8:9], s[8:9], 0, v[2:3]
	v_mul_lo_u32 v4, v1, s10
	v_mul_lo_u32 v5, v0, s11
	v_mad_u64_u32 v[2:3], s[2:3], v0, s10, 0
	s_add_u32 s0, s6, s0
	v_add3_u32 v3, v3, v5, v4
	v_mul_lo_u32 v6, v1, s24
	v_mul_lo_u32 v7, v0, s25
	v_mad_u64_u32 v[4:5], s[2:3], v0, s24, 0
	s_addc_u32 s1, s7, s1
	v_add3_u32 v5, v5, v7, v6
	v_cmp_gt_i64_e32 vcc, s[28:29], v[8:9]
	v_lshl_add_u64 v[6:7], v[2:3], 1, s[0:1]
	v_lshl_add_u64 v[4:5], v[4:5], 1, s[14:15]
	v_lshlrev_b64 v[2:3], 1, v[8:9]
	s_and_saveexec_b64 s[0:1], vcc
	s_cbranch_execz .LBB173_25
; %bb.24:
	v_lshl_add_u64 v[10:11], v[6:7], 0, v[2:3]
	flat_load_ushort v10, v[10:11]
	s_waitcnt vmcnt(0) lgkmcnt(0)
	v_mul_f16_e32 v10, s19, v10
	v_fma_f16 v12, s18, v15, v10
	v_lshl_add_u64 v[10:11], v[4:5], 0, v[2:3]
	flat_store_short v[10:11], v12
.LBB173_25:
	s_or_b64 exec, exec, s[0:1]
	v_lshl_add_u64 v[8:9], v[8:9], 0, 16
	v_cmp_gt_i64_e64 s[0:1], s[28:29], v[8:9]
	s_and_saveexec_b64 s[2:3], s[0:1]
	s_cbranch_execz .LBB173_27
; %bb.26:
	v_lshl_add_u64 v[8:9], v[6:7], 0, v[2:3]
	flat_load_ushort v8, v[8:9] offset:32
	v_lshrrev_b32_e32 v9, 16, v15
	s_waitcnt vmcnt(0) lgkmcnt(0)
	v_mul_f16_e32 v8, s19, v8
	v_fma_f16 v10, s18, v9, v8
	v_lshl_add_u64 v[8:9], v[4:5], 0, v[2:3]
	flat_store_short v[8:9], v10 offset:32
.LBB173_27:
	s_or_b64 exec, exec, s[2:3]
	v_lshl_add_u64 v[0:1], v[0:1], 0, 16
	v_cmp_gt_i64_e64 s[2:3], s[30:31], v[0:1]
	s_and_b64 exec, exec, s[2:3]
	s_cbranch_execz .LBB173_20
; %bb.28:
	s_lshl_b64 s[2:3], s[10:11], 5
	v_lshl_add_u64 v[0:1], v[6:7], 0, s[2:3]
	s_lshl_b64 s[2:3], s[24:25], 5
	v_lshl_add_u64 v[6:7], v[4:5], 0, s[2:3]
	v_lshl_add_u64 v[4:5], v[0:1], 0, v[2:3]
	;; [unrolled: 1-line block ×3, first 2 shown]
	s_and_saveexec_b64 s[2:3], vcc
	s_cbranch_execz .LBB173_30
; %bb.29:
	flat_load_ushort v2, v[4:5]
	s_waitcnt vmcnt(0) lgkmcnt(0)
	v_mul_f16_e32 v2, s19, v2
	v_fma_f16 v2, s18, v14, v2
	flat_store_short v[0:1], v2
.LBB173_30:
	s_or_b64 exec, exec, s[2:3]
	s_and_b64 exec, exec, s[0:1]
	s_cbranch_execz .LBB173_20
; %bb.31:
	flat_load_ushort v2, v[4:5] offset:32
	v_lshrrev_b32_e32 v3, 16, v14
	s_waitcnt vmcnt(0) lgkmcnt(0)
	v_mul_f16_e32 v2, s19, v2
	v_fma_f16 v2, s18, v3, v2
	flat_store_short v[0:1], v2 offset:32
	s_endpgm
	.section	.rodata,"a",@progbits
	.p2align	6, 0x0
	.amdhsa_kernel _ZN12_GLOBAL__N_135rocblas_gemm_batched_general_kernelIDF16_Li16ELi16ELi32ELi32ELi8ELi32ELi8ELi8ELi32ELc84ELc67EKPKDF16_S3_KPDF16_EEvlllT_PT11_llS8_llS6_PT12_llPT13_lli
		.amdhsa_group_segment_fixed_size 1024
		.amdhsa_private_segment_fixed_size 0
		.amdhsa_kernarg_size 140
		.amdhsa_user_sgpr_count 2
		.amdhsa_user_sgpr_dispatch_ptr 0
		.amdhsa_user_sgpr_queue_ptr 0
		.amdhsa_user_sgpr_kernarg_segment_ptr 1
		.amdhsa_user_sgpr_dispatch_id 0
		.amdhsa_user_sgpr_kernarg_preload_length 0
		.amdhsa_user_sgpr_kernarg_preload_offset 0
		.amdhsa_user_sgpr_private_segment_size 0
		.amdhsa_uses_dynamic_stack 0
		.amdhsa_enable_private_segment 0
		.amdhsa_system_sgpr_workgroup_id_x 1
		.amdhsa_system_sgpr_workgroup_id_y 1
		.amdhsa_system_sgpr_workgroup_id_z 1
		.amdhsa_system_sgpr_workgroup_info 0
		.amdhsa_system_vgpr_workitem_id 1
		.amdhsa_next_free_vgpr 44
		.amdhsa_next_free_sgpr 46
		.amdhsa_accum_offset 44
		.amdhsa_reserve_vcc 1
		.amdhsa_float_round_mode_32 0
		.amdhsa_float_round_mode_16_64 0
		.amdhsa_float_denorm_mode_32 3
		.amdhsa_float_denorm_mode_16_64 3
		.amdhsa_dx10_clamp 1
		.amdhsa_ieee_mode 1
		.amdhsa_fp16_overflow 0
		.amdhsa_tg_split 0
		.amdhsa_exception_fp_ieee_invalid_op 0
		.amdhsa_exception_fp_denorm_src 0
		.amdhsa_exception_fp_ieee_div_zero 0
		.amdhsa_exception_fp_ieee_overflow 0
		.amdhsa_exception_fp_ieee_underflow 0
		.amdhsa_exception_fp_ieee_inexact 0
		.amdhsa_exception_int_div_zero 0
	.end_amdhsa_kernel
	.section	.text._ZN12_GLOBAL__N_135rocblas_gemm_batched_general_kernelIDF16_Li16ELi16ELi32ELi32ELi8ELi32ELi8ELi8ELi32ELc84ELc67EKPKDF16_S3_KPDF16_EEvlllT_PT11_llS8_llS6_PT12_llPT13_lli,"axG",@progbits,_ZN12_GLOBAL__N_135rocblas_gemm_batched_general_kernelIDF16_Li16ELi16ELi32ELi32ELi8ELi32ELi8ELi8ELi32ELc84ELc67EKPKDF16_S3_KPDF16_EEvlllT_PT11_llS8_llS6_PT12_llPT13_lli,comdat
.Lfunc_end173:
	.size	_ZN12_GLOBAL__N_135rocblas_gemm_batched_general_kernelIDF16_Li16ELi16ELi32ELi32ELi8ELi32ELi8ELi8ELi32ELc84ELc67EKPKDF16_S3_KPDF16_EEvlllT_PT11_llS8_llS6_PT12_llPT13_lli, .Lfunc_end173-_ZN12_GLOBAL__N_135rocblas_gemm_batched_general_kernelIDF16_Li16ELi16ELi32ELi32ELi8ELi32ELi8ELi8ELi32ELc84ELc67EKPKDF16_S3_KPDF16_EEvlllT_PT11_llS8_llS6_PT12_llPT13_lli
                                        ; -- End function
	.set _ZN12_GLOBAL__N_135rocblas_gemm_batched_general_kernelIDF16_Li16ELi16ELi32ELi32ELi8ELi32ELi8ELi8ELi32ELc84ELc67EKPKDF16_S3_KPDF16_EEvlllT_PT11_llS8_llS6_PT12_llPT13_lli.num_vgpr, 44
	.set _ZN12_GLOBAL__N_135rocblas_gemm_batched_general_kernelIDF16_Li16ELi16ELi32ELi32ELi8ELi32ELi8ELi8ELi32ELc84ELc67EKPKDF16_S3_KPDF16_EEvlllT_PT11_llS8_llS6_PT12_llPT13_lli.num_agpr, 0
	.set _ZN12_GLOBAL__N_135rocblas_gemm_batched_general_kernelIDF16_Li16ELi16ELi32ELi32ELi8ELi32ELi8ELi8ELi32ELc84ELc67EKPKDF16_S3_KPDF16_EEvlllT_PT11_llS8_llS6_PT12_llPT13_lli.numbered_sgpr, 46
	.set _ZN12_GLOBAL__N_135rocblas_gemm_batched_general_kernelIDF16_Li16ELi16ELi32ELi32ELi8ELi32ELi8ELi8ELi32ELc84ELc67EKPKDF16_S3_KPDF16_EEvlllT_PT11_llS8_llS6_PT12_llPT13_lli.num_named_barrier, 0
	.set _ZN12_GLOBAL__N_135rocblas_gemm_batched_general_kernelIDF16_Li16ELi16ELi32ELi32ELi8ELi32ELi8ELi8ELi32ELc84ELc67EKPKDF16_S3_KPDF16_EEvlllT_PT11_llS8_llS6_PT12_llPT13_lli.private_seg_size, 0
	.set _ZN12_GLOBAL__N_135rocblas_gemm_batched_general_kernelIDF16_Li16ELi16ELi32ELi32ELi8ELi32ELi8ELi8ELi32ELc84ELc67EKPKDF16_S3_KPDF16_EEvlllT_PT11_llS8_llS6_PT12_llPT13_lli.uses_vcc, 1
	.set _ZN12_GLOBAL__N_135rocblas_gemm_batched_general_kernelIDF16_Li16ELi16ELi32ELi32ELi8ELi32ELi8ELi8ELi32ELc84ELc67EKPKDF16_S3_KPDF16_EEvlllT_PT11_llS8_llS6_PT12_llPT13_lli.uses_flat_scratch, 0
	.set _ZN12_GLOBAL__N_135rocblas_gemm_batched_general_kernelIDF16_Li16ELi16ELi32ELi32ELi8ELi32ELi8ELi8ELi32ELc84ELc67EKPKDF16_S3_KPDF16_EEvlllT_PT11_llS8_llS6_PT12_llPT13_lli.has_dyn_sized_stack, 0
	.set _ZN12_GLOBAL__N_135rocblas_gemm_batched_general_kernelIDF16_Li16ELi16ELi32ELi32ELi8ELi32ELi8ELi8ELi32ELc84ELc67EKPKDF16_S3_KPDF16_EEvlllT_PT11_llS8_llS6_PT12_llPT13_lli.has_recursion, 0
	.set _ZN12_GLOBAL__N_135rocblas_gemm_batched_general_kernelIDF16_Li16ELi16ELi32ELi32ELi8ELi32ELi8ELi8ELi32ELc84ELc67EKPKDF16_S3_KPDF16_EEvlllT_PT11_llS8_llS6_PT12_llPT13_lli.has_indirect_call, 0
	.section	.AMDGPU.csdata,"",@progbits
; Kernel info:
; codeLenInByte = 1728
; TotalNumSgprs: 52
; NumVgprs: 44
; NumAgprs: 0
; TotalNumVgprs: 44
; ScratchSize: 0
; MemoryBound: 0
; FloatMode: 240
; IeeeMode: 1
; LDSByteSize: 1024 bytes/workgroup (compile time only)
; SGPRBlocks: 6
; VGPRBlocks: 5
; NumSGPRsForWavesPerEU: 52
; NumVGPRsForWavesPerEU: 44
; AccumOffset: 44
; Occupancy: 8
; WaveLimiterHint : 1
; COMPUTE_PGM_RSRC2:SCRATCH_EN: 0
; COMPUTE_PGM_RSRC2:USER_SGPR: 2
; COMPUTE_PGM_RSRC2:TRAP_HANDLER: 0
; COMPUTE_PGM_RSRC2:TGID_X_EN: 1
; COMPUTE_PGM_RSRC2:TGID_Y_EN: 1
; COMPUTE_PGM_RSRC2:TGID_Z_EN: 1
; COMPUTE_PGM_RSRC2:TIDIG_COMP_CNT: 1
; COMPUTE_PGM_RSRC3_GFX90A:ACCUM_OFFSET: 10
; COMPUTE_PGM_RSRC3_GFX90A:TG_SPLIT: 0
	.section	.text._ZN12_GLOBAL__N_125rocblas_gemm_scale_kernelILi32ELi32EfPKPfEEviiT1_T2_llli,"axG",@progbits,_ZN12_GLOBAL__N_125rocblas_gemm_scale_kernelILi32ELi32EfPKPfEEviiT1_T2_llli,comdat
	.globl	_ZN12_GLOBAL__N_125rocblas_gemm_scale_kernelILi32ELi32EfPKPfEEviiT1_T2_llli ; -- Begin function _ZN12_GLOBAL__N_125rocblas_gemm_scale_kernelILi32ELi32EfPKPfEEviiT1_T2_llli
	.p2align	8
	.type	_ZN12_GLOBAL__N_125rocblas_gemm_scale_kernelILi32ELi32EfPKPfEEviiT1_T2_llli,@function
_ZN12_GLOBAL__N_125rocblas_gemm_scale_kernelILi32ELi32EfPKPfEEviiT1_T2_llli: ; @_ZN12_GLOBAL__N_125rocblas_gemm_scale_kernelILi32ELi32EfPKPfEEviiT1_T2_llli
; %bb.0:
	s_load_dwordx4 s[8:11], s[0:1], 0x0
	v_and_b32_e32 v1, 0x3ff, v0
	v_bfe_u32 v0, v0, 10, 10
	v_lshl_add_u32 v2, s2, 5, v1
	v_lshl_add_u32 v0, s3, 5, v0
	s_waitcnt lgkmcnt(0)
	v_cmp_gt_u32_e32 vcc, s8, v2
	v_cmp_gt_u32_e64 s[2:3], s9, v0
	s_and_b64 s[2:3], vcc, s[2:3]
	s_and_saveexec_b64 s[6:7], s[2:3]
	s_cbranch_execz .LBB174_4
; %bb.1:
	s_load_dwordx4 s[12:15], s[0:1], 0x10
	s_load_dwordx2 s[2:3], s[0:1], 0x20
	s_mov_b32 s5, 0
	s_lshl_b64 s[0:1], s[4:5], 3
	v_mov_b32_e32 v3, 0
	s_waitcnt lgkmcnt(0)
	s_add_u32 s0, s12, s0
	s_addc_u32 s1, s13, s1
	s_load_dwordx2 s[0:1], s[0:1], 0x0
	v_mad_u64_u32 v[4:5], s[6:7], s2, v0, 0
	s_lshl_b64 s[6:7], s[14:15], 2
	v_mov_b32_e32 v6, v5
	s_waitcnt lgkmcnt(0)
	s_add_u32 s0, s0, s6
	v_mad_u64_u32 v[0:1], s[2:3], s3, v0, v[6:7]
	v_cmp_eq_f32_e64 s[4:5], s10, 0
	s_addc_u32 s1, s1, s7
	v_mov_b32_e32 v5, v0
	s_and_b64 vcc, exec, s[4:5]
	v_lshl_add_u64 v[0:1], v[4:5], 2, s[0:1]
	v_mov_b32_e32 v4, v3
	s_cbranch_vccnz .LBB174_3
; %bb.2:
	v_lshl_add_u64 v[4:5], v[2:3], 2, v[0:1]
	flat_load_dword v4, v[4:5]
	s_waitcnt vmcnt(0) lgkmcnt(0)
	v_mul_f32_e32 v4, s10, v4
.LBB174_3:
	v_lshl_add_u64 v[0:1], v[2:3], 2, v[0:1]
	flat_store_dword v[0:1], v4
.LBB174_4:
	s_endpgm
	.section	.rodata,"a",@progbits
	.p2align	6, 0x0
	.amdhsa_kernel _ZN12_GLOBAL__N_125rocblas_gemm_scale_kernelILi32ELi32EfPKPfEEviiT1_T2_llli
		.amdhsa_group_segment_fixed_size 0
		.amdhsa_private_segment_fixed_size 0
		.amdhsa_kernarg_size 52
		.amdhsa_user_sgpr_count 2
		.amdhsa_user_sgpr_dispatch_ptr 0
		.amdhsa_user_sgpr_queue_ptr 0
		.amdhsa_user_sgpr_kernarg_segment_ptr 1
		.amdhsa_user_sgpr_dispatch_id 0
		.amdhsa_user_sgpr_kernarg_preload_length 0
		.amdhsa_user_sgpr_kernarg_preload_offset 0
		.amdhsa_user_sgpr_private_segment_size 0
		.amdhsa_uses_dynamic_stack 0
		.amdhsa_enable_private_segment 0
		.amdhsa_system_sgpr_workgroup_id_x 1
		.amdhsa_system_sgpr_workgroup_id_y 1
		.amdhsa_system_sgpr_workgroup_id_z 1
		.amdhsa_system_sgpr_workgroup_info 0
		.amdhsa_system_vgpr_workitem_id 1
		.amdhsa_next_free_vgpr 8
		.amdhsa_next_free_sgpr 16
		.amdhsa_accum_offset 8
		.amdhsa_reserve_vcc 1
		.amdhsa_float_round_mode_32 0
		.amdhsa_float_round_mode_16_64 0
		.amdhsa_float_denorm_mode_32 3
		.amdhsa_float_denorm_mode_16_64 3
		.amdhsa_dx10_clamp 1
		.amdhsa_ieee_mode 1
		.amdhsa_fp16_overflow 0
		.amdhsa_tg_split 0
		.amdhsa_exception_fp_ieee_invalid_op 0
		.amdhsa_exception_fp_denorm_src 0
		.amdhsa_exception_fp_ieee_div_zero 0
		.amdhsa_exception_fp_ieee_overflow 0
		.amdhsa_exception_fp_ieee_underflow 0
		.amdhsa_exception_fp_ieee_inexact 0
		.amdhsa_exception_int_div_zero 0
	.end_amdhsa_kernel
	.section	.text._ZN12_GLOBAL__N_125rocblas_gemm_scale_kernelILi32ELi32EfPKPfEEviiT1_T2_llli,"axG",@progbits,_ZN12_GLOBAL__N_125rocblas_gemm_scale_kernelILi32ELi32EfPKPfEEviiT1_T2_llli,comdat
.Lfunc_end174:
	.size	_ZN12_GLOBAL__N_125rocblas_gemm_scale_kernelILi32ELi32EfPKPfEEviiT1_T2_llli, .Lfunc_end174-_ZN12_GLOBAL__N_125rocblas_gemm_scale_kernelILi32ELi32EfPKPfEEviiT1_T2_llli
                                        ; -- End function
	.set _ZN12_GLOBAL__N_125rocblas_gemm_scale_kernelILi32ELi32EfPKPfEEviiT1_T2_llli.num_vgpr, 8
	.set _ZN12_GLOBAL__N_125rocblas_gemm_scale_kernelILi32ELi32EfPKPfEEviiT1_T2_llli.num_agpr, 0
	.set _ZN12_GLOBAL__N_125rocblas_gemm_scale_kernelILi32ELi32EfPKPfEEviiT1_T2_llli.numbered_sgpr, 16
	.set _ZN12_GLOBAL__N_125rocblas_gemm_scale_kernelILi32ELi32EfPKPfEEviiT1_T2_llli.num_named_barrier, 0
	.set _ZN12_GLOBAL__N_125rocblas_gemm_scale_kernelILi32ELi32EfPKPfEEviiT1_T2_llli.private_seg_size, 0
	.set _ZN12_GLOBAL__N_125rocblas_gemm_scale_kernelILi32ELi32EfPKPfEEviiT1_T2_llli.uses_vcc, 1
	.set _ZN12_GLOBAL__N_125rocblas_gemm_scale_kernelILi32ELi32EfPKPfEEviiT1_T2_llli.uses_flat_scratch, 0
	.set _ZN12_GLOBAL__N_125rocblas_gemm_scale_kernelILi32ELi32EfPKPfEEviiT1_T2_llli.has_dyn_sized_stack, 0
	.set _ZN12_GLOBAL__N_125rocblas_gemm_scale_kernelILi32ELi32EfPKPfEEviiT1_T2_llli.has_recursion, 0
	.set _ZN12_GLOBAL__N_125rocblas_gemm_scale_kernelILi32ELi32EfPKPfEEviiT1_T2_llli.has_indirect_call, 0
	.section	.AMDGPU.csdata,"",@progbits
; Kernel info:
; codeLenInByte = 228
; TotalNumSgprs: 22
; NumVgprs: 8
; NumAgprs: 0
; TotalNumVgprs: 8
; ScratchSize: 0
; MemoryBound: 0
; FloatMode: 240
; IeeeMode: 1
; LDSByteSize: 0 bytes/workgroup (compile time only)
; SGPRBlocks: 2
; VGPRBlocks: 0
; NumSGPRsForWavesPerEU: 22
; NumVGPRsForWavesPerEU: 8
; AccumOffset: 8
; Occupancy: 8
; WaveLimiterHint : 1
; COMPUTE_PGM_RSRC2:SCRATCH_EN: 0
; COMPUTE_PGM_RSRC2:USER_SGPR: 2
; COMPUTE_PGM_RSRC2:TRAP_HANDLER: 0
; COMPUTE_PGM_RSRC2:TGID_X_EN: 1
; COMPUTE_PGM_RSRC2:TGID_Y_EN: 1
; COMPUTE_PGM_RSRC2:TGID_Z_EN: 1
; COMPUTE_PGM_RSRC2:TIDIG_COMP_CNT: 1
; COMPUTE_PGM_RSRC3_GFX90A:ACCUM_OFFSET: 1
; COMPUTE_PGM_RSRC3_GFX90A:TG_SPLIT: 0
	.section	.text._ZN12_GLOBAL__N_120gemm_ex_scale_kernelILi32ELi32EfPKPKfPKPfEEviiT1_T2_lllT3_llli,"axG",@progbits,_ZN12_GLOBAL__N_120gemm_ex_scale_kernelILi32ELi32EfPKPKfPKPfEEviiT1_T2_lllT3_llli,comdat
	.globl	_ZN12_GLOBAL__N_120gemm_ex_scale_kernelILi32ELi32EfPKPKfPKPfEEviiT1_T2_lllT3_llli ; -- Begin function _ZN12_GLOBAL__N_120gemm_ex_scale_kernelILi32ELi32EfPKPKfPKPfEEviiT1_T2_lllT3_llli
	.p2align	8
	.type	_ZN12_GLOBAL__N_120gemm_ex_scale_kernelILi32ELi32EfPKPKfPKPfEEviiT1_T2_lllT3_llli,@function
_ZN12_GLOBAL__N_120gemm_ex_scale_kernelILi32ELi32EfPKPKfPKPfEEviiT1_T2_lllT3_llli: ; @_ZN12_GLOBAL__N_120gemm_ex_scale_kernelILi32ELi32EfPKPKfPKPfEEviiT1_T2_lllT3_llli
; %bb.0:
	s_load_dwordx8 s[8:15], s[0:1], 0x0
	s_load_dwordx2 s[6:7], s[0:1], 0x20
	s_mov_b32 s5, 0
	s_waitcnt lgkmcnt(0)
	v_cmp_eq_f32_e64 s[18:19], s10, 0
	s_and_b64 vcc, exec, s[18:19]
	s_cbranch_vccnz .LBB175_2
; %bb.1:
	s_lshl_b64 s[16:17], s[4:5], 3
	s_add_u32 s12, s12, s16
	s_addc_u32 s13, s13, s17
	s_load_dwordx2 s[12:13], s[12:13], 0x0
	s_lshl_b64 s[14:15], s[14:15], 2
	s_waitcnt lgkmcnt(0)
	s_add_u32 s16, s12, s14
	s_addc_u32 s17, s13, s15
	s_branch .LBB175_3
.LBB175_2:
	s_mov_b64 s[16:17], 0
.LBB175_3:
	v_and_b32_e32 v1, 0x3ff, v0
	v_bfe_u32 v0, v0, 10, 10
	v_lshl_add_u32 v2, s2, 5, v1
	v_lshl_add_u32 v4, s3, 5, v0
	v_cmp_gt_u32_e32 vcc, s8, v2
	v_cmp_gt_u32_e64 s[2:3], s9, v4
	s_and_b64 s[2:3], vcc, s[2:3]
	s_and_saveexec_b64 s[8:9], s[2:3]
	s_cbranch_execz .LBB175_9
; %bb.4:
	s_load_dwordx4 s[12:15], s[0:1], 0x30
	s_load_dwordx2 s[2:3], s[0:1], 0x40
	s_lshl_b64 s[0:1], s[4:5], 3
	v_mov_b32_e32 v3, 0
	s_waitcnt lgkmcnt(0)
	s_add_u32 s0, s12, s0
	s_addc_u32 s1, s13, s1
	s_load_dwordx2 s[0:1], s[0:1], 0x0
	s_andn2_b64 vcc, exec, s[18:19]
	s_cbranch_vccnz .LBB175_6
; %bb.5:
	v_mov_b32_e32 v1, 0
	v_mov_b32_e32 v0, v2
	s_cbranch_execz .LBB175_7
	s_branch .LBB175_8
.LBB175_6:
	v_mov_b64_e32 v[0:1], v[2:3]
.LBB175_7:
	v_mad_u64_u32 v[6:7], s[4:5], s6, v4, 0
	v_mov_b32_e32 v8, v7
	v_mad_u64_u32 v[8:9], s[4:5], s7, v4, v[8:9]
	v_mov_b32_e32 v7, v8
	v_lshl_add_u64 v[6:7], v[6:7], 2, s[16:17]
	v_lshl_add_u64 v[2:3], v[2:3], 2, v[6:7]
	flat_load_dword v2, v[2:3]
	s_waitcnt vmcnt(0) lgkmcnt(0)
	v_mul_f32_e32 v3, s10, v2
.LBB175_8:
	s_lshl_b64 s[4:5], s[14:15], 2
	s_waitcnt lgkmcnt(0)
	s_add_u32 s0, s0, s4
	s_addc_u32 s1, s1, s5
	v_mad_u64_u32 v[6:7], s[4:5], s2, v4, 0
	v_mov_b32_e32 v2, v7
	v_mad_u64_u32 v[4:5], s[2:3], s3, v4, v[2:3]
	v_mov_b32_e32 v7, v4
	v_lshl_add_u64 v[4:5], v[6:7], 2, s[0:1]
	v_lshl_add_u64 v[0:1], v[0:1], 2, v[4:5]
	flat_store_dword v[0:1], v3
.LBB175_9:
	s_endpgm
	.section	.rodata,"a",@progbits
	.p2align	6, 0x0
	.amdhsa_kernel _ZN12_GLOBAL__N_120gemm_ex_scale_kernelILi32ELi32EfPKPKfPKPfEEviiT1_T2_lllT3_llli
		.amdhsa_group_segment_fixed_size 0
		.amdhsa_private_segment_fixed_size 0
		.amdhsa_kernarg_size 84
		.amdhsa_user_sgpr_count 2
		.amdhsa_user_sgpr_dispatch_ptr 0
		.amdhsa_user_sgpr_queue_ptr 0
		.amdhsa_user_sgpr_kernarg_segment_ptr 1
		.amdhsa_user_sgpr_dispatch_id 0
		.amdhsa_user_sgpr_kernarg_preload_length 0
		.amdhsa_user_sgpr_kernarg_preload_offset 0
		.amdhsa_user_sgpr_private_segment_size 0
		.amdhsa_uses_dynamic_stack 0
		.amdhsa_enable_private_segment 0
		.amdhsa_system_sgpr_workgroup_id_x 1
		.amdhsa_system_sgpr_workgroup_id_y 1
		.amdhsa_system_sgpr_workgroup_id_z 1
		.amdhsa_system_sgpr_workgroup_info 0
		.amdhsa_system_vgpr_workitem_id 1
		.amdhsa_next_free_vgpr 10
		.amdhsa_next_free_sgpr 20
		.amdhsa_accum_offset 12
		.amdhsa_reserve_vcc 1
		.amdhsa_float_round_mode_32 0
		.amdhsa_float_round_mode_16_64 0
		.amdhsa_float_denorm_mode_32 3
		.amdhsa_float_denorm_mode_16_64 3
		.amdhsa_dx10_clamp 1
		.amdhsa_ieee_mode 1
		.amdhsa_fp16_overflow 0
		.amdhsa_tg_split 0
		.amdhsa_exception_fp_ieee_invalid_op 0
		.amdhsa_exception_fp_denorm_src 0
		.amdhsa_exception_fp_ieee_div_zero 0
		.amdhsa_exception_fp_ieee_overflow 0
		.amdhsa_exception_fp_ieee_underflow 0
		.amdhsa_exception_fp_ieee_inexact 0
		.amdhsa_exception_int_div_zero 0
	.end_amdhsa_kernel
	.section	.text._ZN12_GLOBAL__N_120gemm_ex_scale_kernelILi32ELi32EfPKPKfPKPfEEviiT1_T2_lllT3_llli,"axG",@progbits,_ZN12_GLOBAL__N_120gemm_ex_scale_kernelILi32ELi32EfPKPKfPKPfEEviiT1_T2_lllT3_llli,comdat
.Lfunc_end175:
	.size	_ZN12_GLOBAL__N_120gemm_ex_scale_kernelILi32ELi32EfPKPKfPKPfEEviiT1_T2_lllT3_llli, .Lfunc_end175-_ZN12_GLOBAL__N_120gemm_ex_scale_kernelILi32ELi32EfPKPKfPKPfEEviiT1_T2_lllT3_llli
                                        ; -- End function
	.set _ZN12_GLOBAL__N_120gemm_ex_scale_kernelILi32ELi32EfPKPKfPKPfEEviiT1_T2_lllT3_llli.num_vgpr, 10
	.set _ZN12_GLOBAL__N_120gemm_ex_scale_kernelILi32ELi32EfPKPKfPKPfEEviiT1_T2_lllT3_llli.num_agpr, 0
	.set _ZN12_GLOBAL__N_120gemm_ex_scale_kernelILi32ELi32EfPKPKfPKPfEEviiT1_T2_lllT3_llli.numbered_sgpr, 20
	.set _ZN12_GLOBAL__N_120gemm_ex_scale_kernelILi32ELi32EfPKPKfPKPfEEviiT1_T2_lllT3_llli.num_named_barrier, 0
	.set _ZN12_GLOBAL__N_120gemm_ex_scale_kernelILi32ELi32EfPKPKfPKPfEEviiT1_T2_lllT3_llli.private_seg_size, 0
	.set _ZN12_GLOBAL__N_120gemm_ex_scale_kernelILi32ELi32EfPKPKfPKPfEEviiT1_T2_lllT3_llli.uses_vcc, 1
	.set _ZN12_GLOBAL__N_120gemm_ex_scale_kernelILi32ELi32EfPKPKfPKPfEEviiT1_T2_lllT3_llli.uses_flat_scratch, 0
	.set _ZN12_GLOBAL__N_120gemm_ex_scale_kernelILi32ELi32EfPKPKfPKPfEEviiT1_T2_lllT3_llli.has_dyn_sized_stack, 0
	.set _ZN12_GLOBAL__N_120gemm_ex_scale_kernelILi32ELi32EfPKPKfPKPfEEviiT1_T2_lllT3_llli.has_recursion, 0
	.set _ZN12_GLOBAL__N_120gemm_ex_scale_kernelILi32ELi32EfPKPKfPKPfEEviiT1_T2_lllT3_llli.has_indirect_call, 0
	.section	.AMDGPU.csdata,"",@progbits
; Kernel info:
; codeLenInByte = 336
; TotalNumSgprs: 26
; NumVgprs: 10
; NumAgprs: 0
; TotalNumVgprs: 10
; ScratchSize: 0
; MemoryBound: 0
; FloatMode: 240
; IeeeMode: 1
; LDSByteSize: 0 bytes/workgroup (compile time only)
; SGPRBlocks: 3
; VGPRBlocks: 1
; NumSGPRsForWavesPerEU: 26
; NumVGPRsForWavesPerEU: 10
; AccumOffset: 12
; Occupancy: 8
; WaveLimiterHint : 1
; COMPUTE_PGM_RSRC2:SCRATCH_EN: 0
; COMPUTE_PGM_RSRC2:USER_SGPR: 2
; COMPUTE_PGM_RSRC2:TRAP_HANDLER: 0
; COMPUTE_PGM_RSRC2:TGID_X_EN: 1
; COMPUTE_PGM_RSRC2:TGID_Y_EN: 1
; COMPUTE_PGM_RSRC2:TGID_Z_EN: 1
; COMPUTE_PGM_RSRC2:TIDIG_COMP_CNT: 1
; COMPUTE_PGM_RSRC3_GFX90A:ACCUM_OFFSET: 2
; COMPUTE_PGM_RSRC3_GFX90A:TG_SPLIT: 0
	.section	.text._ZN12_GLOBAL__N_127rocblas_gemm_batched_kernelIfLi16ELi16ELi64ELi64ELi4ELi64ELi4ELi4ELi64ELc78ELc78EKPKfS3_KPfEEvlllT_PT11_llS8_llS6_PT12_llPT13_lli,"axG",@progbits,_ZN12_GLOBAL__N_127rocblas_gemm_batched_kernelIfLi16ELi16ELi64ELi64ELi4ELi64ELi4ELi4ELi64ELc78ELc78EKPKfS3_KPfEEvlllT_PT11_llS8_llS6_PT12_llPT13_lli,comdat
	.globl	_ZN12_GLOBAL__N_127rocblas_gemm_batched_kernelIfLi16ELi16ELi64ELi64ELi4ELi64ELi4ELi4ELi64ELc78ELc78EKPKfS3_KPfEEvlllT_PT11_llS8_llS6_PT12_llPT13_lli ; -- Begin function _ZN12_GLOBAL__N_127rocblas_gemm_batched_kernelIfLi16ELi16ELi64ELi64ELi4ELi64ELi4ELi4ELi64ELc78ELc78EKPKfS3_KPfEEvlllT_PT11_llS8_llS6_PT12_llPT13_lli
	.p2align	8
	.type	_ZN12_GLOBAL__N_127rocblas_gemm_batched_kernelIfLi16ELi16ELi64ELi64ELi4ELi64ELi4ELi4ELi64ELc78ELc78EKPKfS3_KPfEEvlllT_PT11_llS8_llS6_PT12_llPT13_lli,@function
_ZN12_GLOBAL__N_127rocblas_gemm_batched_kernelIfLi16ELi16ELi64ELi64ELi4ELi64ELi4ELi4ELi64ELc78ELc78EKPKfS3_KPfEEvlllT_PT11_llS8_llS6_PT12_llPT13_lli: ; @_ZN12_GLOBAL__N_127rocblas_gemm_batched_kernelIfLi16ELi16ELi64ELi64ELi4ELi64ELi4ELi4ELi64ELc78ELc78EKPKfS3_KPfEEvlllT_PT11_llS8_llS6_PT12_llPT13_lli
; %bb.0:
	s_load_dwordx2 s[28:29], s[0:1], 0x10
	s_load_dwordx4 s[24:27], s[0:1], 0x78
	s_load_dwordx8 s[8:15], s[0:1], 0x58
	s_mov_b32 s5, 0
	s_lshl_b64 s[30:31], s[4:5], 3
	s_mov_b32 s16, s3
	v_mov_b32_e32 v11, 0
	s_waitcnt lgkmcnt(0)
	s_add_u32 s4, s8, s30
	s_addc_u32 s5, s9, s31
	s_add_u32 s6, s14, s30
	s_addc_u32 s7, s15, s31
	s_load_dwordx2 s[4:5], s[4:5], 0x0
	s_ashr_i32 s3, s2, 31
	s_load_dwordx2 s[6:7], s[6:7], 0x0
	s_ashr_i32 s17, s16, 31
	v_cmp_lt_i64_e64 s[14:15], s[28:29], 1
	v_bfe_u32 v10, v0, 10, 10
	v_and_b32_e32 v12, 0x3ff, v0
	v_mov_b32_e32 v13, v11
	s_lshl_b64 s[2:3], s[2:3], 6
	s_lshl_b64 s[8:9], s[16:17], 6
	s_and_b64 vcc, exec, s[14:15]
	v_mov_b32_e32 v19, v11
	v_mov_b32_e32 v18, v11
	;; [unrolled: 1-line block ×16, first 2 shown]
	s_cbranch_vccnz .LBB176_3
; %bb.1:
	s_load_dwordx8 s[16:23], s[0:1], 0x20
	s_load_dwordx4 s[36:39], s[0:1], 0x40
	v_lshlrev_b32_e32 v7, 4, v10
	v_add_u32_e32 v6, v7, v12
	v_and_b32_e32 v4, 63, v6
	s_waitcnt lgkmcnt(0)
	s_add_u32 s14, s16, s30
	s_addc_u32 s15, s17, s31
	s_add_u32 s16, s22, s30
	v_lshrrev_b32_e32 v0, 2, v6
	v_and_b32_e32 v8, 3, v12
	v_lshrrev_b32_e32 v9, 6, v6
	v_lshlrev_b32_e32 v6, 2, v4
	s_addc_u32 s17, s23, s31
	v_mov_b32_e32 v1, 0
	v_lshl_or_b32 v26, v9, 8, v6
	v_lshlrev_b32_e32 v6, 2, v8
	s_load_dwordx2 s[16:17], s[16:17], 0x0
	v_lshl_add_u64 v[2:3], v[0:1], 0, s[8:9]
	v_lshl_or_b32 v0, v0, 4, v6
	v_add_u32_e32 v27, 0x400, v0
	v_add_u32_e32 v29, 0x400, v7
	v_mul_lo_u32 v0, s37, v2
	v_mul_lo_u32 v7, s36, v3
	v_mad_u64_u32 v[2:3], s[22:23], s36, v2, 0
	v_add3_u32 v3, v3, v7, v0
	s_lshl_b64 s[22:23], s[38:39], 2
	v_lshl_add_u64 v[2:3], v[2:3], 2, s[22:23]
	v_mov_b32_e32 v7, v1
	s_load_dwordx2 s[14:15], s[14:15], 0x0
	v_lshl_add_u64 v[2:3], v[2:3], 0, v[6:7]
	s_waitcnt lgkmcnt(0)
	v_lshl_add_u64 v[20:21], s[16:17], 0, v[2:3]
	v_mov_b64_e32 v[2:3], s[2:3]
	s_lshl_b64 s[16:17], s[20:21], 2
	v_mad_u64_u32 v[2:3], s[20:21], s18, v9, v[2:3]
	v_mov_b32_e32 v0, v3
	v_mad_u64_u32 v[6:7], s[20:21], s19, v9, v[0:1]
	v_mov_b32_e32 v5, v1
	v_mov_b32_e32 v3, v6
	s_add_u32 s14, s14, s16
	v_lshl_add_u64 v[2:3], v[2:3], 0, v[4:5]
	s_addc_u32 s15, s15, s17
	v_lshlrev_b32_e32 v28, 2, v12
	v_lshl_add_u64 v[22:23], v[2:3], 2, s[14:15]
	s_lshl_b64 s[14:15], s[18:19], 4
	s_mov_b64 s[16:17], 0
	v_mov_b64_e32 v[24:25], s[28:29]
	v_mov_b32_e32 v0, v1
	v_mov_b32_e32 v2, v1
	;; [unrolled: 1-line block ×14, first 2 shown]
.LBB176_2:                              ; =>This Inner Loop Header: Depth=1
	flat_load_dword v30, v[22:23]
	s_add_u32 s16, s16, 4
	s_addc_u32 s17, s17, 0
	v_cmp_lt_i64_e32 vcc, s[16:17], v[24:25]
	v_lshl_add_u64 v[22:23], v[22:23], 0, s[14:15]
	s_and_b64 vcc, exec, vcc
	s_waitcnt vmcnt(0) lgkmcnt(0)
	ds_write_b32 v26, v30
	flat_load_dword v30, v[20:21]
	v_lshl_add_u64 v[20:21], v[20:21], 0, 16
	s_waitcnt vmcnt(0) lgkmcnt(0)
	ds_write_b32 v27, v30
	s_waitcnt lgkmcnt(0)
	s_barrier
	ds_read2_b32 v[48:49], v28 offset1:16
	ds_read2_b32 v[58:59], v28 offset0:32 offset1:48
	ds_read_b128 v[30:33], v29
	ds_read_b128 v[34:37], v29 offset:256
	ds_read_b128 v[38:41], v29 offset:512
	ds_read_b128 v[42:45], v29 offset:768
	ds_read2_b32 v[50:51], v28 offset0:64 offset1:80
	ds_read2_b32 v[60:61], v28 offset0:96 offset1:112
	;; [unrolled: 1-line block ×6, first 2 shown]
	s_waitcnt lgkmcnt(11)
	v_mov_b32_e32 v46, v49
	v_mov_b32_e32 v47, v48
	s_waitcnt lgkmcnt(10)
	v_mov_b32_e32 v56, v59
	v_mov_b32_e32 v57, v58
	;; [unrolled: 3-line block ×4, first 2 shown]
	v_pk_fma_f32 v[18:19], v[46:47], v[30:31], v[18:19] op_sel_hi:[1,0,1]
	v_pk_fma_f32 v[14:15], v[46:47], v[34:35], v[14:15] op_sel_hi:[1,0,1]
	;; [unrolled: 1-line block ×8, first 2 shown]
	s_waitcnt lgkmcnt(3)
	v_mov_b32_e32 v50, v53
	v_mov_b32_e32 v51, v52
	s_waitcnt lgkmcnt(2)
	v_mov_b32_e32 v60, v63
	v_mov_b32_e32 v61, v62
	v_pk_fma_f32 v[18:19], v[48:49], v[30:31], v[18:19] op_sel:[0,1,0]
	v_pk_fma_f32 v[14:15], v[48:49], v[34:35], v[14:15] op_sel:[0,1,0]
	;; [unrolled: 1-line block ×8, first 2 shown]
	s_waitcnt lgkmcnt(1)
	v_mov_b32_e32 v52, v55
	v_mov_b32_e32 v53, v54
	v_mov_b32_e32 v54, v33
	s_waitcnt lgkmcnt(0)
	v_mov_b32_e32 v62, v65
	v_mov_b32_e32 v63, v64
	;; [unrolled: 1-line block ×5, first 2 shown]
	v_pk_fma_f32 v[18:19], v[50:51], v[32:33], v[18:19] op_sel_hi:[1,0,1]
	v_pk_fma_f32 v[16:17], v[60:61], v[32:33], v[16:17] op_sel_hi:[1,0,1]
	v_pk_fma_f32 v[14:15], v[50:51], v[36:37], v[14:15] op_sel_hi:[1,0,1]
	v_pk_fma_f32 v[8:9], v[60:61], v[36:37], v[8:9] op_sel_hi:[1,0,1]
	v_pk_fma_f32 v[6:7], v[50:51], v[40:41], v[6:7] op_sel_hi:[1,0,1]
	v_pk_fma_f32 v[4:5], v[60:61], v[40:41], v[4:5] op_sel_hi:[1,0,1]
	v_pk_fma_f32 v[2:3], v[50:51], v[44:45], v[2:3] op_sel_hi:[1,0,1]
	v_pk_fma_f32 v[0:1], v[60:61], v[44:45], v[0:1] op_sel_hi:[1,0,1]
	v_pk_fma_f32 v[18:19], v[52:53], v[54:55], v[18:19] op_sel_hi:[1,0,1]
	v_pk_fma_f32 v[16:17], v[62:63], v[54:55], v[16:17] op_sel_hi:[1,0,1]
	v_pk_fma_f32 v[14:15], v[52:53], v[64:65], v[14:15] op_sel_hi:[1,0,1]
	v_pk_fma_f32 v[8:9], v[62:63], v[64:65], v[8:9] op_sel_hi:[1,0,1]
	v_pk_fma_f32 v[6:7], v[52:53], v[66:67], v[6:7] op_sel_hi:[1,0,1]
	v_pk_fma_f32 v[4:5], v[62:63], v[66:67], v[4:5] op_sel_hi:[1,0,1]
	v_pk_fma_f32 v[2:3], v[52:53], v[68:69], v[2:3] op_sel_hi:[1,0,1]
	v_pk_fma_f32 v[0:1], v[62:63], v[68:69], v[0:1] op_sel_hi:[1,0,1]
	s_barrier
	s_cbranch_vccnz .LBB176_2
.LBB176_3:
	s_load_dword s14, s[0:1], 0x18
	s_load_dword s15, s[0:1], 0x50
	s_lshl_b64 s[0:1], s[26:27], 2
	s_waitcnt lgkmcnt(0)
	s_add_u32 s0, s6, s0
	s_addc_u32 s1, s7, s1
	v_lshl_add_u64 v[20:21], s[8:9], 0, v[10:11]
	v_cmp_neq_f32_e64 s[6:7], s15, 0
	v_lshl_add_u64 v[10:11], s[2:3], 0, v[12:13]
	s_and_b64 vcc, exec, s[6:7]
	v_mul_lo_u32 v12, v21, s24
	v_mul_lo_u32 v13, v20, s25
	v_lshlrev_b64 v[10:11], 2, v[10:11]
	s_cbranch_vccnz .LBB176_7
; %bb.4:
	v_mad_u64_u32 v[22:23], s[2:3], v20, s24, 0
	v_add3_u32 v23, v23, v13, v12
	v_lshl_add_u64 v[22:23], v[22:23], 2, s[0:1]
	v_mul_f32_e32 v26, s14, v19
	v_lshl_add_u64 v[24:25], v[22:23], 0, v[10:11]
	flat_store_dword v[24:25], v26
	v_mul_f32_e32 v26, s14, v18
	flat_store_dword v[24:25], v26 offset:64
	v_mul_f32_e32 v26, s14, v17
	s_lshl_b64 s[2:3], s[24:25], 6
	flat_store_dword v[24:25], v26 offset:128
	v_mul_f32_e32 v26, s14, v16
	v_lshl_add_u64 v[22:23], v[22:23], 0, s[2:3]
	flat_store_dword v[24:25], v26 offset:192
	v_mul_f32_e32 v26, s14, v15
	v_lshl_add_u64 v[24:25], v[22:23], 0, v[10:11]
	flat_store_dword v[24:25], v26
	v_mul_f32_e32 v26, s14, v14
	flat_store_dword v[24:25], v26 offset:64
	v_mul_f32_e32 v26, s14, v9
	flat_store_dword v[24:25], v26 offset:128
	v_mul_f32_e32 v26, s14, v8
	v_lshl_add_u64 v[22:23], v[22:23], 0, s[2:3]
	flat_store_dword v[24:25], v26 offset:192
	v_mul_f32_e32 v26, s14, v7
	v_lshl_add_u64 v[24:25], v[22:23], 0, v[10:11]
	flat_store_dword v[24:25], v26
	v_mul_f32_e32 v26, s14, v6
	flat_store_dword v[24:25], v26 offset:64
	v_mul_f32_e32 v26, s14, v5
	;; [unrolled: 10-line block ×3, first 2 shown]
	flat_store_dword v[22:23], v24 offset:128
	v_mul_f32_e32 v24, s14, v0
	flat_store_dword v[22:23], v24 offset:192
	s_cbranch_execnz .LBB176_6
.LBB176_5:
	s_lshl_b64 s[2:3], s[12:13], 2
	s_add_u32 s2, s4, s2
	s_addc_u32 s3, s5, s3
	v_mul_lo_u32 v21, v21, s10
	v_mul_lo_u32 v24, v20, s11
	v_mad_u64_u32 v[22:23], s[4:5], v20, s10, 0
	v_add3_u32 v23, v23, v24, v21
	v_lshl_add_u64 v[22:23], v[22:23], 2, s[2:3]
	v_lshl_add_u64 v[24:25], v[22:23], 0, v[10:11]
	flat_load_dword v26, v[24:25]
	v_mad_u64_u32 v[20:21], s[2:3], v20, s24, 0
	v_add3_u32 v21, v21, v13, v12
	v_lshl_add_u64 v[12:13], v[20:21], 2, s[0:1]
	v_lshl_add_u64 v[20:21], v[12:13], 0, v[10:11]
	s_lshl_b64 s[0:1], s[10:11], 6
	s_lshl_b64 s[2:3], s[24:25], 6
	v_lshl_add_u64 v[12:13], v[12:13], 0, s[2:3]
	s_waitcnt vmcnt(0) lgkmcnt(0)
	v_mul_f32_e32 v26, s15, v26
	v_fmac_f32_e32 v26, s14, v19
	flat_store_dword v[20:21], v26
	flat_load_dword v19, v[24:25] offset:64
	s_waitcnt vmcnt(0) lgkmcnt(0)
	v_mul_f32_e32 v19, s15, v19
	v_fmac_f32_e32 v19, s14, v18
	flat_store_dword v[20:21], v19 offset:64
	flat_load_dword v18, v[24:25] offset:128
	s_waitcnt vmcnt(0) lgkmcnt(0)
	v_mul_f32_e32 v18, s15, v18
	v_fmac_f32_e32 v18, s14, v17
	flat_store_dword v[20:21], v18 offset:128
	flat_load_dword v17, v[24:25] offset:192
	v_lshl_add_u64 v[18:19], v[22:23], 0, s[0:1]
	v_lshl_add_u64 v[22:23], v[18:19], 0, v[10:11]
	s_waitcnt vmcnt(0) lgkmcnt(0)
	v_mul_f32_e32 v17, s15, v17
	v_fmac_f32_e32 v17, s14, v16
	flat_store_dword v[20:21], v17 offset:192
	flat_load_dword v20, v[22:23]
	v_lshl_add_u64 v[16:17], v[12:13], 0, v[10:11]
	s_waitcnt vmcnt(0) lgkmcnt(0)
	v_mul_f32_e32 v20, s15, v20
	v_fmac_f32_e32 v20, s14, v15
	flat_store_dword v[16:17], v20
	flat_load_dword v15, v[22:23] offset:64
	s_waitcnt vmcnt(0) lgkmcnt(0)
	v_mul_f32_e32 v15, s15, v15
	v_fmac_f32_e32 v15, s14, v14
	flat_store_dword v[16:17], v15 offset:64
	flat_load_dword v14, v[22:23] offset:128
	s_waitcnt vmcnt(0) lgkmcnt(0)
	v_mul_f32_e32 v14, s15, v14
	v_fmac_f32_e32 v14, s14, v9
	flat_store_dword v[16:17], v14 offset:128
	flat_load_dword v9, v[22:23] offset:192
	v_lshl_add_u64 v[14:15], v[18:19], 0, s[0:1]
	v_lshl_add_u64 v[18:19], v[14:15], 0, v[10:11]
	s_waitcnt vmcnt(0) lgkmcnt(0)
	v_mul_f32_e32 v9, s15, v9
	v_fmac_f32_e32 v9, s14, v8
	flat_store_dword v[16:17], v9 offset:192
	flat_load_dword v16, v[18:19]
	v_lshl_add_u64 v[8:9], v[12:13], 0, s[2:3]
	v_lshl_add_u64 v[12:13], v[8:9], 0, v[10:11]
	s_waitcnt vmcnt(0) lgkmcnt(0)
	v_mul_f32_e32 v16, s15, v16
	v_fmac_f32_e32 v16, s14, v7
	flat_store_dword v[12:13], v16
	flat_load_dword v7, v[18:19] offset:64
	s_waitcnt vmcnt(0) lgkmcnt(0)
	v_mul_f32_e32 v7, s15, v7
	v_fmac_f32_e32 v7, s14, v6
	flat_store_dword v[12:13], v7 offset:64
	flat_load_dword v6, v[18:19] offset:128
	s_waitcnt vmcnt(0) lgkmcnt(0)
	v_mul_f32_e32 v6, s15, v6
	v_fmac_f32_e32 v6, s14, v5
	flat_store_dword v[12:13], v6 offset:128
	flat_load_dword v5, v[18:19] offset:192
	v_lshl_add_u64 v[6:7], v[14:15], 0, s[0:1]
	v_lshl_add_u64 v[6:7], v[6:7], 0, v[10:11]
	s_waitcnt vmcnt(0) lgkmcnt(0)
	v_mul_f32_e32 v5, s15, v5
	v_fmac_f32_e32 v5, s14, v4
	flat_store_dword v[12:13], v5 offset:192
	flat_load_dword v12, v[6:7]
	v_lshl_add_u64 v[4:5], v[8:9], 0, s[2:3]
	v_lshl_add_u64 v[4:5], v[4:5], 0, v[10:11]
	s_waitcnt vmcnt(0) lgkmcnt(0)
	v_mul_f32_e32 v8, s15, v12
	v_fmac_f32_e32 v8, s14, v3
	flat_store_dword v[4:5], v8
	flat_load_dword v3, v[6:7] offset:64
	s_waitcnt vmcnt(0) lgkmcnt(0)
	v_mul_f32_e32 v3, s15, v3
	v_fmac_f32_e32 v3, s14, v2
	flat_store_dword v[4:5], v3 offset:64
	flat_load_dword v2, v[6:7] offset:128
	s_waitcnt vmcnt(0) lgkmcnt(0)
	v_mul_f32_e32 v2, s15, v2
	v_fmac_f32_e32 v2, s14, v1
	flat_store_dword v[4:5], v2 offset:128
	;; [unrolled: 5-line block ×3, first 2 shown]
.LBB176_6:
	s_endpgm
.LBB176_7:
	s_branch .LBB176_5
	.section	.rodata,"a",@progbits
	.p2align	6, 0x0
	.amdhsa_kernel _ZN12_GLOBAL__N_127rocblas_gemm_batched_kernelIfLi16ELi16ELi64ELi64ELi4ELi64ELi4ELi4ELi64ELc78ELc78EKPKfS3_KPfEEvlllT_PT11_llS8_llS6_PT12_llPT13_lli
		.amdhsa_group_segment_fixed_size 2048
		.amdhsa_private_segment_fixed_size 0
		.amdhsa_kernarg_size 140
		.amdhsa_user_sgpr_count 2
		.amdhsa_user_sgpr_dispatch_ptr 0
		.amdhsa_user_sgpr_queue_ptr 0
		.amdhsa_user_sgpr_kernarg_segment_ptr 1
		.amdhsa_user_sgpr_dispatch_id 0
		.amdhsa_user_sgpr_kernarg_preload_length 0
		.amdhsa_user_sgpr_kernarg_preload_offset 0
		.amdhsa_user_sgpr_private_segment_size 0
		.amdhsa_uses_dynamic_stack 0
		.amdhsa_enable_private_segment 0
		.amdhsa_system_sgpr_workgroup_id_x 1
		.amdhsa_system_sgpr_workgroup_id_y 1
		.amdhsa_system_sgpr_workgroup_id_z 1
		.amdhsa_system_sgpr_workgroup_info 0
		.amdhsa_system_vgpr_workitem_id 1
		.amdhsa_next_free_vgpr 70
		.amdhsa_next_free_sgpr 40
		.amdhsa_accum_offset 72
		.amdhsa_reserve_vcc 1
		.amdhsa_float_round_mode_32 0
		.amdhsa_float_round_mode_16_64 0
		.amdhsa_float_denorm_mode_32 3
		.amdhsa_float_denorm_mode_16_64 3
		.amdhsa_dx10_clamp 1
		.amdhsa_ieee_mode 1
		.amdhsa_fp16_overflow 0
		.amdhsa_tg_split 0
		.amdhsa_exception_fp_ieee_invalid_op 0
		.amdhsa_exception_fp_denorm_src 0
		.amdhsa_exception_fp_ieee_div_zero 0
		.amdhsa_exception_fp_ieee_overflow 0
		.amdhsa_exception_fp_ieee_underflow 0
		.amdhsa_exception_fp_ieee_inexact 0
		.amdhsa_exception_int_div_zero 0
	.end_amdhsa_kernel
	.section	.text._ZN12_GLOBAL__N_127rocblas_gemm_batched_kernelIfLi16ELi16ELi64ELi64ELi4ELi64ELi4ELi4ELi64ELc78ELc78EKPKfS3_KPfEEvlllT_PT11_llS8_llS6_PT12_llPT13_lli,"axG",@progbits,_ZN12_GLOBAL__N_127rocblas_gemm_batched_kernelIfLi16ELi16ELi64ELi64ELi4ELi64ELi4ELi4ELi64ELc78ELc78EKPKfS3_KPfEEvlllT_PT11_llS8_llS6_PT12_llPT13_lli,comdat
.Lfunc_end176:
	.size	_ZN12_GLOBAL__N_127rocblas_gemm_batched_kernelIfLi16ELi16ELi64ELi64ELi4ELi64ELi4ELi4ELi64ELc78ELc78EKPKfS3_KPfEEvlllT_PT11_llS8_llS6_PT12_llPT13_lli, .Lfunc_end176-_ZN12_GLOBAL__N_127rocblas_gemm_batched_kernelIfLi16ELi16ELi64ELi64ELi4ELi64ELi4ELi4ELi64ELc78ELc78EKPKfS3_KPfEEvlllT_PT11_llS8_llS6_PT12_llPT13_lli
                                        ; -- End function
	.set _ZN12_GLOBAL__N_127rocblas_gemm_batched_kernelIfLi16ELi16ELi64ELi64ELi4ELi64ELi4ELi4ELi64ELc78ELc78EKPKfS3_KPfEEvlllT_PT11_llS8_llS6_PT12_llPT13_lli.num_vgpr, 70
	.set _ZN12_GLOBAL__N_127rocblas_gemm_batched_kernelIfLi16ELi16ELi64ELi64ELi4ELi64ELi4ELi4ELi64ELc78ELc78EKPKfS3_KPfEEvlllT_PT11_llS8_llS6_PT12_llPT13_lli.num_agpr, 0
	.set _ZN12_GLOBAL__N_127rocblas_gemm_batched_kernelIfLi16ELi16ELi64ELi64ELi4ELi64ELi4ELi4ELi64ELc78ELc78EKPKfS3_KPfEEvlllT_PT11_llS8_llS6_PT12_llPT13_lli.numbered_sgpr, 40
	.set _ZN12_GLOBAL__N_127rocblas_gemm_batched_kernelIfLi16ELi16ELi64ELi64ELi4ELi64ELi4ELi4ELi64ELc78ELc78EKPKfS3_KPfEEvlllT_PT11_llS8_llS6_PT12_llPT13_lli.num_named_barrier, 0
	.set _ZN12_GLOBAL__N_127rocblas_gemm_batched_kernelIfLi16ELi16ELi64ELi64ELi4ELi64ELi4ELi4ELi64ELc78ELc78EKPKfS3_KPfEEvlllT_PT11_llS8_llS6_PT12_llPT13_lli.private_seg_size, 0
	.set _ZN12_GLOBAL__N_127rocblas_gemm_batched_kernelIfLi16ELi16ELi64ELi64ELi4ELi64ELi4ELi4ELi64ELc78ELc78EKPKfS3_KPfEEvlllT_PT11_llS8_llS6_PT12_llPT13_lli.uses_vcc, 1
	.set _ZN12_GLOBAL__N_127rocblas_gemm_batched_kernelIfLi16ELi16ELi64ELi64ELi4ELi64ELi4ELi4ELi64ELc78ELc78EKPKfS3_KPfEEvlllT_PT11_llS8_llS6_PT12_llPT13_lli.uses_flat_scratch, 0
	.set _ZN12_GLOBAL__N_127rocblas_gemm_batched_kernelIfLi16ELi16ELi64ELi64ELi4ELi64ELi4ELi4ELi64ELc78ELc78EKPKfS3_KPfEEvlllT_PT11_llS8_llS6_PT12_llPT13_lli.has_dyn_sized_stack, 0
	.set _ZN12_GLOBAL__N_127rocblas_gemm_batched_kernelIfLi16ELi16ELi64ELi64ELi4ELi64ELi4ELi4ELi64ELc78ELc78EKPKfS3_KPfEEvlllT_PT11_llS8_llS6_PT12_llPT13_lli.has_recursion, 0
	.set _ZN12_GLOBAL__N_127rocblas_gemm_batched_kernelIfLi16ELi16ELi64ELi64ELi4ELi64ELi4ELi4ELi64ELc78ELc78EKPKfS3_KPfEEvlllT_PT11_llS8_llS6_PT12_llPT13_lli.has_indirect_call, 0
	.section	.AMDGPU.csdata,"",@progbits
; Kernel info:
; codeLenInByte = 2092
; TotalNumSgprs: 46
; NumVgprs: 70
; NumAgprs: 0
; TotalNumVgprs: 70
; ScratchSize: 0
; MemoryBound: 0
; FloatMode: 240
; IeeeMode: 1
; LDSByteSize: 2048 bytes/workgroup (compile time only)
; SGPRBlocks: 5
; VGPRBlocks: 8
; NumSGPRsForWavesPerEU: 46
; NumVGPRsForWavesPerEU: 70
; AccumOffset: 72
; Occupancy: 7
; WaveLimiterHint : 1
; COMPUTE_PGM_RSRC2:SCRATCH_EN: 0
; COMPUTE_PGM_RSRC2:USER_SGPR: 2
; COMPUTE_PGM_RSRC2:TRAP_HANDLER: 0
; COMPUTE_PGM_RSRC2:TGID_X_EN: 1
; COMPUTE_PGM_RSRC2:TGID_Y_EN: 1
; COMPUTE_PGM_RSRC2:TGID_Z_EN: 1
; COMPUTE_PGM_RSRC2:TIDIG_COMP_CNT: 1
; COMPUTE_PGM_RSRC3_GFX90A:ACCUM_OFFSET: 17
; COMPUTE_PGM_RSRC3_GFX90A:TG_SPLIT: 0
	.section	.text._ZN12_GLOBAL__N_127rocblas_gemm_batched_kernelIfLi16ELi16ELi64ELi64ELi4ELi64ELi4ELi4ELi64ELc84ELc78EKPKfS3_KPfEEvlllT_PT11_llS8_llS6_PT12_llPT13_lli,"axG",@progbits,_ZN12_GLOBAL__N_127rocblas_gemm_batched_kernelIfLi16ELi16ELi64ELi64ELi4ELi64ELi4ELi4ELi64ELc84ELc78EKPKfS3_KPfEEvlllT_PT11_llS8_llS6_PT12_llPT13_lli,comdat
	.globl	_ZN12_GLOBAL__N_127rocblas_gemm_batched_kernelIfLi16ELi16ELi64ELi64ELi4ELi64ELi4ELi4ELi64ELc84ELc78EKPKfS3_KPfEEvlllT_PT11_llS8_llS6_PT12_llPT13_lli ; -- Begin function _ZN12_GLOBAL__N_127rocblas_gemm_batched_kernelIfLi16ELi16ELi64ELi64ELi4ELi64ELi4ELi4ELi64ELc84ELc78EKPKfS3_KPfEEvlllT_PT11_llS8_llS6_PT12_llPT13_lli
	.p2align	8
	.type	_ZN12_GLOBAL__N_127rocblas_gemm_batched_kernelIfLi16ELi16ELi64ELi64ELi4ELi64ELi4ELi4ELi64ELc84ELc78EKPKfS3_KPfEEvlllT_PT11_llS8_llS6_PT12_llPT13_lli,@function
_ZN12_GLOBAL__N_127rocblas_gemm_batched_kernelIfLi16ELi16ELi64ELi64ELi4ELi64ELi4ELi4ELi64ELc84ELc78EKPKfS3_KPfEEvlllT_PT11_llS8_llS6_PT12_llPT13_lli: ; @_ZN12_GLOBAL__N_127rocblas_gemm_batched_kernelIfLi16ELi16ELi64ELi64ELi4ELi64ELi4ELi4ELi64ELc84ELc78EKPKfS3_KPfEEvlllT_PT11_llS8_llS6_PT12_llPT13_lli
; %bb.0:
	s_load_dwordx2 s[28:29], s[0:1], 0x10
	s_load_dwordx4 s[24:27], s[0:1], 0x78
	s_load_dwordx8 s[8:15], s[0:1], 0x58
	s_mov_b32 s5, 0
	s_lshl_b64 s[30:31], s[4:5], 3
	s_mov_b32 s16, s3
	v_mov_b32_e32 v11, 0
	s_waitcnt lgkmcnt(0)
	s_add_u32 s4, s8, s30
	s_addc_u32 s5, s9, s31
	s_add_u32 s6, s14, s30
	s_addc_u32 s7, s15, s31
	s_load_dwordx2 s[4:5], s[4:5], 0x0
	s_ashr_i32 s3, s2, 31
	s_load_dwordx2 s[6:7], s[6:7], 0x0
	s_ashr_i32 s17, s16, 31
	v_cmp_lt_i64_e64 s[14:15], s[28:29], 1
	v_bfe_u32 v10, v0, 10, 10
	v_and_b32_e32 v12, 0x3ff, v0
	v_mov_b32_e32 v13, v11
	s_lshl_b64 s[2:3], s[2:3], 6
	s_lshl_b64 s[8:9], s[16:17], 6
	s_and_b64 vcc, exec, s[14:15]
	v_mov_b32_e32 v19, v11
	v_mov_b32_e32 v18, v11
	v_mov_b32_e32 v17, v11
	v_mov_b32_e32 v16, v11
	v_mov_b32_e32 v15, v11
	v_mov_b32_e32 v14, v11
	v_mov_b32_e32 v9, v11
	v_mov_b32_e32 v8, v11
	v_mov_b32_e32 v7, v11
	v_mov_b32_e32 v6, v11
	v_mov_b32_e32 v5, v11
	v_mov_b32_e32 v4, v11
	v_mov_b32_e32 v3, v11
	v_mov_b32_e32 v2, v11
	v_mov_b32_e32 v1, v11
	v_mov_b32_e32 v0, v11
	s_cbranch_vccnz .LBB177_3
; %bb.1:
	s_load_dwordx8 s[16:23], s[0:1], 0x20
	s_load_dwordx4 s[36:39], s[0:1], 0x40
	v_lshlrev_b32_e32 v7, 4, v10
	v_add_u32_e32 v6, v7, v12
	v_and_b32_e32 v4, 63, v6
	s_waitcnt lgkmcnt(0)
	s_add_u32 s14, s16, s30
	s_addc_u32 s15, s17, s31
	s_add_u32 s16, s22, s30
	v_lshrrev_b32_e32 v0, 2, v6
	v_and_b32_e32 v8, 3, v12
	v_lshrrev_b32_e32 v9, 6, v6
	v_lshlrev_b32_e32 v6, 2, v4
	s_addc_u32 s17, s23, s31
	v_mov_b32_e32 v1, 0
	v_lshl_or_b32 v26, v9, 8, v6
	v_lshlrev_b32_e32 v6, 2, v8
	s_load_dwordx2 s[16:17], s[16:17], 0x0
	v_lshl_add_u64 v[2:3], v[0:1], 0, s[8:9]
	v_lshl_or_b32 v0, v0, 4, v6
	v_add_u32_e32 v27, 0x400, v0
	v_add_u32_e32 v29, 0x400, v7
	v_mul_lo_u32 v0, s37, v2
	v_mul_lo_u32 v7, s36, v3
	v_mad_u64_u32 v[2:3], s[22:23], s36, v2, 0
	v_add3_u32 v3, v3, v7, v0
	s_lshl_b64 s[22:23], s[38:39], 2
	v_lshl_add_u64 v[2:3], v[2:3], 2, s[22:23]
	v_mov_b32_e32 v7, v1
	v_mov_b32_e32 v5, v1
	v_lshl_add_u64 v[2:3], v[2:3], 0, v[6:7]
	s_load_dwordx2 s[14:15], s[14:15], 0x0
	s_waitcnt lgkmcnt(0)
	v_lshl_add_u64 v[20:21], s[16:17], 0, v[2:3]
	v_lshl_add_u64 v[2:3], s[2:3], 0, v[4:5]
	v_mul_lo_u32 v0, s19, v2
	v_mul_lo_u32 v4, s18, v3
	v_mad_u64_u32 v[2:3], s[16:17], s18, v2, 0
	v_add3_u32 v3, v3, v4, v0
	s_lshl_b64 s[16:17], s[20:21], 2
	v_lshl_add_u64 v[2:3], v[2:3], 2, s[16:17]
	v_lshlrev_b32_e32 v0, 2, v9
	v_lshl_add_u64 v[2:3], v[2:3], 0, v[0:1]
	v_lshlrev_b32_e32 v28, 2, v12
	v_lshl_add_u64 v[22:23], s[14:15], 0, v[2:3]
	s_mov_b64 s[14:15], 0
	v_mov_b64_e32 v[24:25], s[28:29]
	v_mov_b32_e32 v0, v1
	v_mov_b32_e32 v2, v1
	v_mov_b32_e32 v3, v1
	v_mov_b32_e32 v4, v1
	v_mov_b32_e32 v6, v1
	v_mov_b32_e32 v8, v1
	v_mov_b32_e32 v9, v1
	v_mov_b32_e32 v14, v1
	v_mov_b32_e32 v15, v1
	v_mov_b32_e32 v16, v1
	v_mov_b32_e32 v17, v1
	v_mov_b32_e32 v18, v1
	v_mov_b32_e32 v19, v1
.LBB177_2:                              ; =>This Inner Loop Header: Depth=1
	flat_load_dword v30, v[22:23]
	s_add_u32 s14, s14, 4
	s_addc_u32 s15, s15, 0
	v_cmp_lt_i64_e32 vcc, s[14:15], v[24:25]
	v_lshl_add_u64 v[22:23], v[22:23], 0, 16
	s_and_b64 vcc, exec, vcc
	s_waitcnt vmcnt(0) lgkmcnt(0)
	ds_write_b32 v26, v30
	flat_load_dword v30, v[20:21]
	v_lshl_add_u64 v[20:21], v[20:21], 0, 16
	s_waitcnt vmcnt(0) lgkmcnt(0)
	ds_write_b32 v27, v30
	s_waitcnt lgkmcnt(0)
	s_barrier
	ds_read2_b32 v[48:49], v28 offset1:16
	ds_read2_b32 v[58:59], v28 offset0:32 offset1:48
	ds_read_b128 v[30:33], v29
	ds_read_b128 v[34:37], v29 offset:256
	ds_read_b128 v[38:41], v29 offset:512
	ds_read_b128 v[42:45], v29 offset:768
	ds_read2_b32 v[50:51], v28 offset0:64 offset1:80
	ds_read2_b32 v[60:61], v28 offset0:96 offset1:112
	;; [unrolled: 1-line block ×6, first 2 shown]
	s_waitcnt lgkmcnt(11)
	v_mov_b32_e32 v46, v49
	v_mov_b32_e32 v47, v48
	s_waitcnt lgkmcnt(10)
	v_mov_b32_e32 v56, v59
	v_mov_b32_e32 v57, v58
	;; [unrolled: 3-line block ×4, first 2 shown]
	v_pk_fma_f32 v[18:19], v[46:47], v[30:31], v[18:19] op_sel_hi:[1,0,1]
	v_pk_fma_f32 v[14:15], v[46:47], v[34:35], v[14:15] op_sel_hi:[1,0,1]
	;; [unrolled: 1-line block ×8, first 2 shown]
	s_waitcnt lgkmcnt(3)
	v_mov_b32_e32 v50, v53
	v_mov_b32_e32 v51, v52
	s_waitcnt lgkmcnt(2)
	v_mov_b32_e32 v60, v63
	v_mov_b32_e32 v61, v62
	v_pk_fma_f32 v[18:19], v[48:49], v[30:31], v[18:19] op_sel:[0,1,0]
	v_pk_fma_f32 v[14:15], v[48:49], v[34:35], v[14:15] op_sel:[0,1,0]
	;; [unrolled: 1-line block ×8, first 2 shown]
	s_waitcnt lgkmcnt(1)
	v_mov_b32_e32 v52, v55
	v_mov_b32_e32 v53, v54
	;; [unrolled: 1-line block ×3, first 2 shown]
	s_waitcnt lgkmcnt(0)
	v_mov_b32_e32 v62, v65
	v_mov_b32_e32 v63, v64
	;; [unrolled: 1-line block ×5, first 2 shown]
	v_pk_fma_f32 v[18:19], v[50:51], v[32:33], v[18:19] op_sel_hi:[1,0,1]
	v_pk_fma_f32 v[16:17], v[60:61], v[32:33], v[16:17] op_sel_hi:[1,0,1]
	v_pk_fma_f32 v[14:15], v[50:51], v[36:37], v[14:15] op_sel_hi:[1,0,1]
	v_pk_fma_f32 v[8:9], v[60:61], v[36:37], v[8:9] op_sel_hi:[1,0,1]
	v_pk_fma_f32 v[6:7], v[50:51], v[40:41], v[6:7] op_sel_hi:[1,0,1]
	v_pk_fma_f32 v[4:5], v[60:61], v[40:41], v[4:5] op_sel_hi:[1,0,1]
	v_pk_fma_f32 v[2:3], v[50:51], v[44:45], v[2:3] op_sel_hi:[1,0,1]
	v_pk_fma_f32 v[0:1], v[60:61], v[44:45], v[0:1] op_sel_hi:[1,0,1]
	v_pk_fma_f32 v[18:19], v[52:53], v[54:55], v[18:19] op_sel_hi:[1,0,1]
	v_pk_fma_f32 v[16:17], v[62:63], v[54:55], v[16:17] op_sel_hi:[1,0,1]
	v_pk_fma_f32 v[14:15], v[52:53], v[64:65], v[14:15] op_sel_hi:[1,0,1]
	v_pk_fma_f32 v[8:9], v[62:63], v[64:65], v[8:9] op_sel_hi:[1,0,1]
	v_pk_fma_f32 v[6:7], v[52:53], v[66:67], v[6:7] op_sel_hi:[1,0,1]
	v_pk_fma_f32 v[4:5], v[62:63], v[66:67], v[4:5] op_sel_hi:[1,0,1]
	v_pk_fma_f32 v[2:3], v[52:53], v[68:69], v[2:3] op_sel_hi:[1,0,1]
	v_pk_fma_f32 v[0:1], v[62:63], v[68:69], v[0:1] op_sel_hi:[1,0,1]
	s_barrier
	s_cbranch_vccnz .LBB177_2
.LBB177_3:
	s_load_dword s14, s[0:1], 0x18
	s_load_dword s15, s[0:1], 0x50
	s_lshl_b64 s[0:1], s[26:27], 2
	s_waitcnt lgkmcnt(0)
	s_add_u32 s0, s6, s0
	s_addc_u32 s1, s7, s1
	v_lshl_add_u64 v[20:21], s[8:9], 0, v[10:11]
	v_cmp_neq_f32_e64 s[6:7], s15, 0
	v_lshl_add_u64 v[10:11], s[2:3], 0, v[12:13]
	s_and_b64 vcc, exec, s[6:7]
	v_mul_lo_u32 v12, v21, s24
	v_mul_lo_u32 v13, v20, s25
	v_lshlrev_b64 v[10:11], 2, v[10:11]
	s_cbranch_vccnz .LBB177_7
; %bb.4:
	v_mad_u64_u32 v[22:23], s[2:3], v20, s24, 0
	v_add3_u32 v23, v23, v13, v12
	v_lshl_add_u64 v[22:23], v[22:23], 2, s[0:1]
	v_mul_f32_e32 v26, s14, v19
	v_lshl_add_u64 v[24:25], v[22:23], 0, v[10:11]
	flat_store_dword v[24:25], v26
	v_mul_f32_e32 v26, s14, v18
	flat_store_dword v[24:25], v26 offset:64
	v_mul_f32_e32 v26, s14, v17
	s_lshl_b64 s[2:3], s[24:25], 6
	flat_store_dword v[24:25], v26 offset:128
	v_mul_f32_e32 v26, s14, v16
	v_lshl_add_u64 v[22:23], v[22:23], 0, s[2:3]
	flat_store_dword v[24:25], v26 offset:192
	v_mul_f32_e32 v26, s14, v15
	v_lshl_add_u64 v[24:25], v[22:23], 0, v[10:11]
	flat_store_dword v[24:25], v26
	v_mul_f32_e32 v26, s14, v14
	flat_store_dword v[24:25], v26 offset:64
	v_mul_f32_e32 v26, s14, v9
	flat_store_dword v[24:25], v26 offset:128
	v_mul_f32_e32 v26, s14, v8
	v_lshl_add_u64 v[22:23], v[22:23], 0, s[2:3]
	flat_store_dword v[24:25], v26 offset:192
	v_mul_f32_e32 v26, s14, v7
	v_lshl_add_u64 v[24:25], v[22:23], 0, v[10:11]
	flat_store_dword v[24:25], v26
	v_mul_f32_e32 v26, s14, v6
	flat_store_dword v[24:25], v26 offset:64
	v_mul_f32_e32 v26, s14, v5
	flat_store_dword v[24:25], v26 offset:128
	v_mul_f32_e32 v26, s14, v4
	v_lshl_add_u64 v[22:23], v[22:23], 0, s[2:3]
	flat_store_dword v[24:25], v26 offset:192
	v_mul_f32_e32 v24, s14, v3
	v_lshl_add_u64 v[22:23], v[22:23], 0, v[10:11]
	flat_store_dword v[22:23], v24
	v_mul_f32_e32 v24, s14, v2
	flat_store_dword v[22:23], v24 offset:64
	v_mul_f32_e32 v24, s14, v1
	flat_store_dword v[22:23], v24 offset:128
	v_mul_f32_e32 v24, s14, v0
	flat_store_dword v[22:23], v24 offset:192
	s_cbranch_execnz .LBB177_6
.LBB177_5:
	s_lshl_b64 s[2:3], s[12:13], 2
	s_add_u32 s2, s4, s2
	s_addc_u32 s3, s5, s3
	v_mul_lo_u32 v21, v21, s10
	v_mul_lo_u32 v24, v20, s11
	v_mad_u64_u32 v[22:23], s[4:5], v20, s10, 0
	v_add3_u32 v23, v23, v24, v21
	v_lshl_add_u64 v[22:23], v[22:23], 2, s[2:3]
	v_lshl_add_u64 v[24:25], v[22:23], 0, v[10:11]
	flat_load_dword v26, v[24:25]
	v_mad_u64_u32 v[20:21], s[2:3], v20, s24, 0
	v_add3_u32 v21, v21, v13, v12
	v_lshl_add_u64 v[12:13], v[20:21], 2, s[0:1]
	v_lshl_add_u64 v[20:21], v[12:13], 0, v[10:11]
	s_lshl_b64 s[0:1], s[10:11], 6
	s_lshl_b64 s[2:3], s[24:25], 6
	v_lshl_add_u64 v[12:13], v[12:13], 0, s[2:3]
	s_waitcnt vmcnt(0) lgkmcnt(0)
	v_mul_f32_e32 v26, s15, v26
	v_fmac_f32_e32 v26, s14, v19
	flat_store_dword v[20:21], v26
	flat_load_dword v19, v[24:25] offset:64
	s_waitcnt vmcnt(0) lgkmcnt(0)
	v_mul_f32_e32 v19, s15, v19
	v_fmac_f32_e32 v19, s14, v18
	flat_store_dword v[20:21], v19 offset:64
	flat_load_dword v18, v[24:25] offset:128
	s_waitcnt vmcnt(0) lgkmcnt(0)
	v_mul_f32_e32 v18, s15, v18
	v_fmac_f32_e32 v18, s14, v17
	flat_store_dword v[20:21], v18 offset:128
	flat_load_dword v17, v[24:25] offset:192
	v_lshl_add_u64 v[18:19], v[22:23], 0, s[0:1]
	v_lshl_add_u64 v[22:23], v[18:19], 0, v[10:11]
	s_waitcnt vmcnt(0) lgkmcnt(0)
	v_mul_f32_e32 v17, s15, v17
	v_fmac_f32_e32 v17, s14, v16
	flat_store_dword v[20:21], v17 offset:192
	flat_load_dword v20, v[22:23]
	v_lshl_add_u64 v[16:17], v[12:13], 0, v[10:11]
	s_waitcnt vmcnt(0) lgkmcnt(0)
	v_mul_f32_e32 v20, s15, v20
	v_fmac_f32_e32 v20, s14, v15
	flat_store_dword v[16:17], v20
	flat_load_dword v15, v[22:23] offset:64
	s_waitcnt vmcnt(0) lgkmcnt(0)
	v_mul_f32_e32 v15, s15, v15
	v_fmac_f32_e32 v15, s14, v14
	flat_store_dword v[16:17], v15 offset:64
	flat_load_dword v14, v[22:23] offset:128
	s_waitcnt vmcnt(0) lgkmcnt(0)
	v_mul_f32_e32 v14, s15, v14
	v_fmac_f32_e32 v14, s14, v9
	flat_store_dword v[16:17], v14 offset:128
	flat_load_dword v9, v[22:23] offset:192
	v_lshl_add_u64 v[14:15], v[18:19], 0, s[0:1]
	v_lshl_add_u64 v[18:19], v[14:15], 0, v[10:11]
	s_waitcnt vmcnt(0) lgkmcnt(0)
	v_mul_f32_e32 v9, s15, v9
	v_fmac_f32_e32 v9, s14, v8
	flat_store_dword v[16:17], v9 offset:192
	flat_load_dword v16, v[18:19]
	v_lshl_add_u64 v[8:9], v[12:13], 0, s[2:3]
	v_lshl_add_u64 v[12:13], v[8:9], 0, v[10:11]
	s_waitcnt vmcnt(0) lgkmcnt(0)
	v_mul_f32_e32 v16, s15, v16
	v_fmac_f32_e32 v16, s14, v7
	flat_store_dword v[12:13], v16
	flat_load_dword v7, v[18:19] offset:64
	s_waitcnt vmcnt(0) lgkmcnt(0)
	v_mul_f32_e32 v7, s15, v7
	v_fmac_f32_e32 v7, s14, v6
	flat_store_dword v[12:13], v7 offset:64
	flat_load_dword v6, v[18:19] offset:128
	s_waitcnt vmcnt(0) lgkmcnt(0)
	v_mul_f32_e32 v6, s15, v6
	v_fmac_f32_e32 v6, s14, v5
	flat_store_dword v[12:13], v6 offset:128
	flat_load_dword v5, v[18:19] offset:192
	v_lshl_add_u64 v[6:7], v[14:15], 0, s[0:1]
	v_lshl_add_u64 v[6:7], v[6:7], 0, v[10:11]
	s_waitcnt vmcnt(0) lgkmcnt(0)
	v_mul_f32_e32 v5, s15, v5
	v_fmac_f32_e32 v5, s14, v4
	flat_store_dword v[12:13], v5 offset:192
	flat_load_dword v12, v[6:7]
	v_lshl_add_u64 v[4:5], v[8:9], 0, s[2:3]
	v_lshl_add_u64 v[4:5], v[4:5], 0, v[10:11]
	s_waitcnt vmcnt(0) lgkmcnt(0)
	v_mul_f32_e32 v8, s15, v12
	v_fmac_f32_e32 v8, s14, v3
	flat_store_dword v[4:5], v8
	flat_load_dword v3, v[6:7] offset:64
	s_waitcnt vmcnt(0) lgkmcnt(0)
	v_mul_f32_e32 v3, s15, v3
	v_fmac_f32_e32 v3, s14, v2
	flat_store_dword v[4:5], v3 offset:64
	flat_load_dword v2, v[6:7] offset:128
	s_waitcnt vmcnt(0) lgkmcnt(0)
	v_mul_f32_e32 v2, s15, v2
	v_fmac_f32_e32 v2, s14, v1
	flat_store_dword v[4:5], v2 offset:128
	;; [unrolled: 5-line block ×3, first 2 shown]
.LBB177_6:
	s_endpgm
.LBB177_7:
	s_branch .LBB177_5
	.section	.rodata,"a",@progbits
	.p2align	6, 0x0
	.amdhsa_kernel _ZN12_GLOBAL__N_127rocblas_gemm_batched_kernelIfLi16ELi16ELi64ELi64ELi4ELi64ELi4ELi4ELi64ELc84ELc78EKPKfS3_KPfEEvlllT_PT11_llS8_llS6_PT12_llPT13_lli
		.amdhsa_group_segment_fixed_size 2048
		.amdhsa_private_segment_fixed_size 0
		.amdhsa_kernarg_size 140
		.amdhsa_user_sgpr_count 2
		.amdhsa_user_sgpr_dispatch_ptr 0
		.amdhsa_user_sgpr_queue_ptr 0
		.amdhsa_user_sgpr_kernarg_segment_ptr 1
		.amdhsa_user_sgpr_dispatch_id 0
		.amdhsa_user_sgpr_kernarg_preload_length 0
		.amdhsa_user_sgpr_kernarg_preload_offset 0
		.amdhsa_user_sgpr_private_segment_size 0
		.amdhsa_uses_dynamic_stack 0
		.amdhsa_enable_private_segment 0
		.amdhsa_system_sgpr_workgroup_id_x 1
		.amdhsa_system_sgpr_workgroup_id_y 1
		.amdhsa_system_sgpr_workgroup_id_z 1
		.amdhsa_system_sgpr_workgroup_info 0
		.amdhsa_system_vgpr_workitem_id 1
		.amdhsa_next_free_vgpr 70
		.amdhsa_next_free_sgpr 40
		.amdhsa_accum_offset 72
		.amdhsa_reserve_vcc 1
		.amdhsa_float_round_mode_32 0
		.amdhsa_float_round_mode_16_64 0
		.amdhsa_float_denorm_mode_32 3
		.amdhsa_float_denorm_mode_16_64 3
		.amdhsa_dx10_clamp 1
		.amdhsa_ieee_mode 1
		.amdhsa_fp16_overflow 0
		.amdhsa_tg_split 0
		.amdhsa_exception_fp_ieee_invalid_op 0
		.amdhsa_exception_fp_denorm_src 0
		.amdhsa_exception_fp_ieee_div_zero 0
		.amdhsa_exception_fp_ieee_overflow 0
		.amdhsa_exception_fp_ieee_underflow 0
		.amdhsa_exception_fp_ieee_inexact 0
		.amdhsa_exception_int_div_zero 0
	.end_amdhsa_kernel
	.section	.text._ZN12_GLOBAL__N_127rocblas_gemm_batched_kernelIfLi16ELi16ELi64ELi64ELi4ELi64ELi4ELi4ELi64ELc84ELc78EKPKfS3_KPfEEvlllT_PT11_llS8_llS6_PT12_llPT13_lli,"axG",@progbits,_ZN12_GLOBAL__N_127rocblas_gemm_batched_kernelIfLi16ELi16ELi64ELi64ELi4ELi64ELi4ELi4ELi64ELc84ELc78EKPKfS3_KPfEEvlllT_PT11_llS8_llS6_PT12_llPT13_lli,comdat
.Lfunc_end177:
	.size	_ZN12_GLOBAL__N_127rocblas_gemm_batched_kernelIfLi16ELi16ELi64ELi64ELi4ELi64ELi4ELi4ELi64ELc84ELc78EKPKfS3_KPfEEvlllT_PT11_llS8_llS6_PT12_llPT13_lli, .Lfunc_end177-_ZN12_GLOBAL__N_127rocblas_gemm_batched_kernelIfLi16ELi16ELi64ELi64ELi4ELi64ELi4ELi4ELi64ELc84ELc78EKPKfS3_KPfEEvlllT_PT11_llS8_llS6_PT12_llPT13_lli
                                        ; -- End function
	.set _ZN12_GLOBAL__N_127rocblas_gemm_batched_kernelIfLi16ELi16ELi64ELi64ELi4ELi64ELi4ELi4ELi64ELc84ELc78EKPKfS3_KPfEEvlllT_PT11_llS8_llS6_PT12_llPT13_lli.num_vgpr, 70
	.set _ZN12_GLOBAL__N_127rocblas_gemm_batched_kernelIfLi16ELi16ELi64ELi64ELi4ELi64ELi4ELi4ELi64ELc84ELc78EKPKfS3_KPfEEvlllT_PT11_llS8_llS6_PT12_llPT13_lli.num_agpr, 0
	.set _ZN12_GLOBAL__N_127rocblas_gemm_batched_kernelIfLi16ELi16ELi64ELi64ELi4ELi64ELi4ELi4ELi64ELc84ELc78EKPKfS3_KPfEEvlllT_PT11_llS8_llS6_PT12_llPT13_lli.numbered_sgpr, 40
	.set _ZN12_GLOBAL__N_127rocblas_gemm_batched_kernelIfLi16ELi16ELi64ELi64ELi4ELi64ELi4ELi4ELi64ELc84ELc78EKPKfS3_KPfEEvlllT_PT11_llS8_llS6_PT12_llPT13_lli.num_named_barrier, 0
	.set _ZN12_GLOBAL__N_127rocblas_gemm_batched_kernelIfLi16ELi16ELi64ELi64ELi4ELi64ELi4ELi4ELi64ELc84ELc78EKPKfS3_KPfEEvlllT_PT11_llS8_llS6_PT12_llPT13_lli.private_seg_size, 0
	.set _ZN12_GLOBAL__N_127rocblas_gemm_batched_kernelIfLi16ELi16ELi64ELi64ELi4ELi64ELi4ELi4ELi64ELc84ELc78EKPKfS3_KPfEEvlllT_PT11_llS8_llS6_PT12_llPT13_lli.uses_vcc, 1
	.set _ZN12_GLOBAL__N_127rocblas_gemm_batched_kernelIfLi16ELi16ELi64ELi64ELi4ELi64ELi4ELi4ELi64ELc84ELc78EKPKfS3_KPfEEvlllT_PT11_llS8_llS6_PT12_llPT13_lli.uses_flat_scratch, 0
	.set _ZN12_GLOBAL__N_127rocblas_gemm_batched_kernelIfLi16ELi16ELi64ELi64ELi4ELi64ELi4ELi4ELi64ELc84ELc78EKPKfS3_KPfEEvlllT_PT11_llS8_llS6_PT12_llPT13_lli.has_dyn_sized_stack, 0
	.set _ZN12_GLOBAL__N_127rocblas_gemm_batched_kernelIfLi16ELi16ELi64ELi64ELi4ELi64ELi4ELi4ELi64ELc84ELc78EKPKfS3_KPfEEvlllT_PT11_llS8_llS6_PT12_llPT13_lli.has_recursion, 0
	.set _ZN12_GLOBAL__N_127rocblas_gemm_batched_kernelIfLi16ELi16ELi64ELi64ELi4ELi64ELi4ELi4ELi64ELc84ELc78EKPKfS3_KPfEEvlllT_PT11_llS8_llS6_PT12_llPT13_lli.has_indirect_call, 0
	.section	.AMDGPU.csdata,"",@progbits
; Kernel info:
; codeLenInByte = 2100
; TotalNumSgprs: 46
; NumVgprs: 70
; NumAgprs: 0
; TotalNumVgprs: 70
; ScratchSize: 0
; MemoryBound: 0
; FloatMode: 240
; IeeeMode: 1
; LDSByteSize: 2048 bytes/workgroup (compile time only)
; SGPRBlocks: 5
; VGPRBlocks: 8
; NumSGPRsForWavesPerEU: 46
; NumVGPRsForWavesPerEU: 70
; AccumOffset: 72
; Occupancy: 7
; WaveLimiterHint : 1
; COMPUTE_PGM_RSRC2:SCRATCH_EN: 0
; COMPUTE_PGM_RSRC2:USER_SGPR: 2
; COMPUTE_PGM_RSRC2:TRAP_HANDLER: 0
; COMPUTE_PGM_RSRC2:TGID_X_EN: 1
; COMPUTE_PGM_RSRC2:TGID_Y_EN: 1
; COMPUTE_PGM_RSRC2:TGID_Z_EN: 1
; COMPUTE_PGM_RSRC2:TIDIG_COMP_CNT: 1
; COMPUTE_PGM_RSRC3_GFX90A:ACCUM_OFFSET: 17
; COMPUTE_PGM_RSRC3_GFX90A:TG_SPLIT: 0
	.section	.text._ZN12_GLOBAL__N_127rocblas_gemm_batched_kernelIfLi16ELi16ELi64ELi64ELi4ELi64ELi4ELi4ELi64ELc78ELc84EKPKfS3_KPfEEvlllT_PT11_llS8_llS6_PT12_llPT13_lli,"axG",@progbits,_ZN12_GLOBAL__N_127rocblas_gemm_batched_kernelIfLi16ELi16ELi64ELi64ELi4ELi64ELi4ELi4ELi64ELc78ELc84EKPKfS3_KPfEEvlllT_PT11_llS8_llS6_PT12_llPT13_lli,comdat
	.globl	_ZN12_GLOBAL__N_127rocblas_gemm_batched_kernelIfLi16ELi16ELi64ELi64ELi4ELi64ELi4ELi4ELi64ELc78ELc84EKPKfS3_KPfEEvlllT_PT11_llS8_llS6_PT12_llPT13_lli ; -- Begin function _ZN12_GLOBAL__N_127rocblas_gemm_batched_kernelIfLi16ELi16ELi64ELi64ELi4ELi64ELi4ELi4ELi64ELc78ELc84EKPKfS3_KPfEEvlllT_PT11_llS8_llS6_PT12_llPT13_lli
	.p2align	8
	.type	_ZN12_GLOBAL__N_127rocblas_gemm_batched_kernelIfLi16ELi16ELi64ELi64ELi4ELi64ELi4ELi4ELi64ELc78ELc84EKPKfS3_KPfEEvlllT_PT11_llS8_llS6_PT12_llPT13_lli,@function
_ZN12_GLOBAL__N_127rocblas_gemm_batched_kernelIfLi16ELi16ELi64ELi64ELi4ELi64ELi4ELi4ELi64ELc78ELc84EKPKfS3_KPfEEvlllT_PT11_llS8_llS6_PT12_llPT13_lli: ; @_ZN12_GLOBAL__N_127rocblas_gemm_batched_kernelIfLi16ELi16ELi64ELi64ELi4ELi64ELi4ELi4ELi64ELc78ELc84EKPKfS3_KPfEEvlllT_PT11_llS8_llS6_PT12_llPT13_lli
; %bb.0:
	s_load_dwordx2 s[30:31], s[0:1], 0x10
	s_load_dwordx4 s[24:27], s[0:1], 0x78
	s_load_dwordx8 s[8:15], s[0:1], 0x58
	s_mov_b32 s5, 0
	s_lshl_b64 s[34:35], s[4:5], 3
	s_mov_b32 s6, s3
	v_mov_b32_e32 v11, 0
	s_waitcnt lgkmcnt(0)
	s_add_u32 s4, s8, s34
	s_addc_u32 s5, s9, s35
	s_load_dwordx2 s[8:9], s[4:5], 0x0
	s_add_u32 s4, s14, s34
	s_addc_u32 s5, s15, s35
	s_load_dwordx2 s[14:15], s[4:5], 0x0
	s_ashr_i32 s3, s2, 31
	s_ashr_i32 s7, s6, 31
	v_cmp_lt_i64_e64 s[4:5], s[30:31], 1
	v_bfe_u32 v10, v0, 10, 10
	v_and_b32_e32 v12, 0x3ff, v0
	v_mov_b32_e32 v13, v11
	s_lshl_b64 s[2:3], s[2:3], 6
	s_lshl_b64 s[28:29], s[6:7], 6
	s_and_b64 vcc, exec, s[4:5]
	v_mov_b32_e32 v19, v11
	v_mov_b32_e32 v18, v11
	;; [unrolled: 1-line block ×16, first 2 shown]
	s_cbranch_vccnz .LBB178_3
; %bb.1:
	s_load_dwordx8 s[16:23], s[0:1], 0x20
	s_load_dwordx4 s[4:7], s[0:1], 0x40
	v_lshlrev_b32_e32 v4, 4, v10
	v_add_u32_e32 v5, v4, v12
	v_and_b32_e32 v2, 63, v5
	s_waitcnt lgkmcnt(0)
	s_add_u32 s16, s16, s34
	s_addc_u32 s17, s17, s35
	s_add_u32 s22, s22, s34
	s_addc_u32 s23, s23, s35
	v_lshrrev_b32_e32 v0, 2, v5
	v_and_b32_e32 v6, 3, v12
	v_lshrrev_b32_e32 v8, 6, v5
	v_lshlrev_b32_e32 v5, 2, v2
	s_load_dwordx2 s[22:23], s[22:23], 0x0
	v_lshl_or_b32 v26, v8, 8, v5
	v_lshlrev_b32_e32 v5, 2, v6
	v_mov_b32_e32 v1, 0
	v_lshl_or_b32 v5, v0, 4, v5
	v_add_u32_e32 v27, 0x400, v5
	v_add_u32_e32 v29, 0x400, v4
	v_mad_u64_u32 v[4:5], s[34:35], s4, v6, v[0:1]
	v_mov_b32_e32 v0, v5
	s_lshl_b64 s[6:7], s[6:7], 2
	v_mad_u64_u32 v[6:7], s[34:35], s5, v6, v[0:1]
	v_mov_b32_e32 v5, v6
	s_waitcnt lgkmcnt(0)
	s_add_u32 s6, s22, s6
	s_load_dwordx2 s[16:17], s[16:17], 0x0
	v_lshl_add_u64 v[4:5], v[4:5], 0, s[28:29]
	s_addc_u32 s7, s23, s7
	v_lshl_add_u64 v[20:21], v[4:5], 2, s[6:7]
	v_mov_b64_e32 v[4:5], s[2:3]
	s_lshl_b64 s[6:7], s[20:21], 2
	v_mad_u64_u32 v[4:5], s[20:21], s18, v8, v[4:5]
	v_mov_b32_e32 v0, v5
	s_lshl_b64 s[4:5], s[4:5], 4
	v_mad_u64_u32 v[6:7], s[20:21], s19, v8, v[0:1]
	v_mov_b32_e32 v3, v1
	v_mov_b32_e32 v5, v6
	s_waitcnt lgkmcnt(0)
	s_add_u32 s6, s16, s6
	v_lshl_add_u64 v[2:3], v[4:5], 0, v[2:3]
	s_addc_u32 s7, s17, s7
	v_lshlrev_b32_e32 v28, 2, v12
	v_lshl_add_u64 v[22:23], v[2:3], 2, s[6:7]
	s_lshl_b64 s[6:7], s[18:19], 4
	s_mov_b64 s[16:17], 0
	v_mov_b64_e32 v[24:25], s[30:31]
	v_mov_b32_e32 v0, v1
	v_mov_b32_e32 v2, v1
	;; [unrolled: 1-line block ×15, first 2 shown]
.LBB178_2:                              ; =>This Inner Loop Header: Depth=1
	flat_load_dword v30, v[22:23]
	s_add_u32 s16, s16, 4
	s_addc_u32 s17, s17, 0
	v_cmp_lt_i64_e32 vcc, s[16:17], v[24:25]
	v_lshl_add_u64 v[22:23], v[22:23], 0, s[6:7]
	s_and_b64 vcc, exec, vcc
	s_waitcnt vmcnt(0) lgkmcnt(0)
	ds_write_b32 v26, v30
	flat_load_dword v30, v[20:21]
	v_lshl_add_u64 v[20:21], v[20:21], 0, s[4:5]
	s_waitcnt vmcnt(0) lgkmcnt(0)
	ds_write_b32 v27, v30
	s_waitcnt lgkmcnt(0)
	s_barrier
	ds_read2_b32 v[48:49], v28 offset1:16
	ds_read2_b32 v[58:59], v28 offset0:32 offset1:48
	ds_read_b128 v[30:33], v29
	ds_read_b128 v[34:37], v29 offset:256
	ds_read_b128 v[38:41], v29 offset:512
	;; [unrolled: 1-line block ×3, first 2 shown]
	ds_read2_b32 v[50:51], v28 offset0:64 offset1:80
	ds_read2_b32 v[60:61], v28 offset0:96 offset1:112
	;; [unrolled: 1-line block ×6, first 2 shown]
	s_waitcnt lgkmcnt(11)
	v_mov_b32_e32 v46, v49
	v_mov_b32_e32 v47, v48
	s_waitcnt lgkmcnt(10)
	v_mov_b32_e32 v56, v59
	v_mov_b32_e32 v57, v58
	;; [unrolled: 3-line block ×4, first 2 shown]
	v_pk_fma_f32 v[18:19], v[46:47], v[30:31], v[18:19] op_sel_hi:[1,0,1]
	v_pk_fma_f32 v[14:15], v[46:47], v[34:35], v[14:15] op_sel_hi:[1,0,1]
	v_pk_fma_f32 v[6:7], v[46:47], v[38:39], v[6:7] op_sel_hi:[1,0,1]
	v_pk_fma_f32 v[2:3], v[46:47], v[42:43], v[2:3] op_sel_hi:[1,0,1]
	v_pk_fma_f32 v[16:17], v[56:57], v[30:31], v[16:17] op_sel_hi:[1,0,1]
	v_pk_fma_f32 v[8:9], v[56:57], v[34:35], v[8:9] op_sel_hi:[1,0,1]
	v_pk_fma_f32 v[4:5], v[56:57], v[38:39], v[4:5] op_sel_hi:[1,0,1]
	v_pk_fma_f32 v[0:1], v[56:57], v[42:43], v[0:1] op_sel_hi:[1,0,1]
	s_waitcnt lgkmcnt(3)
	v_mov_b32_e32 v50, v53
	v_mov_b32_e32 v51, v52
	s_waitcnt lgkmcnt(2)
	v_mov_b32_e32 v60, v63
	v_mov_b32_e32 v61, v62
	v_pk_fma_f32 v[18:19], v[48:49], v[30:31], v[18:19] op_sel:[0,1,0]
	v_pk_fma_f32 v[14:15], v[48:49], v[34:35], v[14:15] op_sel:[0,1,0]
	;; [unrolled: 1-line block ×8, first 2 shown]
	s_waitcnt lgkmcnt(1)
	v_mov_b32_e32 v52, v55
	v_mov_b32_e32 v53, v54
	;; [unrolled: 1-line block ×3, first 2 shown]
	s_waitcnt lgkmcnt(0)
	v_mov_b32_e32 v62, v65
	v_mov_b32_e32 v63, v64
	;; [unrolled: 1-line block ×5, first 2 shown]
	v_pk_fma_f32 v[18:19], v[50:51], v[32:33], v[18:19] op_sel_hi:[1,0,1]
	v_pk_fma_f32 v[16:17], v[60:61], v[32:33], v[16:17] op_sel_hi:[1,0,1]
	;; [unrolled: 1-line block ×16, first 2 shown]
	s_barrier
	s_cbranch_vccnz .LBB178_2
.LBB178_3:
	s_load_dword s4, s[0:1], 0x18
	s_load_dword s5, s[0:1], 0x50
	s_lshl_b64 s[0:1], s[26:27], 2
	s_waitcnt lgkmcnt(0)
	s_add_u32 s0, s14, s0
	v_lshl_add_u64 v[20:21], s[28:29], 0, v[10:11]
	v_lshl_add_u64 v[10:11], s[2:3], 0, v[12:13]
	v_cmp_neq_f32_e64 s[6:7], s5, 0
	s_addc_u32 s1, s15, s1
	s_and_b64 vcc, exec, s[6:7]
	v_mul_lo_u32 v12, v21, s24
	v_mul_lo_u32 v13, v20, s25
	v_lshlrev_b64 v[10:11], 2, v[10:11]
	s_cbranch_vccnz .LBB178_7
; %bb.4:
	v_mad_u64_u32 v[22:23], s[2:3], v20, s24, 0
	v_add3_u32 v23, v23, v13, v12
	v_lshl_add_u64 v[22:23], v[22:23], 2, s[0:1]
	v_mul_f32_e32 v26, s4, v19
	v_lshl_add_u64 v[24:25], v[22:23], 0, v[10:11]
	flat_store_dword v[24:25], v26
	v_mul_f32_e32 v26, s4, v18
	flat_store_dword v[24:25], v26 offset:64
	v_mul_f32_e32 v26, s4, v17
	s_lshl_b64 s[2:3], s[24:25], 6
	flat_store_dword v[24:25], v26 offset:128
	v_mul_f32_e32 v26, s4, v16
	v_lshl_add_u64 v[22:23], v[22:23], 0, s[2:3]
	flat_store_dword v[24:25], v26 offset:192
	v_mul_f32_e32 v26, s4, v15
	v_lshl_add_u64 v[24:25], v[22:23], 0, v[10:11]
	flat_store_dword v[24:25], v26
	v_mul_f32_e32 v26, s4, v14
	flat_store_dword v[24:25], v26 offset:64
	v_mul_f32_e32 v26, s4, v9
	flat_store_dword v[24:25], v26 offset:128
	v_mul_f32_e32 v26, s4, v8
	v_lshl_add_u64 v[22:23], v[22:23], 0, s[2:3]
	flat_store_dword v[24:25], v26 offset:192
	v_mul_f32_e32 v26, s4, v7
	v_lshl_add_u64 v[24:25], v[22:23], 0, v[10:11]
	flat_store_dword v[24:25], v26
	v_mul_f32_e32 v26, s4, v6
	flat_store_dword v[24:25], v26 offset:64
	v_mul_f32_e32 v26, s4, v5
	flat_store_dword v[24:25], v26 offset:128
	v_mul_f32_e32 v26, s4, v4
	v_lshl_add_u64 v[22:23], v[22:23], 0, s[2:3]
	flat_store_dword v[24:25], v26 offset:192
	v_mul_f32_e32 v24, s4, v3
	v_lshl_add_u64 v[22:23], v[22:23], 0, v[10:11]
	flat_store_dword v[22:23], v24
	v_mul_f32_e32 v24, s4, v2
	flat_store_dword v[22:23], v24 offset:64
	v_mul_f32_e32 v24, s4, v1
	flat_store_dword v[22:23], v24 offset:128
	v_mul_f32_e32 v24, s4, v0
	flat_store_dword v[22:23], v24 offset:192
	s_cbranch_execnz .LBB178_6
.LBB178_5:
	s_lshl_b64 s[2:3], s[12:13], 2
	s_add_u32 s2, s8, s2
	v_mul_lo_u32 v21, v21, s10
	v_mul_lo_u32 v24, v20, s11
	v_mad_u64_u32 v[22:23], s[6:7], v20, s10, 0
	s_addc_u32 s3, s9, s3
	v_add3_u32 v23, v23, v24, v21
	v_lshl_add_u64 v[22:23], v[22:23], 2, s[2:3]
	v_lshl_add_u64 v[24:25], v[22:23], 0, v[10:11]
	flat_load_dword v26, v[24:25]
	v_mad_u64_u32 v[20:21], s[2:3], v20, s24, 0
	v_add3_u32 v21, v21, v13, v12
	v_lshl_add_u64 v[12:13], v[20:21], 2, s[0:1]
	v_lshl_add_u64 v[20:21], v[12:13], 0, v[10:11]
	s_lshl_b64 s[0:1], s[10:11], 6
	s_lshl_b64 s[2:3], s[24:25], 6
	v_lshl_add_u64 v[12:13], v[12:13], 0, s[2:3]
	s_waitcnt vmcnt(0) lgkmcnt(0)
	v_mul_f32_e32 v26, s5, v26
	v_fmac_f32_e32 v26, s4, v19
	flat_store_dword v[20:21], v26
	flat_load_dword v19, v[24:25] offset:64
	s_waitcnt vmcnt(0) lgkmcnt(0)
	v_mul_f32_e32 v19, s5, v19
	v_fmac_f32_e32 v19, s4, v18
	flat_store_dword v[20:21], v19 offset:64
	flat_load_dword v18, v[24:25] offset:128
	s_waitcnt vmcnt(0) lgkmcnt(0)
	v_mul_f32_e32 v18, s5, v18
	v_fmac_f32_e32 v18, s4, v17
	flat_store_dword v[20:21], v18 offset:128
	flat_load_dword v17, v[24:25] offset:192
	v_lshl_add_u64 v[18:19], v[22:23], 0, s[0:1]
	v_lshl_add_u64 v[22:23], v[18:19], 0, v[10:11]
	s_waitcnt vmcnt(0) lgkmcnt(0)
	v_mul_f32_e32 v17, s5, v17
	v_fmac_f32_e32 v17, s4, v16
	flat_store_dword v[20:21], v17 offset:192
	flat_load_dword v20, v[22:23]
	v_lshl_add_u64 v[16:17], v[12:13], 0, v[10:11]
	s_waitcnt vmcnt(0) lgkmcnt(0)
	v_mul_f32_e32 v20, s5, v20
	v_fmac_f32_e32 v20, s4, v15
	flat_store_dword v[16:17], v20
	flat_load_dword v15, v[22:23] offset:64
	s_waitcnt vmcnt(0) lgkmcnt(0)
	v_mul_f32_e32 v15, s5, v15
	v_fmac_f32_e32 v15, s4, v14
	flat_store_dword v[16:17], v15 offset:64
	flat_load_dword v14, v[22:23] offset:128
	s_waitcnt vmcnt(0) lgkmcnt(0)
	v_mul_f32_e32 v14, s5, v14
	v_fmac_f32_e32 v14, s4, v9
	flat_store_dword v[16:17], v14 offset:128
	flat_load_dword v9, v[22:23] offset:192
	v_lshl_add_u64 v[14:15], v[18:19], 0, s[0:1]
	v_lshl_add_u64 v[18:19], v[14:15], 0, v[10:11]
	s_waitcnt vmcnt(0) lgkmcnt(0)
	v_mul_f32_e32 v9, s5, v9
	v_fmac_f32_e32 v9, s4, v8
	flat_store_dword v[16:17], v9 offset:192
	flat_load_dword v16, v[18:19]
	v_lshl_add_u64 v[8:9], v[12:13], 0, s[2:3]
	v_lshl_add_u64 v[12:13], v[8:9], 0, v[10:11]
	s_waitcnt vmcnt(0) lgkmcnt(0)
	v_mul_f32_e32 v16, s5, v16
	v_fmac_f32_e32 v16, s4, v7
	flat_store_dword v[12:13], v16
	flat_load_dword v7, v[18:19] offset:64
	s_waitcnt vmcnt(0) lgkmcnt(0)
	v_mul_f32_e32 v7, s5, v7
	v_fmac_f32_e32 v7, s4, v6
	flat_store_dword v[12:13], v7 offset:64
	flat_load_dword v6, v[18:19] offset:128
	s_waitcnt vmcnt(0) lgkmcnt(0)
	v_mul_f32_e32 v6, s5, v6
	v_fmac_f32_e32 v6, s4, v5
	flat_store_dword v[12:13], v6 offset:128
	flat_load_dword v5, v[18:19] offset:192
	v_lshl_add_u64 v[6:7], v[14:15], 0, s[0:1]
	v_lshl_add_u64 v[6:7], v[6:7], 0, v[10:11]
	s_waitcnt vmcnt(0) lgkmcnt(0)
	v_mul_f32_e32 v5, s5, v5
	v_fmac_f32_e32 v5, s4, v4
	flat_store_dword v[12:13], v5 offset:192
	flat_load_dword v12, v[6:7]
	v_lshl_add_u64 v[4:5], v[8:9], 0, s[2:3]
	v_lshl_add_u64 v[4:5], v[4:5], 0, v[10:11]
	s_waitcnt vmcnt(0) lgkmcnt(0)
	v_mul_f32_e32 v8, s5, v12
	v_fmac_f32_e32 v8, s4, v3
	flat_store_dword v[4:5], v8
	flat_load_dword v3, v[6:7] offset:64
	s_waitcnt vmcnt(0) lgkmcnt(0)
	v_mul_f32_e32 v3, s5, v3
	v_fmac_f32_e32 v3, s4, v2
	flat_store_dword v[4:5], v3 offset:64
	flat_load_dword v2, v[6:7] offset:128
	s_waitcnt vmcnt(0) lgkmcnt(0)
	v_mul_f32_e32 v2, s5, v2
	v_fmac_f32_e32 v2, s4, v1
	flat_store_dword v[4:5], v2 offset:128
	;; [unrolled: 5-line block ×3, first 2 shown]
.LBB178_6:
	s_endpgm
.LBB178_7:
	s_branch .LBB178_5
	.section	.rodata,"a",@progbits
	.p2align	6, 0x0
	.amdhsa_kernel _ZN12_GLOBAL__N_127rocblas_gemm_batched_kernelIfLi16ELi16ELi64ELi64ELi4ELi64ELi4ELi4ELi64ELc78ELc84EKPKfS3_KPfEEvlllT_PT11_llS8_llS6_PT12_llPT13_lli
		.amdhsa_group_segment_fixed_size 2048
		.amdhsa_private_segment_fixed_size 0
		.amdhsa_kernarg_size 140
		.amdhsa_user_sgpr_count 2
		.amdhsa_user_sgpr_dispatch_ptr 0
		.amdhsa_user_sgpr_queue_ptr 0
		.amdhsa_user_sgpr_kernarg_segment_ptr 1
		.amdhsa_user_sgpr_dispatch_id 0
		.amdhsa_user_sgpr_kernarg_preload_length 0
		.amdhsa_user_sgpr_kernarg_preload_offset 0
		.amdhsa_user_sgpr_private_segment_size 0
		.amdhsa_uses_dynamic_stack 0
		.amdhsa_enable_private_segment 0
		.amdhsa_system_sgpr_workgroup_id_x 1
		.amdhsa_system_sgpr_workgroup_id_y 1
		.amdhsa_system_sgpr_workgroup_id_z 1
		.amdhsa_system_sgpr_workgroup_info 0
		.amdhsa_system_vgpr_workitem_id 1
		.amdhsa_next_free_vgpr 70
		.amdhsa_next_free_sgpr 36
		.amdhsa_accum_offset 72
		.amdhsa_reserve_vcc 1
		.amdhsa_float_round_mode_32 0
		.amdhsa_float_round_mode_16_64 0
		.amdhsa_float_denorm_mode_32 3
		.amdhsa_float_denorm_mode_16_64 3
		.amdhsa_dx10_clamp 1
		.amdhsa_ieee_mode 1
		.amdhsa_fp16_overflow 0
		.amdhsa_tg_split 0
		.amdhsa_exception_fp_ieee_invalid_op 0
		.amdhsa_exception_fp_denorm_src 0
		.amdhsa_exception_fp_ieee_div_zero 0
		.amdhsa_exception_fp_ieee_overflow 0
		.amdhsa_exception_fp_ieee_underflow 0
		.amdhsa_exception_fp_ieee_inexact 0
		.amdhsa_exception_int_div_zero 0
	.end_amdhsa_kernel
	.section	.text._ZN12_GLOBAL__N_127rocblas_gemm_batched_kernelIfLi16ELi16ELi64ELi64ELi4ELi64ELi4ELi4ELi64ELc78ELc84EKPKfS3_KPfEEvlllT_PT11_llS8_llS6_PT12_llPT13_lli,"axG",@progbits,_ZN12_GLOBAL__N_127rocblas_gemm_batched_kernelIfLi16ELi16ELi64ELi64ELi4ELi64ELi4ELi4ELi64ELc78ELc84EKPKfS3_KPfEEvlllT_PT11_llS8_llS6_PT12_llPT13_lli,comdat
.Lfunc_end178:
	.size	_ZN12_GLOBAL__N_127rocblas_gemm_batched_kernelIfLi16ELi16ELi64ELi64ELi4ELi64ELi4ELi4ELi64ELc78ELc84EKPKfS3_KPfEEvlllT_PT11_llS8_llS6_PT12_llPT13_lli, .Lfunc_end178-_ZN12_GLOBAL__N_127rocblas_gemm_batched_kernelIfLi16ELi16ELi64ELi64ELi4ELi64ELi4ELi4ELi64ELc78ELc84EKPKfS3_KPfEEvlllT_PT11_llS8_llS6_PT12_llPT13_lli
                                        ; -- End function
	.set _ZN12_GLOBAL__N_127rocblas_gemm_batched_kernelIfLi16ELi16ELi64ELi64ELi4ELi64ELi4ELi4ELi64ELc78ELc84EKPKfS3_KPfEEvlllT_PT11_llS8_llS6_PT12_llPT13_lli.num_vgpr, 70
	.set _ZN12_GLOBAL__N_127rocblas_gemm_batched_kernelIfLi16ELi16ELi64ELi64ELi4ELi64ELi4ELi4ELi64ELc78ELc84EKPKfS3_KPfEEvlllT_PT11_llS8_llS6_PT12_llPT13_lli.num_agpr, 0
	.set _ZN12_GLOBAL__N_127rocblas_gemm_batched_kernelIfLi16ELi16ELi64ELi64ELi4ELi64ELi4ELi4ELi64ELc78ELc84EKPKfS3_KPfEEvlllT_PT11_llS8_llS6_PT12_llPT13_lli.numbered_sgpr, 36
	.set _ZN12_GLOBAL__N_127rocblas_gemm_batched_kernelIfLi16ELi16ELi64ELi64ELi4ELi64ELi4ELi4ELi64ELc78ELc84EKPKfS3_KPfEEvlllT_PT11_llS8_llS6_PT12_llPT13_lli.num_named_barrier, 0
	.set _ZN12_GLOBAL__N_127rocblas_gemm_batched_kernelIfLi16ELi16ELi64ELi64ELi4ELi64ELi4ELi4ELi64ELc78ELc84EKPKfS3_KPfEEvlllT_PT11_llS8_llS6_PT12_llPT13_lli.private_seg_size, 0
	.set _ZN12_GLOBAL__N_127rocblas_gemm_batched_kernelIfLi16ELi16ELi64ELi64ELi4ELi64ELi4ELi4ELi64ELc78ELc84EKPKfS3_KPfEEvlllT_PT11_llS8_llS6_PT12_llPT13_lli.uses_vcc, 1
	.set _ZN12_GLOBAL__N_127rocblas_gemm_batched_kernelIfLi16ELi16ELi64ELi64ELi4ELi64ELi4ELi4ELi64ELc78ELc84EKPKfS3_KPfEEvlllT_PT11_llS8_llS6_PT12_llPT13_lli.uses_flat_scratch, 0
	.set _ZN12_GLOBAL__N_127rocblas_gemm_batched_kernelIfLi16ELi16ELi64ELi64ELi4ELi64ELi4ELi4ELi64ELc78ELc84EKPKfS3_KPfEEvlllT_PT11_llS8_llS6_PT12_llPT13_lli.has_dyn_sized_stack, 0
	.set _ZN12_GLOBAL__N_127rocblas_gemm_batched_kernelIfLi16ELi16ELi64ELi64ELi4ELi64ELi4ELi4ELi64ELc78ELc84EKPKfS3_KPfEEvlllT_PT11_llS8_llS6_PT12_llPT13_lli.has_recursion, 0
	.set _ZN12_GLOBAL__N_127rocblas_gemm_batched_kernelIfLi16ELi16ELi64ELi64ELi4ELi64ELi4ELi4ELi64ELc78ELc84EKPKfS3_KPfEEvlllT_PT11_llS8_llS6_PT12_llPT13_lli.has_indirect_call, 0
	.section	.AMDGPU.csdata,"",@progbits
; Kernel info:
; codeLenInByte = 2084
; TotalNumSgprs: 42
; NumVgprs: 70
; NumAgprs: 0
; TotalNumVgprs: 70
; ScratchSize: 0
; MemoryBound: 0
; FloatMode: 240
; IeeeMode: 1
; LDSByteSize: 2048 bytes/workgroup (compile time only)
; SGPRBlocks: 5
; VGPRBlocks: 8
; NumSGPRsForWavesPerEU: 42
; NumVGPRsForWavesPerEU: 70
; AccumOffset: 72
; Occupancy: 7
; WaveLimiterHint : 1
; COMPUTE_PGM_RSRC2:SCRATCH_EN: 0
; COMPUTE_PGM_RSRC2:USER_SGPR: 2
; COMPUTE_PGM_RSRC2:TRAP_HANDLER: 0
; COMPUTE_PGM_RSRC2:TGID_X_EN: 1
; COMPUTE_PGM_RSRC2:TGID_Y_EN: 1
; COMPUTE_PGM_RSRC2:TGID_Z_EN: 1
; COMPUTE_PGM_RSRC2:TIDIG_COMP_CNT: 1
; COMPUTE_PGM_RSRC3_GFX90A:ACCUM_OFFSET: 17
; COMPUTE_PGM_RSRC3_GFX90A:TG_SPLIT: 0
	.section	.text._ZN12_GLOBAL__N_127rocblas_gemm_batched_kernelIfLi16ELi16ELi64ELi64ELi4ELi64ELi4ELi4ELi64ELc84ELc84EKPKfS3_KPfEEvlllT_PT11_llS8_llS6_PT12_llPT13_lli,"axG",@progbits,_ZN12_GLOBAL__N_127rocblas_gemm_batched_kernelIfLi16ELi16ELi64ELi64ELi4ELi64ELi4ELi4ELi64ELc84ELc84EKPKfS3_KPfEEvlllT_PT11_llS8_llS6_PT12_llPT13_lli,comdat
	.globl	_ZN12_GLOBAL__N_127rocblas_gemm_batched_kernelIfLi16ELi16ELi64ELi64ELi4ELi64ELi4ELi4ELi64ELc84ELc84EKPKfS3_KPfEEvlllT_PT11_llS8_llS6_PT12_llPT13_lli ; -- Begin function _ZN12_GLOBAL__N_127rocblas_gemm_batched_kernelIfLi16ELi16ELi64ELi64ELi4ELi64ELi4ELi4ELi64ELc84ELc84EKPKfS3_KPfEEvlllT_PT11_llS8_llS6_PT12_llPT13_lli
	.p2align	8
	.type	_ZN12_GLOBAL__N_127rocblas_gemm_batched_kernelIfLi16ELi16ELi64ELi64ELi4ELi64ELi4ELi4ELi64ELc84ELc84EKPKfS3_KPfEEvlllT_PT11_llS8_llS6_PT12_llPT13_lli,@function
_ZN12_GLOBAL__N_127rocblas_gemm_batched_kernelIfLi16ELi16ELi64ELi64ELi4ELi64ELi4ELi4ELi64ELc84ELc84EKPKfS3_KPfEEvlllT_PT11_llS8_llS6_PT12_llPT13_lli: ; @_ZN12_GLOBAL__N_127rocblas_gemm_batched_kernelIfLi16ELi16ELi64ELi64ELi4ELi64ELi4ELi4ELi64ELc84ELc84EKPKfS3_KPfEEvlllT_PT11_llS8_llS6_PT12_llPT13_lli
; %bb.0:
	s_load_dwordx2 s[30:31], s[0:1], 0x10
	s_load_dwordx4 s[24:27], s[0:1], 0x78
	s_load_dwordx8 s[8:15], s[0:1], 0x58
	s_mov_b32 s5, 0
	s_lshl_b64 s[34:35], s[4:5], 3
	s_mov_b32 s6, s3
	v_mov_b32_e32 v11, 0
	s_waitcnt lgkmcnt(0)
	s_add_u32 s4, s8, s34
	s_addc_u32 s5, s9, s35
	s_load_dwordx2 s[8:9], s[4:5], 0x0
	s_add_u32 s4, s14, s34
	s_addc_u32 s5, s15, s35
	s_load_dwordx2 s[14:15], s[4:5], 0x0
	s_ashr_i32 s3, s2, 31
	s_ashr_i32 s7, s6, 31
	v_cmp_lt_i64_e64 s[4:5], s[30:31], 1
	v_bfe_u32 v10, v0, 10, 10
	v_and_b32_e32 v12, 0x3ff, v0
	v_mov_b32_e32 v13, v11
	s_lshl_b64 s[2:3], s[2:3], 6
	s_lshl_b64 s[28:29], s[6:7], 6
	s_and_b64 vcc, exec, s[4:5]
	v_mov_b32_e32 v19, v11
	v_mov_b32_e32 v18, v11
	;; [unrolled: 1-line block ×16, first 2 shown]
	s_cbranch_vccnz .LBB179_3
; %bb.1:
	s_load_dwordx8 s[16:23], s[0:1], 0x20
	s_load_dwordx4 s[4:7], s[0:1], 0x40
	v_lshlrev_b32_e32 v4, 4, v10
	v_add_u32_e32 v5, v4, v12
	v_and_b32_e32 v2, 63, v5
	s_waitcnt lgkmcnt(0)
	s_add_u32 s16, s16, s34
	s_addc_u32 s17, s17, s35
	s_add_u32 s22, s22, s34
	s_addc_u32 s23, s23, s35
	v_lshrrev_b32_e32 v0, 2, v5
	v_and_b32_e32 v6, 3, v12
	v_lshrrev_b32_e32 v8, 6, v5
	v_lshlrev_b32_e32 v5, 2, v2
	s_load_dwordx2 s[22:23], s[22:23], 0x0
	v_lshl_or_b32 v26, v8, 8, v5
	v_lshlrev_b32_e32 v5, 2, v6
	v_mov_b32_e32 v1, 0
	v_lshl_or_b32 v5, v0, 4, v5
	v_add_u32_e32 v27, 0x400, v5
	v_add_u32_e32 v29, 0x400, v4
	v_mad_u64_u32 v[4:5], s[34:35], s4, v6, v[0:1]
	v_mov_b32_e32 v0, v5
	s_lshl_b64 s[6:7], s[6:7], 2
	v_mad_u64_u32 v[6:7], s[34:35], s5, v6, v[0:1]
	v_mov_b32_e32 v3, v1
	v_mov_b32_e32 v5, v6
	s_waitcnt lgkmcnt(0)
	s_add_u32 s6, s22, s6
	s_load_dwordx2 s[16:17], s[16:17], 0x0
	v_lshl_add_u64 v[4:5], v[4:5], 0, s[28:29]
	s_addc_u32 s7, s23, s7
	v_lshl_add_u64 v[2:3], s[2:3], 0, v[2:3]
	v_lshl_add_u64 v[20:21], v[4:5], 2, s[6:7]
	v_mul_lo_u32 v0, s19, v2
	v_mul_lo_u32 v4, s18, v3
	v_mad_u64_u32 v[2:3], s[6:7], s18, v2, 0
	v_add3_u32 v3, v3, v4, v0
	s_lshl_b64 s[6:7], s[20:21], 2
	v_lshl_add_u64 v[2:3], v[2:3], 2, s[6:7]
	v_lshlrev_b32_e32 v0, 2, v8
	v_lshl_add_u64 v[2:3], v[2:3], 0, v[0:1]
	v_lshlrev_b32_e32 v28, 2, v12
	s_lshl_b64 s[4:5], s[4:5], 4
	s_waitcnt lgkmcnt(0)
	v_lshl_add_u64 v[22:23], s[16:17], 0, v[2:3]
	s_mov_b64 s[6:7], 0
	v_mov_b64_e32 v[24:25], s[30:31]
	v_mov_b32_e32 v0, v1
	v_mov_b32_e32 v2, v1
	;; [unrolled: 1-line block ×15, first 2 shown]
.LBB179_2:                              ; =>This Inner Loop Header: Depth=1
	flat_load_dword v30, v[22:23]
	s_add_u32 s6, s6, 4
	s_addc_u32 s7, s7, 0
	v_cmp_lt_i64_e32 vcc, s[6:7], v[24:25]
	v_lshl_add_u64 v[22:23], v[22:23], 0, 16
	s_and_b64 vcc, exec, vcc
	s_waitcnt vmcnt(0) lgkmcnt(0)
	ds_write_b32 v26, v30
	flat_load_dword v30, v[20:21]
	v_lshl_add_u64 v[20:21], v[20:21], 0, s[4:5]
	s_waitcnt vmcnt(0) lgkmcnt(0)
	ds_write_b32 v27, v30
	s_waitcnt lgkmcnt(0)
	s_barrier
	ds_read2_b32 v[48:49], v28 offset1:16
	ds_read2_b32 v[58:59], v28 offset0:32 offset1:48
	ds_read_b128 v[30:33], v29
	ds_read_b128 v[34:37], v29 offset:256
	ds_read_b128 v[38:41], v29 offset:512
	;; [unrolled: 1-line block ×3, first 2 shown]
	ds_read2_b32 v[50:51], v28 offset0:64 offset1:80
	ds_read2_b32 v[60:61], v28 offset0:96 offset1:112
	;; [unrolled: 1-line block ×6, first 2 shown]
	s_waitcnt lgkmcnt(11)
	v_mov_b32_e32 v46, v49
	v_mov_b32_e32 v47, v48
	s_waitcnt lgkmcnt(10)
	v_mov_b32_e32 v56, v59
	v_mov_b32_e32 v57, v58
	;; [unrolled: 3-line block ×4, first 2 shown]
	v_pk_fma_f32 v[18:19], v[46:47], v[30:31], v[18:19] op_sel_hi:[1,0,1]
	v_pk_fma_f32 v[14:15], v[46:47], v[34:35], v[14:15] op_sel_hi:[1,0,1]
	;; [unrolled: 1-line block ×8, first 2 shown]
	s_waitcnt lgkmcnt(3)
	v_mov_b32_e32 v50, v53
	v_mov_b32_e32 v51, v52
	s_waitcnt lgkmcnt(2)
	v_mov_b32_e32 v60, v63
	v_mov_b32_e32 v61, v62
	v_pk_fma_f32 v[18:19], v[48:49], v[30:31], v[18:19] op_sel:[0,1,0]
	v_pk_fma_f32 v[14:15], v[48:49], v[34:35], v[14:15] op_sel:[0,1,0]
	;; [unrolled: 1-line block ×8, first 2 shown]
	s_waitcnt lgkmcnt(1)
	v_mov_b32_e32 v52, v55
	v_mov_b32_e32 v53, v54
	v_mov_b32_e32 v54, v33
	s_waitcnt lgkmcnt(0)
	v_mov_b32_e32 v62, v65
	v_mov_b32_e32 v63, v64
	;; [unrolled: 1-line block ×5, first 2 shown]
	v_pk_fma_f32 v[18:19], v[50:51], v[32:33], v[18:19] op_sel_hi:[1,0,1]
	v_pk_fma_f32 v[16:17], v[60:61], v[32:33], v[16:17] op_sel_hi:[1,0,1]
	;; [unrolled: 1-line block ×16, first 2 shown]
	s_barrier
	s_cbranch_vccnz .LBB179_2
.LBB179_3:
	s_load_dword s4, s[0:1], 0x18
	s_load_dword s5, s[0:1], 0x50
	s_lshl_b64 s[0:1], s[26:27], 2
	s_waitcnt lgkmcnt(0)
	s_add_u32 s0, s14, s0
	v_lshl_add_u64 v[20:21], s[28:29], 0, v[10:11]
	v_lshl_add_u64 v[10:11], s[2:3], 0, v[12:13]
	v_cmp_neq_f32_e64 s[6:7], s5, 0
	s_addc_u32 s1, s15, s1
	s_and_b64 vcc, exec, s[6:7]
	v_mul_lo_u32 v12, v21, s24
	v_mul_lo_u32 v13, v20, s25
	v_lshlrev_b64 v[10:11], 2, v[10:11]
	s_cbranch_vccnz .LBB179_7
; %bb.4:
	v_mad_u64_u32 v[22:23], s[2:3], v20, s24, 0
	v_add3_u32 v23, v23, v13, v12
	v_lshl_add_u64 v[22:23], v[22:23], 2, s[0:1]
	v_mul_f32_e32 v26, s4, v19
	v_lshl_add_u64 v[24:25], v[22:23], 0, v[10:11]
	flat_store_dword v[24:25], v26
	v_mul_f32_e32 v26, s4, v18
	flat_store_dword v[24:25], v26 offset:64
	v_mul_f32_e32 v26, s4, v17
	s_lshl_b64 s[2:3], s[24:25], 6
	flat_store_dword v[24:25], v26 offset:128
	v_mul_f32_e32 v26, s4, v16
	v_lshl_add_u64 v[22:23], v[22:23], 0, s[2:3]
	flat_store_dword v[24:25], v26 offset:192
	v_mul_f32_e32 v26, s4, v15
	v_lshl_add_u64 v[24:25], v[22:23], 0, v[10:11]
	flat_store_dword v[24:25], v26
	v_mul_f32_e32 v26, s4, v14
	flat_store_dword v[24:25], v26 offset:64
	v_mul_f32_e32 v26, s4, v9
	flat_store_dword v[24:25], v26 offset:128
	v_mul_f32_e32 v26, s4, v8
	v_lshl_add_u64 v[22:23], v[22:23], 0, s[2:3]
	flat_store_dword v[24:25], v26 offset:192
	v_mul_f32_e32 v26, s4, v7
	v_lshl_add_u64 v[24:25], v[22:23], 0, v[10:11]
	flat_store_dword v[24:25], v26
	v_mul_f32_e32 v26, s4, v6
	flat_store_dword v[24:25], v26 offset:64
	v_mul_f32_e32 v26, s4, v5
	;; [unrolled: 10-line block ×3, first 2 shown]
	flat_store_dword v[22:23], v24 offset:128
	v_mul_f32_e32 v24, s4, v0
	flat_store_dword v[22:23], v24 offset:192
	s_cbranch_execnz .LBB179_6
.LBB179_5:
	s_lshl_b64 s[2:3], s[12:13], 2
	s_add_u32 s2, s8, s2
	v_mul_lo_u32 v21, v21, s10
	v_mul_lo_u32 v24, v20, s11
	v_mad_u64_u32 v[22:23], s[6:7], v20, s10, 0
	s_addc_u32 s3, s9, s3
	v_add3_u32 v23, v23, v24, v21
	v_lshl_add_u64 v[22:23], v[22:23], 2, s[2:3]
	v_lshl_add_u64 v[24:25], v[22:23], 0, v[10:11]
	flat_load_dword v26, v[24:25]
	v_mad_u64_u32 v[20:21], s[2:3], v20, s24, 0
	v_add3_u32 v21, v21, v13, v12
	v_lshl_add_u64 v[12:13], v[20:21], 2, s[0:1]
	v_lshl_add_u64 v[20:21], v[12:13], 0, v[10:11]
	s_lshl_b64 s[0:1], s[10:11], 6
	s_lshl_b64 s[2:3], s[24:25], 6
	v_lshl_add_u64 v[12:13], v[12:13], 0, s[2:3]
	s_waitcnt vmcnt(0) lgkmcnt(0)
	v_mul_f32_e32 v26, s5, v26
	v_fmac_f32_e32 v26, s4, v19
	flat_store_dword v[20:21], v26
	flat_load_dword v19, v[24:25] offset:64
	s_waitcnt vmcnt(0) lgkmcnt(0)
	v_mul_f32_e32 v19, s5, v19
	v_fmac_f32_e32 v19, s4, v18
	flat_store_dword v[20:21], v19 offset:64
	flat_load_dword v18, v[24:25] offset:128
	s_waitcnt vmcnt(0) lgkmcnt(0)
	v_mul_f32_e32 v18, s5, v18
	v_fmac_f32_e32 v18, s4, v17
	flat_store_dword v[20:21], v18 offset:128
	flat_load_dword v17, v[24:25] offset:192
	v_lshl_add_u64 v[18:19], v[22:23], 0, s[0:1]
	v_lshl_add_u64 v[22:23], v[18:19], 0, v[10:11]
	s_waitcnt vmcnt(0) lgkmcnt(0)
	v_mul_f32_e32 v17, s5, v17
	v_fmac_f32_e32 v17, s4, v16
	flat_store_dword v[20:21], v17 offset:192
	flat_load_dword v20, v[22:23]
	v_lshl_add_u64 v[16:17], v[12:13], 0, v[10:11]
	s_waitcnt vmcnt(0) lgkmcnt(0)
	v_mul_f32_e32 v20, s5, v20
	v_fmac_f32_e32 v20, s4, v15
	flat_store_dword v[16:17], v20
	flat_load_dword v15, v[22:23] offset:64
	s_waitcnt vmcnt(0) lgkmcnt(0)
	v_mul_f32_e32 v15, s5, v15
	v_fmac_f32_e32 v15, s4, v14
	flat_store_dword v[16:17], v15 offset:64
	flat_load_dword v14, v[22:23] offset:128
	s_waitcnt vmcnt(0) lgkmcnt(0)
	v_mul_f32_e32 v14, s5, v14
	v_fmac_f32_e32 v14, s4, v9
	flat_store_dword v[16:17], v14 offset:128
	flat_load_dword v9, v[22:23] offset:192
	v_lshl_add_u64 v[14:15], v[18:19], 0, s[0:1]
	v_lshl_add_u64 v[18:19], v[14:15], 0, v[10:11]
	s_waitcnt vmcnt(0) lgkmcnt(0)
	v_mul_f32_e32 v9, s5, v9
	v_fmac_f32_e32 v9, s4, v8
	flat_store_dword v[16:17], v9 offset:192
	flat_load_dword v16, v[18:19]
	v_lshl_add_u64 v[8:9], v[12:13], 0, s[2:3]
	v_lshl_add_u64 v[12:13], v[8:9], 0, v[10:11]
	s_waitcnt vmcnt(0) lgkmcnt(0)
	v_mul_f32_e32 v16, s5, v16
	v_fmac_f32_e32 v16, s4, v7
	flat_store_dword v[12:13], v16
	flat_load_dword v7, v[18:19] offset:64
	s_waitcnt vmcnt(0) lgkmcnt(0)
	v_mul_f32_e32 v7, s5, v7
	v_fmac_f32_e32 v7, s4, v6
	flat_store_dword v[12:13], v7 offset:64
	flat_load_dword v6, v[18:19] offset:128
	s_waitcnt vmcnt(0) lgkmcnt(0)
	v_mul_f32_e32 v6, s5, v6
	v_fmac_f32_e32 v6, s4, v5
	flat_store_dword v[12:13], v6 offset:128
	flat_load_dword v5, v[18:19] offset:192
	v_lshl_add_u64 v[6:7], v[14:15], 0, s[0:1]
	v_lshl_add_u64 v[6:7], v[6:7], 0, v[10:11]
	s_waitcnt vmcnt(0) lgkmcnt(0)
	v_mul_f32_e32 v5, s5, v5
	v_fmac_f32_e32 v5, s4, v4
	flat_store_dword v[12:13], v5 offset:192
	flat_load_dword v12, v[6:7]
	v_lshl_add_u64 v[4:5], v[8:9], 0, s[2:3]
	v_lshl_add_u64 v[4:5], v[4:5], 0, v[10:11]
	s_waitcnt vmcnt(0) lgkmcnt(0)
	v_mul_f32_e32 v8, s5, v12
	v_fmac_f32_e32 v8, s4, v3
	flat_store_dword v[4:5], v8
	flat_load_dword v3, v[6:7] offset:64
	s_waitcnt vmcnt(0) lgkmcnt(0)
	v_mul_f32_e32 v3, s5, v3
	v_fmac_f32_e32 v3, s4, v2
	flat_store_dword v[4:5], v3 offset:64
	flat_load_dword v2, v[6:7] offset:128
	s_waitcnt vmcnt(0) lgkmcnt(0)
	v_mul_f32_e32 v2, s5, v2
	v_fmac_f32_e32 v2, s4, v1
	flat_store_dword v[4:5], v2 offset:128
	flat_load_dword v1, v[6:7] offset:192
	s_waitcnt vmcnt(0) lgkmcnt(0)
	v_mul_f32_e32 v1, s5, v1
	v_fmac_f32_e32 v1, s4, v0
	flat_store_dword v[4:5], v1 offset:192
.LBB179_6:
	s_endpgm
.LBB179_7:
	s_branch .LBB179_5
	.section	.rodata,"a",@progbits
	.p2align	6, 0x0
	.amdhsa_kernel _ZN12_GLOBAL__N_127rocblas_gemm_batched_kernelIfLi16ELi16ELi64ELi64ELi4ELi64ELi4ELi4ELi64ELc84ELc84EKPKfS3_KPfEEvlllT_PT11_llS8_llS6_PT12_llPT13_lli
		.amdhsa_group_segment_fixed_size 2048
		.amdhsa_private_segment_fixed_size 0
		.amdhsa_kernarg_size 140
		.amdhsa_user_sgpr_count 2
		.amdhsa_user_sgpr_dispatch_ptr 0
		.amdhsa_user_sgpr_queue_ptr 0
		.amdhsa_user_sgpr_kernarg_segment_ptr 1
		.amdhsa_user_sgpr_dispatch_id 0
		.amdhsa_user_sgpr_kernarg_preload_length 0
		.amdhsa_user_sgpr_kernarg_preload_offset 0
		.amdhsa_user_sgpr_private_segment_size 0
		.amdhsa_uses_dynamic_stack 0
		.amdhsa_enable_private_segment 0
		.amdhsa_system_sgpr_workgroup_id_x 1
		.amdhsa_system_sgpr_workgroup_id_y 1
		.amdhsa_system_sgpr_workgroup_id_z 1
		.amdhsa_system_sgpr_workgroup_info 0
		.amdhsa_system_vgpr_workitem_id 1
		.amdhsa_next_free_vgpr 70
		.amdhsa_next_free_sgpr 36
		.amdhsa_accum_offset 72
		.amdhsa_reserve_vcc 1
		.amdhsa_float_round_mode_32 0
		.amdhsa_float_round_mode_16_64 0
		.amdhsa_float_denorm_mode_32 3
		.amdhsa_float_denorm_mode_16_64 3
		.amdhsa_dx10_clamp 1
		.amdhsa_ieee_mode 1
		.amdhsa_fp16_overflow 0
		.amdhsa_tg_split 0
		.amdhsa_exception_fp_ieee_invalid_op 0
		.amdhsa_exception_fp_denorm_src 0
		.amdhsa_exception_fp_ieee_div_zero 0
		.amdhsa_exception_fp_ieee_overflow 0
		.amdhsa_exception_fp_ieee_underflow 0
		.amdhsa_exception_fp_ieee_inexact 0
		.amdhsa_exception_int_div_zero 0
	.end_amdhsa_kernel
	.section	.text._ZN12_GLOBAL__N_127rocblas_gemm_batched_kernelIfLi16ELi16ELi64ELi64ELi4ELi64ELi4ELi4ELi64ELc84ELc84EKPKfS3_KPfEEvlllT_PT11_llS8_llS6_PT12_llPT13_lli,"axG",@progbits,_ZN12_GLOBAL__N_127rocblas_gemm_batched_kernelIfLi16ELi16ELi64ELi64ELi4ELi64ELi4ELi4ELi64ELc84ELc84EKPKfS3_KPfEEvlllT_PT11_llS8_llS6_PT12_llPT13_lli,comdat
.Lfunc_end179:
	.size	_ZN12_GLOBAL__N_127rocblas_gemm_batched_kernelIfLi16ELi16ELi64ELi64ELi4ELi64ELi4ELi4ELi64ELc84ELc84EKPKfS3_KPfEEvlllT_PT11_llS8_llS6_PT12_llPT13_lli, .Lfunc_end179-_ZN12_GLOBAL__N_127rocblas_gemm_batched_kernelIfLi16ELi16ELi64ELi64ELi4ELi64ELi4ELi4ELi64ELc84ELc84EKPKfS3_KPfEEvlllT_PT11_llS8_llS6_PT12_llPT13_lli
                                        ; -- End function
	.set _ZN12_GLOBAL__N_127rocblas_gemm_batched_kernelIfLi16ELi16ELi64ELi64ELi4ELi64ELi4ELi4ELi64ELc84ELc84EKPKfS3_KPfEEvlllT_PT11_llS8_llS6_PT12_llPT13_lli.num_vgpr, 70
	.set _ZN12_GLOBAL__N_127rocblas_gemm_batched_kernelIfLi16ELi16ELi64ELi64ELi4ELi64ELi4ELi4ELi64ELc84ELc84EKPKfS3_KPfEEvlllT_PT11_llS8_llS6_PT12_llPT13_lli.num_agpr, 0
	.set _ZN12_GLOBAL__N_127rocblas_gemm_batched_kernelIfLi16ELi16ELi64ELi64ELi4ELi64ELi4ELi4ELi64ELc84ELc84EKPKfS3_KPfEEvlllT_PT11_llS8_llS6_PT12_llPT13_lli.numbered_sgpr, 36
	.set _ZN12_GLOBAL__N_127rocblas_gemm_batched_kernelIfLi16ELi16ELi64ELi64ELi4ELi64ELi4ELi4ELi64ELc84ELc84EKPKfS3_KPfEEvlllT_PT11_llS8_llS6_PT12_llPT13_lli.num_named_barrier, 0
	.set _ZN12_GLOBAL__N_127rocblas_gemm_batched_kernelIfLi16ELi16ELi64ELi64ELi4ELi64ELi4ELi4ELi64ELc84ELc84EKPKfS3_KPfEEvlllT_PT11_llS8_llS6_PT12_llPT13_lli.private_seg_size, 0
	.set _ZN12_GLOBAL__N_127rocblas_gemm_batched_kernelIfLi16ELi16ELi64ELi64ELi4ELi64ELi4ELi4ELi64ELc84ELc84EKPKfS3_KPfEEvlllT_PT11_llS8_llS6_PT12_llPT13_lli.uses_vcc, 1
	.set _ZN12_GLOBAL__N_127rocblas_gemm_batched_kernelIfLi16ELi16ELi64ELi64ELi4ELi64ELi4ELi4ELi64ELc84ELc84EKPKfS3_KPfEEvlllT_PT11_llS8_llS6_PT12_llPT13_lli.uses_flat_scratch, 0
	.set _ZN12_GLOBAL__N_127rocblas_gemm_batched_kernelIfLi16ELi16ELi64ELi64ELi4ELi64ELi4ELi4ELi64ELc84ELc84EKPKfS3_KPfEEvlllT_PT11_llS8_llS6_PT12_llPT13_lli.has_dyn_sized_stack, 0
	.set _ZN12_GLOBAL__N_127rocblas_gemm_batched_kernelIfLi16ELi16ELi64ELi64ELi4ELi64ELi4ELi4ELi64ELc84ELc84EKPKfS3_KPfEEvlllT_PT11_llS8_llS6_PT12_llPT13_lli.has_recursion, 0
	.set _ZN12_GLOBAL__N_127rocblas_gemm_batched_kernelIfLi16ELi16ELi64ELi64ELi4ELi64ELi4ELi4ELi64ELc84ELc84EKPKfS3_KPfEEvlllT_PT11_llS8_llS6_PT12_llPT13_lli.has_indirect_call, 0
	.section	.AMDGPU.csdata,"",@progbits
; Kernel info:
; codeLenInByte = 2096
; TotalNumSgprs: 42
; NumVgprs: 70
; NumAgprs: 0
; TotalNumVgprs: 70
; ScratchSize: 0
; MemoryBound: 0
; FloatMode: 240
; IeeeMode: 1
; LDSByteSize: 2048 bytes/workgroup (compile time only)
; SGPRBlocks: 5
; VGPRBlocks: 8
; NumSGPRsForWavesPerEU: 42
; NumVGPRsForWavesPerEU: 70
; AccumOffset: 72
; Occupancy: 7
; WaveLimiterHint : 1
; COMPUTE_PGM_RSRC2:SCRATCH_EN: 0
; COMPUTE_PGM_RSRC2:USER_SGPR: 2
; COMPUTE_PGM_RSRC2:TRAP_HANDLER: 0
; COMPUTE_PGM_RSRC2:TGID_X_EN: 1
; COMPUTE_PGM_RSRC2:TGID_Y_EN: 1
; COMPUTE_PGM_RSRC2:TGID_Z_EN: 1
; COMPUTE_PGM_RSRC2:TIDIG_COMP_CNT: 1
; COMPUTE_PGM_RSRC3_GFX90A:ACCUM_OFFSET: 17
; COMPUTE_PGM_RSRC3_GFX90A:TG_SPLIT: 0
	.section	.text._ZN12_GLOBAL__N_127rocblas_gemm_batched_kernelIfLi16ELi16ELi64ELi64ELi4ELi64ELi4ELi4ELi64ELc67ELc67EKPKfS3_KPfEEvlllT_PT11_llS8_llS6_PT12_llPT13_lli,"axG",@progbits,_ZN12_GLOBAL__N_127rocblas_gemm_batched_kernelIfLi16ELi16ELi64ELi64ELi4ELi64ELi4ELi4ELi64ELc67ELc67EKPKfS3_KPfEEvlllT_PT11_llS8_llS6_PT12_llPT13_lli,comdat
	.globl	_ZN12_GLOBAL__N_127rocblas_gemm_batched_kernelIfLi16ELi16ELi64ELi64ELi4ELi64ELi4ELi4ELi64ELc67ELc67EKPKfS3_KPfEEvlllT_PT11_llS8_llS6_PT12_llPT13_lli ; -- Begin function _ZN12_GLOBAL__N_127rocblas_gemm_batched_kernelIfLi16ELi16ELi64ELi64ELi4ELi64ELi4ELi4ELi64ELc67ELc67EKPKfS3_KPfEEvlllT_PT11_llS8_llS6_PT12_llPT13_lli
	.p2align	8
	.type	_ZN12_GLOBAL__N_127rocblas_gemm_batched_kernelIfLi16ELi16ELi64ELi64ELi4ELi64ELi4ELi4ELi64ELc67ELc67EKPKfS3_KPfEEvlllT_PT11_llS8_llS6_PT12_llPT13_lli,@function
_ZN12_GLOBAL__N_127rocblas_gemm_batched_kernelIfLi16ELi16ELi64ELi64ELi4ELi64ELi4ELi4ELi64ELc67ELc67EKPKfS3_KPfEEvlllT_PT11_llS8_llS6_PT12_llPT13_lli: ; @_ZN12_GLOBAL__N_127rocblas_gemm_batched_kernelIfLi16ELi16ELi64ELi64ELi4ELi64ELi4ELi4ELi64ELc67ELc67EKPKfS3_KPfEEvlllT_PT11_llS8_llS6_PT12_llPT13_lli
; %bb.0:
	s_load_dwordx2 s[30:31], s[0:1], 0x10
	s_load_dwordx4 s[24:27], s[0:1], 0x78
	s_load_dwordx8 s[8:15], s[0:1], 0x58
	s_mov_b32 s5, 0
	s_lshl_b64 s[34:35], s[4:5], 3
	s_mov_b32 s6, s3
	v_mov_b32_e32 v11, 0
	s_waitcnt lgkmcnt(0)
	s_add_u32 s4, s8, s34
	s_addc_u32 s5, s9, s35
	s_load_dwordx2 s[8:9], s[4:5], 0x0
	s_add_u32 s4, s14, s34
	s_addc_u32 s5, s15, s35
	s_load_dwordx2 s[14:15], s[4:5], 0x0
	s_ashr_i32 s3, s2, 31
	s_ashr_i32 s7, s6, 31
	v_cmp_lt_i64_e64 s[4:5], s[30:31], 1
	v_bfe_u32 v10, v0, 10, 10
	v_and_b32_e32 v12, 0x3ff, v0
	v_mov_b32_e32 v13, v11
	s_lshl_b64 s[2:3], s[2:3], 6
	s_lshl_b64 s[28:29], s[6:7], 6
	s_and_b64 vcc, exec, s[4:5]
	v_mov_b32_e32 v19, v11
	v_mov_b32_e32 v18, v11
	v_mov_b32_e32 v17, v11
	v_mov_b32_e32 v16, v11
	v_mov_b32_e32 v15, v11
	v_mov_b32_e32 v14, v11
	v_mov_b32_e32 v9, v11
	v_mov_b32_e32 v8, v11
	v_mov_b32_e32 v7, v11
	v_mov_b32_e32 v6, v11
	v_mov_b32_e32 v5, v11
	v_mov_b32_e32 v4, v11
	v_mov_b32_e32 v3, v11
	v_mov_b32_e32 v2, v11
	v_mov_b32_e32 v1, v11
	v_mov_b32_e32 v0, v11
	s_cbranch_vccnz .LBB180_3
; %bb.1:
	s_load_dwordx8 s[16:23], s[0:1], 0x20
	s_load_dwordx4 s[4:7], s[0:1], 0x40
	v_lshlrev_b32_e32 v4, 4, v10
	v_add_u32_e32 v5, v4, v12
	v_and_b32_e32 v2, 63, v5
	s_waitcnt lgkmcnt(0)
	s_add_u32 s16, s16, s34
	s_addc_u32 s17, s17, s35
	s_add_u32 s22, s22, s34
	s_addc_u32 s23, s23, s35
	v_lshrrev_b32_e32 v0, 2, v5
	v_and_b32_e32 v6, 3, v12
	v_lshrrev_b32_e32 v8, 6, v5
	v_lshlrev_b32_e32 v5, 2, v2
	s_load_dwordx2 s[22:23], s[22:23], 0x0
	v_lshl_or_b32 v26, v8, 8, v5
	v_lshlrev_b32_e32 v5, 2, v6
	v_mov_b32_e32 v1, 0
	v_lshl_or_b32 v5, v0, 4, v5
	v_add_u32_e32 v27, 0x400, v5
	v_add_u32_e32 v29, 0x400, v4
	v_mad_u64_u32 v[4:5], s[34:35], s4, v6, v[0:1]
	v_mov_b32_e32 v0, v5
	s_lshl_b64 s[6:7], s[6:7], 2
	v_mad_u64_u32 v[6:7], s[34:35], s5, v6, v[0:1]
	v_mov_b32_e32 v3, v1
	v_mov_b32_e32 v5, v6
	s_waitcnt lgkmcnt(0)
	s_add_u32 s6, s22, s6
	s_load_dwordx2 s[16:17], s[16:17], 0x0
	v_lshl_add_u64 v[4:5], v[4:5], 0, s[28:29]
	s_addc_u32 s7, s23, s7
	v_lshl_add_u64 v[2:3], s[2:3], 0, v[2:3]
	v_lshl_add_u64 v[20:21], v[4:5], 2, s[6:7]
	v_mul_lo_u32 v0, s19, v2
	v_mul_lo_u32 v4, s18, v3
	v_mad_u64_u32 v[2:3], s[6:7], s18, v2, 0
	v_add3_u32 v3, v3, v4, v0
	s_lshl_b64 s[6:7], s[20:21], 2
	v_lshl_add_u64 v[2:3], v[2:3], 2, s[6:7]
	v_lshlrev_b32_e32 v0, 2, v8
	v_lshl_add_u64 v[2:3], v[2:3], 0, v[0:1]
	v_lshlrev_b32_e32 v28, 2, v12
	s_lshl_b64 s[4:5], s[4:5], 4
	s_waitcnt lgkmcnt(0)
	v_lshl_add_u64 v[22:23], s[16:17], 0, v[2:3]
	s_mov_b64 s[6:7], 0
	v_mov_b64_e32 v[24:25], s[30:31]
	v_mov_b32_e32 v0, v1
	v_mov_b32_e32 v2, v1
	;; [unrolled: 1-line block ×15, first 2 shown]
.LBB180_2:                              ; =>This Inner Loop Header: Depth=1
	flat_load_dword v30, v[22:23]
	s_add_u32 s6, s6, 4
	s_addc_u32 s7, s7, 0
	v_cmp_lt_i64_e32 vcc, s[6:7], v[24:25]
	v_lshl_add_u64 v[22:23], v[22:23], 0, 16
	s_and_b64 vcc, exec, vcc
	s_waitcnt vmcnt(0) lgkmcnt(0)
	ds_write_b32 v26, v30
	flat_load_dword v30, v[20:21]
	v_lshl_add_u64 v[20:21], v[20:21], 0, s[4:5]
	s_waitcnt vmcnt(0) lgkmcnt(0)
	ds_write_b32 v27, v30
	s_waitcnt lgkmcnt(0)
	s_barrier
	ds_read2_b32 v[48:49], v28 offset1:16
	ds_read2_b32 v[58:59], v28 offset0:32 offset1:48
	ds_read_b128 v[30:33], v29
	ds_read_b128 v[34:37], v29 offset:256
	ds_read_b128 v[38:41], v29 offset:512
	;; [unrolled: 1-line block ×3, first 2 shown]
	ds_read2_b32 v[50:51], v28 offset0:64 offset1:80
	ds_read2_b32 v[60:61], v28 offset0:96 offset1:112
	;; [unrolled: 1-line block ×6, first 2 shown]
	s_waitcnt lgkmcnt(11)
	v_mov_b32_e32 v46, v49
	v_mov_b32_e32 v47, v48
	s_waitcnt lgkmcnt(10)
	v_mov_b32_e32 v56, v59
	v_mov_b32_e32 v57, v58
	;; [unrolled: 3-line block ×4, first 2 shown]
	v_pk_fma_f32 v[18:19], v[46:47], v[30:31], v[18:19] op_sel_hi:[1,0,1]
	v_pk_fma_f32 v[14:15], v[46:47], v[34:35], v[14:15] op_sel_hi:[1,0,1]
	v_pk_fma_f32 v[6:7], v[46:47], v[38:39], v[6:7] op_sel_hi:[1,0,1]
	v_pk_fma_f32 v[2:3], v[46:47], v[42:43], v[2:3] op_sel_hi:[1,0,1]
	v_pk_fma_f32 v[16:17], v[56:57], v[30:31], v[16:17] op_sel_hi:[1,0,1]
	v_pk_fma_f32 v[8:9], v[56:57], v[34:35], v[8:9] op_sel_hi:[1,0,1]
	v_pk_fma_f32 v[4:5], v[56:57], v[38:39], v[4:5] op_sel_hi:[1,0,1]
	v_pk_fma_f32 v[0:1], v[56:57], v[42:43], v[0:1] op_sel_hi:[1,0,1]
	s_waitcnt lgkmcnt(3)
	v_mov_b32_e32 v50, v53
	v_mov_b32_e32 v51, v52
	s_waitcnt lgkmcnt(2)
	v_mov_b32_e32 v60, v63
	v_mov_b32_e32 v61, v62
	v_pk_fma_f32 v[18:19], v[48:49], v[30:31], v[18:19] op_sel:[0,1,0]
	v_pk_fma_f32 v[14:15], v[48:49], v[34:35], v[14:15] op_sel:[0,1,0]
	;; [unrolled: 1-line block ×8, first 2 shown]
	s_waitcnt lgkmcnt(1)
	v_mov_b32_e32 v52, v55
	v_mov_b32_e32 v53, v54
	;; [unrolled: 1-line block ×3, first 2 shown]
	s_waitcnt lgkmcnt(0)
	v_mov_b32_e32 v62, v65
	v_mov_b32_e32 v63, v64
	;; [unrolled: 1-line block ×5, first 2 shown]
	v_pk_fma_f32 v[18:19], v[50:51], v[32:33], v[18:19] op_sel_hi:[1,0,1]
	v_pk_fma_f32 v[16:17], v[60:61], v[32:33], v[16:17] op_sel_hi:[1,0,1]
	;; [unrolled: 1-line block ×16, first 2 shown]
	s_barrier
	s_cbranch_vccnz .LBB180_2
.LBB180_3:
	s_load_dword s4, s[0:1], 0x18
	s_load_dword s5, s[0:1], 0x50
	s_lshl_b64 s[0:1], s[26:27], 2
	s_waitcnt lgkmcnt(0)
	s_add_u32 s0, s14, s0
	v_lshl_add_u64 v[20:21], s[28:29], 0, v[10:11]
	v_lshl_add_u64 v[10:11], s[2:3], 0, v[12:13]
	v_cmp_neq_f32_e64 s[6:7], s5, 0
	s_addc_u32 s1, s15, s1
	s_and_b64 vcc, exec, s[6:7]
	v_mul_lo_u32 v12, v21, s24
	v_mul_lo_u32 v13, v20, s25
	v_lshlrev_b64 v[10:11], 2, v[10:11]
	s_cbranch_vccnz .LBB180_7
; %bb.4:
	v_mad_u64_u32 v[22:23], s[2:3], v20, s24, 0
	v_add3_u32 v23, v23, v13, v12
	v_lshl_add_u64 v[22:23], v[22:23], 2, s[0:1]
	v_mul_f32_e32 v26, s4, v19
	v_lshl_add_u64 v[24:25], v[22:23], 0, v[10:11]
	flat_store_dword v[24:25], v26
	v_mul_f32_e32 v26, s4, v18
	flat_store_dword v[24:25], v26 offset:64
	v_mul_f32_e32 v26, s4, v17
	s_lshl_b64 s[2:3], s[24:25], 6
	flat_store_dword v[24:25], v26 offset:128
	v_mul_f32_e32 v26, s4, v16
	v_lshl_add_u64 v[22:23], v[22:23], 0, s[2:3]
	flat_store_dword v[24:25], v26 offset:192
	v_mul_f32_e32 v26, s4, v15
	v_lshl_add_u64 v[24:25], v[22:23], 0, v[10:11]
	flat_store_dword v[24:25], v26
	v_mul_f32_e32 v26, s4, v14
	flat_store_dword v[24:25], v26 offset:64
	v_mul_f32_e32 v26, s4, v9
	flat_store_dword v[24:25], v26 offset:128
	v_mul_f32_e32 v26, s4, v8
	v_lshl_add_u64 v[22:23], v[22:23], 0, s[2:3]
	flat_store_dword v[24:25], v26 offset:192
	v_mul_f32_e32 v26, s4, v7
	v_lshl_add_u64 v[24:25], v[22:23], 0, v[10:11]
	flat_store_dword v[24:25], v26
	v_mul_f32_e32 v26, s4, v6
	flat_store_dword v[24:25], v26 offset:64
	v_mul_f32_e32 v26, s4, v5
	;; [unrolled: 10-line block ×3, first 2 shown]
	flat_store_dword v[22:23], v24 offset:128
	v_mul_f32_e32 v24, s4, v0
	flat_store_dword v[22:23], v24 offset:192
	s_cbranch_execnz .LBB180_6
.LBB180_5:
	s_lshl_b64 s[2:3], s[12:13], 2
	s_add_u32 s2, s8, s2
	v_mul_lo_u32 v21, v21, s10
	v_mul_lo_u32 v24, v20, s11
	v_mad_u64_u32 v[22:23], s[6:7], v20, s10, 0
	s_addc_u32 s3, s9, s3
	v_add3_u32 v23, v23, v24, v21
	v_lshl_add_u64 v[22:23], v[22:23], 2, s[2:3]
	v_lshl_add_u64 v[24:25], v[22:23], 0, v[10:11]
	flat_load_dword v26, v[24:25]
	v_mad_u64_u32 v[20:21], s[2:3], v20, s24, 0
	v_add3_u32 v21, v21, v13, v12
	v_lshl_add_u64 v[12:13], v[20:21], 2, s[0:1]
	v_lshl_add_u64 v[20:21], v[12:13], 0, v[10:11]
	s_lshl_b64 s[0:1], s[10:11], 6
	s_lshl_b64 s[2:3], s[24:25], 6
	v_lshl_add_u64 v[12:13], v[12:13], 0, s[2:3]
	s_waitcnt vmcnt(0) lgkmcnt(0)
	v_mul_f32_e32 v26, s5, v26
	v_fmac_f32_e32 v26, s4, v19
	flat_store_dword v[20:21], v26
	flat_load_dword v19, v[24:25] offset:64
	s_waitcnt vmcnt(0) lgkmcnt(0)
	v_mul_f32_e32 v19, s5, v19
	v_fmac_f32_e32 v19, s4, v18
	flat_store_dword v[20:21], v19 offset:64
	flat_load_dword v18, v[24:25] offset:128
	s_waitcnt vmcnt(0) lgkmcnt(0)
	v_mul_f32_e32 v18, s5, v18
	v_fmac_f32_e32 v18, s4, v17
	flat_store_dword v[20:21], v18 offset:128
	flat_load_dword v17, v[24:25] offset:192
	v_lshl_add_u64 v[18:19], v[22:23], 0, s[0:1]
	v_lshl_add_u64 v[22:23], v[18:19], 0, v[10:11]
	s_waitcnt vmcnt(0) lgkmcnt(0)
	v_mul_f32_e32 v17, s5, v17
	v_fmac_f32_e32 v17, s4, v16
	flat_store_dword v[20:21], v17 offset:192
	flat_load_dword v20, v[22:23]
	v_lshl_add_u64 v[16:17], v[12:13], 0, v[10:11]
	s_waitcnt vmcnt(0) lgkmcnt(0)
	v_mul_f32_e32 v20, s5, v20
	v_fmac_f32_e32 v20, s4, v15
	flat_store_dword v[16:17], v20
	flat_load_dword v15, v[22:23] offset:64
	s_waitcnt vmcnt(0) lgkmcnt(0)
	v_mul_f32_e32 v15, s5, v15
	v_fmac_f32_e32 v15, s4, v14
	flat_store_dword v[16:17], v15 offset:64
	flat_load_dword v14, v[22:23] offset:128
	s_waitcnt vmcnt(0) lgkmcnt(0)
	v_mul_f32_e32 v14, s5, v14
	v_fmac_f32_e32 v14, s4, v9
	flat_store_dword v[16:17], v14 offset:128
	flat_load_dword v9, v[22:23] offset:192
	v_lshl_add_u64 v[14:15], v[18:19], 0, s[0:1]
	v_lshl_add_u64 v[18:19], v[14:15], 0, v[10:11]
	s_waitcnt vmcnt(0) lgkmcnt(0)
	v_mul_f32_e32 v9, s5, v9
	v_fmac_f32_e32 v9, s4, v8
	flat_store_dword v[16:17], v9 offset:192
	flat_load_dword v16, v[18:19]
	v_lshl_add_u64 v[8:9], v[12:13], 0, s[2:3]
	v_lshl_add_u64 v[12:13], v[8:9], 0, v[10:11]
	s_waitcnt vmcnt(0) lgkmcnt(0)
	v_mul_f32_e32 v16, s5, v16
	v_fmac_f32_e32 v16, s4, v7
	flat_store_dword v[12:13], v16
	flat_load_dword v7, v[18:19] offset:64
	s_waitcnt vmcnt(0) lgkmcnt(0)
	v_mul_f32_e32 v7, s5, v7
	v_fmac_f32_e32 v7, s4, v6
	flat_store_dword v[12:13], v7 offset:64
	flat_load_dword v6, v[18:19] offset:128
	s_waitcnt vmcnt(0) lgkmcnt(0)
	v_mul_f32_e32 v6, s5, v6
	v_fmac_f32_e32 v6, s4, v5
	flat_store_dword v[12:13], v6 offset:128
	flat_load_dword v5, v[18:19] offset:192
	v_lshl_add_u64 v[6:7], v[14:15], 0, s[0:1]
	v_lshl_add_u64 v[6:7], v[6:7], 0, v[10:11]
	s_waitcnt vmcnt(0) lgkmcnt(0)
	v_mul_f32_e32 v5, s5, v5
	v_fmac_f32_e32 v5, s4, v4
	flat_store_dword v[12:13], v5 offset:192
	flat_load_dword v12, v[6:7]
	v_lshl_add_u64 v[4:5], v[8:9], 0, s[2:3]
	v_lshl_add_u64 v[4:5], v[4:5], 0, v[10:11]
	s_waitcnt vmcnt(0) lgkmcnt(0)
	v_mul_f32_e32 v8, s5, v12
	v_fmac_f32_e32 v8, s4, v3
	flat_store_dword v[4:5], v8
	flat_load_dword v3, v[6:7] offset:64
	s_waitcnt vmcnt(0) lgkmcnt(0)
	v_mul_f32_e32 v3, s5, v3
	v_fmac_f32_e32 v3, s4, v2
	flat_store_dword v[4:5], v3 offset:64
	flat_load_dword v2, v[6:7] offset:128
	s_waitcnt vmcnt(0) lgkmcnt(0)
	v_mul_f32_e32 v2, s5, v2
	v_fmac_f32_e32 v2, s4, v1
	flat_store_dword v[4:5], v2 offset:128
	;; [unrolled: 5-line block ×3, first 2 shown]
.LBB180_6:
	s_endpgm
.LBB180_7:
	s_branch .LBB180_5
	.section	.rodata,"a",@progbits
	.p2align	6, 0x0
	.amdhsa_kernel _ZN12_GLOBAL__N_127rocblas_gemm_batched_kernelIfLi16ELi16ELi64ELi64ELi4ELi64ELi4ELi4ELi64ELc67ELc67EKPKfS3_KPfEEvlllT_PT11_llS8_llS6_PT12_llPT13_lli
		.amdhsa_group_segment_fixed_size 2048
		.amdhsa_private_segment_fixed_size 0
		.amdhsa_kernarg_size 140
		.amdhsa_user_sgpr_count 2
		.amdhsa_user_sgpr_dispatch_ptr 0
		.amdhsa_user_sgpr_queue_ptr 0
		.amdhsa_user_sgpr_kernarg_segment_ptr 1
		.amdhsa_user_sgpr_dispatch_id 0
		.amdhsa_user_sgpr_kernarg_preload_length 0
		.amdhsa_user_sgpr_kernarg_preload_offset 0
		.amdhsa_user_sgpr_private_segment_size 0
		.amdhsa_uses_dynamic_stack 0
		.amdhsa_enable_private_segment 0
		.amdhsa_system_sgpr_workgroup_id_x 1
		.amdhsa_system_sgpr_workgroup_id_y 1
		.amdhsa_system_sgpr_workgroup_id_z 1
		.amdhsa_system_sgpr_workgroup_info 0
		.amdhsa_system_vgpr_workitem_id 1
		.amdhsa_next_free_vgpr 70
		.amdhsa_next_free_sgpr 36
		.amdhsa_accum_offset 72
		.amdhsa_reserve_vcc 1
		.amdhsa_float_round_mode_32 0
		.amdhsa_float_round_mode_16_64 0
		.amdhsa_float_denorm_mode_32 3
		.amdhsa_float_denorm_mode_16_64 3
		.amdhsa_dx10_clamp 1
		.amdhsa_ieee_mode 1
		.amdhsa_fp16_overflow 0
		.amdhsa_tg_split 0
		.amdhsa_exception_fp_ieee_invalid_op 0
		.amdhsa_exception_fp_denorm_src 0
		.amdhsa_exception_fp_ieee_div_zero 0
		.amdhsa_exception_fp_ieee_overflow 0
		.amdhsa_exception_fp_ieee_underflow 0
		.amdhsa_exception_fp_ieee_inexact 0
		.amdhsa_exception_int_div_zero 0
	.end_amdhsa_kernel
	.section	.text._ZN12_GLOBAL__N_127rocblas_gemm_batched_kernelIfLi16ELi16ELi64ELi64ELi4ELi64ELi4ELi4ELi64ELc67ELc67EKPKfS3_KPfEEvlllT_PT11_llS8_llS6_PT12_llPT13_lli,"axG",@progbits,_ZN12_GLOBAL__N_127rocblas_gemm_batched_kernelIfLi16ELi16ELi64ELi64ELi4ELi64ELi4ELi4ELi64ELc67ELc67EKPKfS3_KPfEEvlllT_PT11_llS8_llS6_PT12_llPT13_lli,comdat
.Lfunc_end180:
	.size	_ZN12_GLOBAL__N_127rocblas_gemm_batched_kernelIfLi16ELi16ELi64ELi64ELi4ELi64ELi4ELi4ELi64ELc67ELc67EKPKfS3_KPfEEvlllT_PT11_llS8_llS6_PT12_llPT13_lli, .Lfunc_end180-_ZN12_GLOBAL__N_127rocblas_gemm_batched_kernelIfLi16ELi16ELi64ELi64ELi4ELi64ELi4ELi4ELi64ELc67ELc67EKPKfS3_KPfEEvlllT_PT11_llS8_llS6_PT12_llPT13_lli
                                        ; -- End function
	.set _ZN12_GLOBAL__N_127rocblas_gemm_batched_kernelIfLi16ELi16ELi64ELi64ELi4ELi64ELi4ELi4ELi64ELc67ELc67EKPKfS3_KPfEEvlllT_PT11_llS8_llS6_PT12_llPT13_lli.num_vgpr, 70
	.set _ZN12_GLOBAL__N_127rocblas_gemm_batched_kernelIfLi16ELi16ELi64ELi64ELi4ELi64ELi4ELi4ELi64ELc67ELc67EKPKfS3_KPfEEvlllT_PT11_llS8_llS6_PT12_llPT13_lli.num_agpr, 0
	.set _ZN12_GLOBAL__N_127rocblas_gemm_batched_kernelIfLi16ELi16ELi64ELi64ELi4ELi64ELi4ELi4ELi64ELc67ELc67EKPKfS3_KPfEEvlllT_PT11_llS8_llS6_PT12_llPT13_lli.numbered_sgpr, 36
	.set _ZN12_GLOBAL__N_127rocblas_gemm_batched_kernelIfLi16ELi16ELi64ELi64ELi4ELi64ELi4ELi4ELi64ELc67ELc67EKPKfS3_KPfEEvlllT_PT11_llS8_llS6_PT12_llPT13_lli.num_named_barrier, 0
	.set _ZN12_GLOBAL__N_127rocblas_gemm_batched_kernelIfLi16ELi16ELi64ELi64ELi4ELi64ELi4ELi4ELi64ELc67ELc67EKPKfS3_KPfEEvlllT_PT11_llS8_llS6_PT12_llPT13_lli.private_seg_size, 0
	.set _ZN12_GLOBAL__N_127rocblas_gemm_batched_kernelIfLi16ELi16ELi64ELi64ELi4ELi64ELi4ELi4ELi64ELc67ELc67EKPKfS3_KPfEEvlllT_PT11_llS8_llS6_PT12_llPT13_lli.uses_vcc, 1
	.set _ZN12_GLOBAL__N_127rocblas_gemm_batched_kernelIfLi16ELi16ELi64ELi64ELi4ELi64ELi4ELi4ELi64ELc67ELc67EKPKfS3_KPfEEvlllT_PT11_llS8_llS6_PT12_llPT13_lli.uses_flat_scratch, 0
	.set _ZN12_GLOBAL__N_127rocblas_gemm_batched_kernelIfLi16ELi16ELi64ELi64ELi4ELi64ELi4ELi4ELi64ELc67ELc67EKPKfS3_KPfEEvlllT_PT11_llS8_llS6_PT12_llPT13_lli.has_dyn_sized_stack, 0
	.set _ZN12_GLOBAL__N_127rocblas_gemm_batched_kernelIfLi16ELi16ELi64ELi64ELi4ELi64ELi4ELi4ELi64ELc67ELc67EKPKfS3_KPfEEvlllT_PT11_llS8_llS6_PT12_llPT13_lli.has_recursion, 0
	.set _ZN12_GLOBAL__N_127rocblas_gemm_batched_kernelIfLi16ELi16ELi64ELi64ELi4ELi64ELi4ELi4ELi64ELc67ELc67EKPKfS3_KPfEEvlllT_PT11_llS8_llS6_PT12_llPT13_lli.has_indirect_call, 0
	.section	.AMDGPU.csdata,"",@progbits
; Kernel info:
; codeLenInByte = 2096
; TotalNumSgprs: 42
; NumVgprs: 70
; NumAgprs: 0
; TotalNumVgprs: 70
; ScratchSize: 0
; MemoryBound: 0
; FloatMode: 240
; IeeeMode: 1
; LDSByteSize: 2048 bytes/workgroup (compile time only)
; SGPRBlocks: 5
; VGPRBlocks: 8
; NumSGPRsForWavesPerEU: 42
; NumVGPRsForWavesPerEU: 70
; AccumOffset: 72
; Occupancy: 7
; WaveLimiterHint : 1
; COMPUTE_PGM_RSRC2:SCRATCH_EN: 0
; COMPUTE_PGM_RSRC2:USER_SGPR: 2
; COMPUTE_PGM_RSRC2:TRAP_HANDLER: 0
; COMPUTE_PGM_RSRC2:TGID_X_EN: 1
; COMPUTE_PGM_RSRC2:TGID_Y_EN: 1
; COMPUTE_PGM_RSRC2:TGID_Z_EN: 1
; COMPUTE_PGM_RSRC2:TIDIG_COMP_CNT: 1
; COMPUTE_PGM_RSRC3_GFX90A:ACCUM_OFFSET: 17
; COMPUTE_PGM_RSRC3_GFX90A:TG_SPLIT: 0
	.section	.text._ZN12_GLOBAL__N_127rocblas_gemm_batched_kernelIfLi16ELi16ELi64ELi64ELi4ELi64ELi4ELi4ELi64ELc67ELc78EKPKfS3_KPfEEvlllT_PT11_llS8_llS6_PT12_llPT13_lli,"axG",@progbits,_ZN12_GLOBAL__N_127rocblas_gemm_batched_kernelIfLi16ELi16ELi64ELi64ELi4ELi64ELi4ELi4ELi64ELc67ELc78EKPKfS3_KPfEEvlllT_PT11_llS8_llS6_PT12_llPT13_lli,comdat
	.globl	_ZN12_GLOBAL__N_127rocblas_gemm_batched_kernelIfLi16ELi16ELi64ELi64ELi4ELi64ELi4ELi4ELi64ELc67ELc78EKPKfS3_KPfEEvlllT_PT11_llS8_llS6_PT12_llPT13_lli ; -- Begin function _ZN12_GLOBAL__N_127rocblas_gemm_batched_kernelIfLi16ELi16ELi64ELi64ELi4ELi64ELi4ELi4ELi64ELc67ELc78EKPKfS3_KPfEEvlllT_PT11_llS8_llS6_PT12_llPT13_lli
	.p2align	8
	.type	_ZN12_GLOBAL__N_127rocblas_gemm_batched_kernelIfLi16ELi16ELi64ELi64ELi4ELi64ELi4ELi4ELi64ELc67ELc78EKPKfS3_KPfEEvlllT_PT11_llS8_llS6_PT12_llPT13_lli,@function
_ZN12_GLOBAL__N_127rocblas_gemm_batched_kernelIfLi16ELi16ELi64ELi64ELi4ELi64ELi4ELi4ELi64ELc67ELc78EKPKfS3_KPfEEvlllT_PT11_llS8_llS6_PT12_llPT13_lli: ; @_ZN12_GLOBAL__N_127rocblas_gemm_batched_kernelIfLi16ELi16ELi64ELi64ELi4ELi64ELi4ELi4ELi64ELc67ELc78EKPKfS3_KPfEEvlllT_PT11_llS8_llS6_PT12_llPT13_lli
; %bb.0:
	s_load_dwordx2 s[28:29], s[0:1], 0x10
	s_load_dwordx4 s[24:27], s[0:1], 0x78
	s_load_dwordx8 s[8:15], s[0:1], 0x58
	s_mov_b32 s5, 0
	s_lshl_b64 s[30:31], s[4:5], 3
	s_mov_b32 s16, s3
	v_mov_b32_e32 v11, 0
	s_waitcnt lgkmcnt(0)
	s_add_u32 s4, s8, s30
	s_addc_u32 s5, s9, s31
	s_add_u32 s6, s14, s30
	s_addc_u32 s7, s15, s31
	s_load_dwordx2 s[4:5], s[4:5], 0x0
	s_ashr_i32 s3, s2, 31
	s_load_dwordx2 s[6:7], s[6:7], 0x0
	s_ashr_i32 s17, s16, 31
	v_cmp_lt_i64_e64 s[14:15], s[28:29], 1
	v_bfe_u32 v10, v0, 10, 10
	v_and_b32_e32 v12, 0x3ff, v0
	v_mov_b32_e32 v13, v11
	s_lshl_b64 s[2:3], s[2:3], 6
	s_lshl_b64 s[8:9], s[16:17], 6
	s_and_b64 vcc, exec, s[14:15]
	v_mov_b32_e32 v19, v11
	v_mov_b32_e32 v18, v11
	;; [unrolled: 1-line block ×16, first 2 shown]
	s_cbranch_vccnz .LBB181_3
; %bb.1:
	s_load_dwordx8 s[16:23], s[0:1], 0x20
	s_load_dwordx4 s[36:39], s[0:1], 0x40
	v_lshlrev_b32_e32 v7, 4, v10
	v_add_u32_e32 v6, v7, v12
	v_and_b32_e32 v4, 63, v6
	s_waitcnt lgkmcnt(0)
	s_add_u32 s14, s16, s30
	s_addc_u32 s15, s17, s31
	s_add_u32 s16, s22, s30
	v_lshrrev_b32_e32 v0, 2, v6
	v_and_b32_e32 v8, 3, v12
	v_lshrrev_b32_e32 v9, 6, v6
	v_lshlrev_b32_e32 v6, 2, v4
	s_addc_u32 s17, s23, s31
	v_mov_b32_e32 v1, 0
	v_lshl_or_b32 v26, v9, 8, v6
	v_lshlrev_b32_e32 v6, 2, v8
	s_load_dwordx2 s[16:17], s[16:17], 0x0
	v_lshl_add_u64 v[2:3], v[0:1], 0, s[8:9]
	v_lshl_or_b32 v0, v0, 4, v6
	v_add_u32_e32 v27, 0x400, v0
	v_add_u32_e32 v29, 0x400, v7
	v_mul_lo_u32 v0, s37, v2
	v_mul_lo_u32 v7, s36, v3
	v_mad_u64_u32 v[2:3], s[22:23], s36, v2, 0
	v_add3_u32 v3, v3, v7, v0
	s_lshl_b64 s[22:23], s[38:39], 2
	v_lshl_add_u64 v[2:3], v[2:3], 2, s[22:23]
	v_mov_b32_e32 v7, v1
	v_mov_b32_e32 v5, v1
	v_lshl_add_u64 v[2:3], v[2:3], 0, v[6:7]
	s_load_dwordx2 s[14:15], s[14:15], 0x0
	s_waitcnt lgkmcnt(0)
	v_lshl_add_u64 v[20:21], s[16:17], 0, v[2:3]
	v_lshl_add_u64 v[2:3], s[2:3], 0, v[4:5]
	v_mul_lo_u32 v0, s19, v2
	v_mul_lo_u32 v4, s18, v3
	v_mad_u64_u32 v[2:3], s[16:17], s18, v2, 0
	v_add3_u32 v3, v3, v4, v0
	s_lshl_b64 s[16:17], s[20:21], 2
	v_lshl_add_u64 v[2:3], v[2:3], 2, s[16:17]
	v_lshlrev_b32_e32 v0, 2, v9
	v_lshl_add_u64 v[2:3], v[2:3], 0, v[0:1]
	v_lshlrev_b32_e32 v28, 2, v12
	v_lshl_add_u64 v[22:23], s[14:15], 0, v[2:3]
	s_mov_b64 s[14:15], 0
	v_mov_b64_e32 v[24:25], s[28:29]
	v_mov_b32_e32 v0, v1
	v_mov_b32_e32 v2, v1
	;; [unrolled: 1-line block ×13, first 2 shown]
.LBB181_2:                              ; =>This Inner Loop Header: Depth=1
	flat_load_dword v30, v[22:23]
	s_add_u32 s14, s14, 4
	s_addc_u32 s15, s15, 0
	v_cmp_lt_i64_e32 vcc, s[14:15], v[24:25]
	v_lshl_add_u64 v[22:23], v[22:23], 0, 16
	s_and_b64 vcc, exec, vcc
	s_waitcnt vmcnt(0) lgkmcnt(0)
	ds_write_b32 v26, v30
	flat_load_dword v30, v[20:21]
	v_lshl_add_u64 v[20:21], v[20:21], 0, 16
	s_waitcnt vmcnt(0) lgkmcnt(0)
	ds_write_b32 v27, v30
	s_waitcnt lgkmcnt(0)
	s_barrier
	ds_read2_b32 v[48:49], v28 offset1:16
	ds_read2_b32 v[58:59], v28 offset0:32 offset1:48
	ds_read_b128 v[30:33], v29
	ds_read_b128 v[34:37], v29 offset:256
	ds_read_b128 v[38:41], v29 offset:512
	;; [unrolled: 1-line block ×3, first 2 shown]
	ds_read2_b32 v[50:51], v28 offset0:64 offset1:80
	ds_read2_b32 v[60:61], v28 offset0:96 offset1:112
	;; [unrolled: 1-line block ×6, first 2 shown]
	s_waitcnt lgkmcnt(11)
	v_mov_b32_e32 v46, v49
	v_mov_b32_e32 v47, v48
	s_waitcnt lgkmcnt(10)
	v_mov_b32_e32 v56, v59
	v_mov_b32_e32 v57, v58
	;; [unrolled: 3-line block ×4, first 2 shown]
	v_pk_fma_f32 v[18:19], v[46:47], v[30:31], v[18:19] op_sel_hi:[1,0,1]
	v_pk_fma_f32 v[14:15], v[46:47], v[34:35], v[14:15] op_sel_hi:[1,0,1]
	;; [unrolled: 1-line block ×8, first 2 shown]
	s_waitcnt lgkmcnt(3)
	v_mov_b32_e32 v50, v53
	v_mov_b32_e32 v51, v52
	s_waitcnt lgkmcnt(2)
	v_mov_b32_e32 v60, v63
	v_mov_b32_e32 v61, v62
	v_pk_fma_f32 v[18:19], v[48:49], v[30:31], v[18:19] op_sel:[0,1,0]
	v_pk_fma_f32 v[14:15], v[48:49], v[34:35], v[14:15] op_sel:[0,1,0]
	;; [unrolled: 1-line block ×8, first 2 shown]
	s_waitcnt lgkmcnt(1)
	v_mov_b32_e32 v52, v55
	v_mov_b32_e32 v53, v54
	;; [unrolled: 1-line block ×3, first 2 shown]
	s_waitcnt lgkmcnt(0)
	v_mov_b32_e32 v62, v65
	v_mov_b32_e32 v63, v64
	v_mov_b32_e32 v64, v37
	v_mov_b32_e32 v66, v41
	v_mov_b32_e32 v68, v45
	v_pk_fma_f32 v[18:19], v[50:51], v[32:33], v[18:19] op_sel_hi:[1,0,1]
	v_pk_fma_f32 v[16:17], v[60:61], v[32:33], v[16:17] op_sel_hi:[1,0,1]
	;; [unrolled: 1-line block ×16, first 2 shown]
	s_barrier
	s_cbranch_vccnz .LBB181_2
.LBB181_3:
	s_load_dword s14, s[0:1], 0x18
	s_load_dword s15, s[0:1], 0x50
	s_lshl_b64 s[0:1], s[26:27], 2
	s_waitcnt lgkmcnt(0)
	s_add_u32 s0, s6, s0
	s_addc_u32 s1, s7, s1
	v_lshl_add_u64 v[20:21], s[8:9], 0, v[10:11]
	v_cmp_neq_f32_e64 s[6:7], s15, 0
	v_lshl_add_u64 v[10:11], s[2:3], 0, v[12:13]
	s_and_b64 vcc, exec, s[6:7]
	v_mul_lo_u32 v12, v21, s24
	v_mul_lo_u32 v13, v20, s25
	v_lshlrev_b64 v[10:11], 2, v[10:11]
	s_cbranch_vccnz .LBB181_7
; %bb.4:
	v_mad_u64_u32 v[22:23], s[2:3], v20, s24, 0
	v_add3_u32 v23, v23, v13, v12
	v_lshl_add_u64 v[22:23], v[22:23], 2, s[0:1]
	v_mul_f32_e32 v26, s14, v19
	v_lshl_add_u64 v[24:25], v[22:23], 0, v[10:11]
	flat_store_dword v[24:25], v26
	v_mul_f32_e32 v26, s14, v18
	flat_store_dword v[24:25], v26 offset:64
	v_mul_f32_e32 v26, s14, v17
	s_lshl_b64 s[2:3], s[24:25], 6
	flat_store_dword v[24:25], v26 offset:128
	v_mul_f32_e32 v26, s14, v16
	v_lshl_add_u64 v[22:23], v[22:23], 0, s[2:3]
	flat_store_dword v[24:25], v26 offset:192
	v_mul_f32_e32 v26, s14, v15
	v_lshl_add_u64 v[24:25], v[22:23], 0, v[10:11]
	flat_store_dword v[24:25], v26
	v_mul_f32_e32 v26, s14, v14
	flat_store_dword v[24:25], v26 offset:64
	v_mul_f32_e32 v26, s14, v9
	flat_store_dword v[24:25], v26 offset:128
	v_mul_f32_e32 v26, s14, v8
	v_lshl_add_u64 v[22:23], v[22:23], 0, s[2:3]
	flat_store_dword v[24:25], v26 offset:192
	v_mul_f32_e32 v26, s14, v7
	v_lshl_add_u64 v[24:25], v[22:23], 0, v[10:11]
	flat_store_dword v[24:25], v26
	v_mul_f32_e32 v26, s14, v6
	flat_store_dword v[24:25], v26 offset:64
	v_mul_f32_e32 v26, s14, v5
	;; [unrolled: 10-line block ×3, first 2 shown]
	flat_store_dword v[22:23], v24 offset:128
	v_mul_f32_e32 v24, s14, v0
	flat_store_dword v[22:23], v24 offset:192
	s_cbranch_execnz .LBB181_6
.LBB181_5:
	s_lshl_b64 s[2:3], s[12:13], 2
	s_add_u32 s2, s4, s2
	s_addc_u32 s3, s5, s3
	v_mul_lo_u32 v21, v21, s10
	v_mul_lo_u32 v24, v20, s11
	v_mad_u64_u32 v[22:23], s[4:5], v20, s10, 0
	v_add3_u32 v23, v23, v24, v21
	v_lshl_add_u64 v[22:23], v[22:23], 2, s[2:3]
	v_lshl_add_u64 v[24:25], v[22:23], 0, v[10:11]
	flat_load_dword v26, v[24:25]
	v_mad_u64_u32 v[20:21], s[2:3], v20, s24, 0
	v_add3_u32 v21, v21, v13, v12
	v_lshl_add_u64 v[12:13], v[20:21], 2, s[0:1]
	v_lshl_add_u64 v[20:21], v[12:13], 0, v[10:11]
	s_lshl_b64 s[0:1], s[10:11], 6
	s_lshl_b64 s[2:3], s[24:25], 6
	v_lshl_add_u64 v[12:13], v[12:13], 0, s[2:3]
	s_waitcnt vmcnt(0) lgkmcnt(0)
	v_mul_f32_e32 v26, s15, v26
	v_fmac_f32_e32 v26, s14, v19
	flat_store_dword v[20:21], v26
	flat_load_dword v19, v[24:25] offset:64
	s_waitcnt vmcnt(0) lgkmcnt(0)
	v_mul_f32_e32 v19, s15, v19
	v_fmac_f32_e32 v19, s14, v18
	flat_store_dword v[20:21], v19 offset:64
	flat_load_dword v18, v[24:25] offset:128
	s_waitcnt vmcnt(0) lgkmcnt(0)
	v_mul_f32_e32 v18, s15, v18
	v_fmac_f32_e32 v18, s14, v17
	flat_store_dword v[20:21], v18 offset:128
	flat_load_dword v17, v[24:25] offset:192
	v_lshl_add_u64 v[18:19], v[22:23], 0, s[0:1]
	v_lshl_add_u64 v[22:23], v[18:19], 0, v[10:11]
	s_waitcnt vmcnt(0) lgkmcnt(0)
	v_mul_f32_e32 v17, s15, v17
	v_fmac_f32_e32 v17, s14, v16
	flat_store_dword v[20:21], v17 offset:192
	flat_load_dword v20, v[22:23]
	v_lshl_add_u64 v[16:17], v[12:13], 0, v[10:11]
	s_waitcnt vmcnt(0) lgkmcnt(0)
	v_mul_f32_e32 v20, s15, v20
	v_fmac_f32_e32 v20, s14, v15
	flat_store_dword v[16:17], v20
	flat_load_dword v15, v[22:23] offset:64
	s_waitcnt vmcnt(0) lgkmcnt(0)
	v_mul_f32_e32 v15, s15, v15
	v_fmac_f32_e32 v15, s14, v14
	flat_store_dword v[16:17], v15 offset:64
	flat_load_dword v14, v[22:23] offset:128
	s_waitcnt vmcnt(0) lgkmcnt(0)
	v_mul_f32_e32 v14, s15, v14
	v_fmac_f32_e32 v14, s14, v9
	flat_store_dword v[16:17], v14 offset:128
	flat_load_dword v9, v[22:23] offset:192
	v_lshl_add_u64 v[14:15], v[18:19], 0, s[0:1]
	v_lshl_add_u64 v[18:19], v[14:15], 0, v[10:11]
	s_waitcnt vmcnt(0) lgkmcnt(0)
	v_mul_f32_e32 v9, s15, v9
	v_fmac_f32_e32 v9, s14, v8
	flat_store_dword v[16:17], v9 offset:192
	flat_load_dword v16, v[18:19]
	v_lshl_add_u64 v[8:9], v[12:13], 0, s[2:3]
	v_lshl_add_u64 v[12:13], v[8:9], 0, v[10:11]
	s_waitcnt vmcnt(0) lgkmcnt(0)
	v_mul_f32_e32 v16, s15, v16
	v_fmac_f32_e32 v16, s14, v7
	flat_store_dword v[12:13], v16
	flat_load_dword v7, v[18:19] offset:64
	s_waitcnt vmcnt(0) lgkmcnt(0)
	v_mul_f32_e32 v7, s15, v7
	v_fmac_f32_e32 v7, s14, v6
	flat_store_dword v[12:13], v7 offset:64
	flat_load_dword v6, v[18:19] offset:128
	s_waitcnt vmcnt(0) lgkmcnt(0)
	v_mul_f32_e32 v6, s15, v6
	v_fmac_f32_e32 v6, s14, v5
	flat_store_dword v[12:13], v6 offset:128
	flat_load_dword v5, v[18:19] offset:192
	v_lshl_add_u64 v[6:7], v[14:15], 0, s[0:1]
	v_lshl_add_u64 v[6:7], v[6:7], 0, v[10:11]
	s_waitcnt vmcnt(0) lgkmcnt(0)
	v_mul_f32_e32 v5, s15, v5
	v_fmac_f32_e32 v5, s14, v4
	flat_store_dword v[12:13], v5 offset:192
	flat_load_dword v12, v[6:7]
	v_lshl_add_u64 v[4:5], v[8:9], 0, s[2:3]
	v_lshl_add_u64 v[4:5], v[4:5], 0, v[10:11]
	s_waitcnt vmcnt(0) lgkmcnt(0)
	v_mul_f32_e32 v8, s15, v12
	v_fmac_f32_e32 v8, s14, v3
	flat_store_dword v[4:5], v8
	flat_load_dword v3, v[6:7] offset:64
	s_waitcnt vmcnt(0) lgkmcnt(0)
	v_mul_f32_e32 v3, s15, v3
	v_fmac_f32_e32 v3, s14, v2
	flat_store_dword v[4:5], v3 offset:64
	flat_load_dword v2, v[6:7] offset:128
	s_waitcnt vmcnt(0) lgkmcnt(0)
	v_mul_f32_e32 v2, s15, v2
	v_fmac_f32_e32 v2, s14, v1
	flat_store_dword v[4:5], v2 offset:128
	;; [unrolled: 5-line block ×3, first 2 shown]
.LBB181_6:
	s_endpgm
.LBB181_7:
	s_branch .LBB181_5
	.section	.rodata,"a",@progbits
	.p2align	6, 0x0
	.amdhsa_kernel _ZN12_GLOBAL__N_127rocblas_gemm_batched_kernelIfLi16ELi16ELi64ELi64ELi4ELi64ELi4ELi4ELi64ELc67ELc78EKPKfS3_KPfEEvlllT_PT11_llS8_llS6_PT12_llPT13_lli
		.amdhsa_group_segment_fixed_size 2048
		.amdhsa_private_segment_fixed_size 0
		.amdhsa_kernarg_size 140
		.amdhsa_user_sgpr_count 2
		.amdhsa_user_sgpr_dispatch_ptr 0
		.amdhsa_user_sgpr_queue_ptr 0
		.amdhsa_user_sgpr_kernarg_segment_ptr 1
		.amdhsa_user_sgpr_dispatch_id 0
		.amdhsa_user_sgpr_kernarg_preload_length 0
		.amdhsa_user_sgpr_kernarg_preload_offset 0
		.amdhsa_user_sgpr_private_segment_size 0
		.amdhsa_uses_dynamic_stack 0
		.amdhsa_enable_private_segment 0
		.amdhsa_system_sgpr_workgroup_id_x 1
		.amdhsa_system_sgpr_workgroup_id_y 1
		.amdhsa_system_sgpr_workgroup_id_z 1
		.amdhsa_system_sgpr_workgroup_info 0
		.amdhsa_system_vgpr_workitem_id 1
		.amdhsa_next_free_vgpr 70
		.amdhsa_next_free_sgpr 40
		.amdhsa_accum_offset 72
		.amdhsa_reserve_vcc 1
		.amdhsa_float_round_mode_32 0
		.amdhsa_float_round_mode_16_64 0
		.amdhsa_float_denorm_mode_32 3
		.amdhsa_float_denorm_mode_16_64 3
		.amdhsa_dx10_clamp 1
		.amdhsa_ieee_mode 1
		.amdhsa_fp16_overflow 0
		.amdhsa_tg_split 0
		.amdhsa_exception_fp_ieee_invalid_op 0
		.amdhsa_exception_fp_denorm_src 0
		.amdhsa_exception_fp_ieee_div_zero 0
		.amdhsa_exception_fp_ieee_overflow 0
		.amdhsa_exception_fp_ieee_underflow 0
		.amdhsa_exception_fp_ieee_inexact 0
		.amdhsa_exception_int_div_zero 0
	.end_amdhsa_kernel
	.section	.text._ZN12_GLOBAL__N_127rocblas_gemm_batched_kernelIfLi16ELi16ELi64ELi64ELi4ELi64ELi4ELi4ELi64ELc67ELc78EKPKfS3_KPfEEvlllT_PT11_llS8_llS6_PT12_llPT13_lli,"axG",@progbits,_ZN12_GLOBAL__N_127rocblas_gemm_batched_kernelIfLi16ELi16ELi64ELi64ELi4ELi64ELi4ELi4ELi64ELc67ELc78EKPKfS3_KPfEEvlllT_PT11_llS8_llS6_PT12_llPT13_lli,comdat
.Lfunc_end181:
	.size	_ZN12_GLOBAL__N_127rocblas_gemm_batched_kernelIfLi16ELi16ELi64ELi64ELi4ELi64ELi4ELi4ELi64ELc67ELc78EKPKfS3_KPfEEvlllT_PT11_llS8_llS6_PT12_llPT13_lli, .Lfunc_end181-_ZN12_GLOBAL__N_127rocblas_gemm_batched_kernelIfLi16ELi16ELi64ELi64ELi4ELi64ELi4ELi4ELi64ELc67ELc78EKPKfS3_KPfEEvlllT_PT11_llS8_llS6_PT12_llPT13_lli
                                        ; -- End function
	.set _ZN12_GLOBAL__N_127rocblas_gemm_batched_kernelIfLi16ELi16ELi64ELi64ELi4ELi64ELi4ELi4ELi64ELc67ELc78EKPKfS3_KPfEEvlllT_PT11_llS8_llS6_PT12_llPT13_lli.num_vgpr, 70
	.set _ZN12_GLOBAL__N_127rocblas_gemm_batched_kernelIfLi16ELi16ELi64ELi64ELi4ELi64ELi4ELi4ELi64ELc67ELc78EKPKfS3_KPfEEvlllT_PT11_llS8_llS6_PT12_llPT13_lli.num_agpr, 0
	.set _ZN12_GLOBAL__N_127rocblas_gemm_batched_kernelIfLi16ELi16ELi64ELi64ELi4ELi64ELi4ELi4ELi64ELc67ELc78EKPKfS3_KPfEEvlllT_PT11_llS8_llS6_PT12_llPT13_lli.numbered_sgpr, 40
	.set _ZN12_GLOBAL__N_127rocblas_gemm_batched_kernelIfLi16ELi16ELi64ELi64ELi4ELi64ELi4ELi4ELi64ELc67ELc78EKPKfS3_KPfEEvlllT_PT11_llS8_llS6_PT12_llPT13_lli.num_named_barrier, 0
	.set _ZN12_GLOBAL__N_127rocblas_gemm_batched_kernelIfLi16ELi16ELi64ELi64ELi4ELi64ELi4ELi4ELi64ELc67ELc78EKPKfS3_KPfEEvlllT_PT11_llS8_llS6_PT12_llPT13_lli.private_seg_size, 0
	.set _ZN12_GLOBAL__N_127rocblas_gemm_batched_kernelIfLi16ELi16ELi64ELi64ELi4ELi64ELi4ELi4ELi64ELc67ELc78EKPKfS3_KPfEEvlllT_PT11_llS8_llS6_PT12_llPT13_lli.uses_vcc, 1
	.set _ZN12_GLOBAL__N_127rocblas_gemm_batched_kernelIfLi16ELi16ELi64ELi64ELi4ELi64ELi4ELi4ELi64ELc67ELc78EKPKfS3_KPfEEvlllT_PT11_llS8_llS6_PT12_llPT13_lli.uses_flat_scratch, 0
	.set _ZN12_GLOBAL__N_127rocblas_gemm_batched_kernelIfLi16ELi16ELi64ELi64ELi4ELi64ELi4ELi4ELi64ELc67ELc78EKPKfS3_KPfEEvlllT_PT11_llS8_llS6_PT12_llPT13_lli.has_dyn_sized_stack, 0
	.set _ZN12_GLOBAL__N_127rocblas_gemm_batched_kernelIfLi16ELi16ELi64ELi64ELi4ELi64ELi4ELi4ELi64ELc67ELc78EKPKfS3_KPfEEvlllT_PT11_llS8_llS6_PT12_llPT13_lli.has_recursion, 0
	.set _ZN12_GLOBAL__N_127rocblas_gemm_batched_kernelIfLi16ELi16ELi64ELi64ELi4ELi64ELi4ELi4ELi64ELc67ELc78EKPKfS3_KPfEEvlllT_PT11_llS8_llS6_PT12_llPT13_lli.has_indirect_call, 0
	.section	.AMDGPU.csdata,"",@progbits
; Kernel info:
; codeLenInByte = 2100
; TotalNumSgprs: 46
; NumVgprs: 70
; NumAgprs: 0
; TotalNumVgprs: 70
; ScratchSize: 0
; MemoryBound: 0
; FloatMode: 240
; IeeeMode: 1
; LDSByteSize: 2048 bytes/workgroup (compile time only)
; SGPRBlocks: 5
; VGPRBlocks: 8
; NumSGPRsForWavesPerEU: 46
; NumVGPRsForWavesPerEU: 70
; AccumOffset: 72
; Occupancy: 7
; WaveLimiterHint : 1
; COMPUTE_PGM_RSRC2:SCRATCH_EN: 0
; COMPUTE_PGM_RSRC2:USER_SGPR: 2
; COMPUTE_PGM_RSRC2:TRAP_HANDLER: 0
; COMPUTE_PGM_RSRC2:TGID_X_EN: 1
; COMPUTE_PGM_RSRC2:TGID_Y_EN: 1
; COMPUTE_PGM_RSRC2:TGID_Z_EN: 1
; COMPUTE_PGM_RSRC2:TIDIG_COMP_CNT: 1
; COMPUTE_PGM_RSRC3_GFX90A:ACCUM_OFFSET: 17
; COMPUTE_PGM_RSRC3_GFX90A:TG_SPLIT: 0
	.section	.text._ZN12_GLOBAL__N_127rocblas_gemm_batched_kernelIfLi16ELi16ELi64ELi64ELi4ELi64ELi4ELi4ELi64ELc67ELc84EKPKfS3_KPfEEvlllT_PT11_llS8_llS6_PT12_llPT13_lli,"axG",@progbits,_ZN12_GLOBAL__N_127rocblas_gemm_batched_kernelIfLi16ELi16ELi64ELi64ELi4ELi64ELi4ELi4ELi64ELc67ELc84EKPKfS3_KPfEEvlllT_PT11_llS8_llS6_PT12_llPT13_lli,comdat
	.globl	_ZN12_GLOBAL__N_127rocblas_gemm_batched_kernelIfLi16ELi16ELi64ELi64ELi4ELi64ELi4ELi4ELi64ELc67ELc84EKPKfS3_KPfEEvlllT_PT11_llS8_llS6_PT12_llPT13_lli ; -- Begin function _ZN12_GLOBAL__N_127rocblas_gemm_batched_kernelIfLi16ELi16ELi64ELi64ELi4ELi64ELi4ELi4ELi64ELc67ELc84EKPKfS3_KPfEEvlllT_PT11_llS8_llS6_PT12_llPT13_lli
	.p2align	8
	.type	_ZN12_GLOBAL__N_127rocblas_gemm_batched_kernelIfLi16ELi16ELi64ELi64ELi4ELi64ELi4ELi4ELi64ELc67ELc84EKPKfS3_KPfEEvlllT_PT11_llS8_llS6_PT12_llPT13_lli,@function
_ZN12_GLOBAL__N_127rocblas_gemm_batched_kernelIfLi16ELi16ELi64ELi64ELi4ELi64ELi4ELi4ELi64ELc67ELc84EKPKfS3_KPfEEvlllT_PT11_llS8_llS6_PT12_llPT13_lli: ; @_ZN12_GLOBAL__N_127rocblas_gemm_batched_kernelIfLi16ELi16ELi64ELi64ELi4ELi64ELi4ELi4ELi64ELc67ELc84EKPKfS3_KPfEEvlllT_PT11_llS8_llS6_PT12_llPT13_lli
; %bb.0:
	s_load_dwordx2 s[30:31], s[0:1], 0x10
	s_load_dwordx4 s[24:27], s[0:1], 0x78
	s_load_dwordx8 s[8:15], s[0:1], 0x58
	s_mov_b32 s5, 0
	s_lshl_b64 s[34:35], s[4:5], 3
	s_mov_b32 s6, s3
	v_mov_b32_e32 v11, 0
	s_waitcnt lgkmcnt(0)
	s_add_u32 s4, s8, s34
	s_addc_u32 s5, s9, s35
	s_load_dwordx2 s[8:9], s[4:5], 0x0
	s_add_u32 s4, s14, s34
	s_addc_u32 s5, s15, s35
	s_load_dwordx2 s[14:15], s[4:5], 0x0
	s_ashr_i32 s3, s2, 31
	s_ashr_i32 s7, s6, 31
	v_cmp_lt_i64_e64 s[4:5], s[30:31], 1
	v_bfe_u32 v10, v0, 10, 10
	v_and_b32_e32 v12, 0x3ff, v0
	v_mov_b32_e32 v13, v11
	s_lshl_b64 s[2:3], s[2:3], 6
	s_lshl_b64 s[28:29], s[6:7], 6
	s_and_b64 vcc, exec, s[4:5]
	v_mov_b32_e32 v19, v11
	v_mov_b32_e32 v18, v11
	;; [unrolled: 1-line block ×16, first 2 shown]
	s_cbranch_vccnz .LBB182_3
; %bb.1:
	s_load_dwordx8 s[16:23], s[0:1], 0x20
	s_load_dwordx4 s[4:7], s[0:1], 0x40
	v_lshlrev_b32_e32 v4, 4, v10
	v_add_u32_e32 v5, v4, v12
	v_and_b32_e32 v2, 63, v5
	s_waitcnt lgkmcnt(0)
	s_add_u32 s16, s16, s34
	s_addc_u32 s17, s17, s35
	s_add_u32 s22, s22, s34
	s_addc_u32 s23, s23, s35
	v_lshrrev_b32_e32 v0, 2, v5
	v_and_b32_e32 v6, 3, v12
	v_lshrrev_b32_e32 v8, 6, v5
	v_lshlrev_b32_e32 v5, 2, v2
	s_load_dwordx2 s[22:23], s[22:23], 0x0
	v_lshl_or_b32 v26, v8, 8, v5
	v_lshlrev_b32_e32 v5, 2, v6
	v_mov_b32_e32 v1, 0
	v_lshl_or_b32 v5, v0, 4, v5
	v_add_u32_e32 v27, 0x400, v5
	v_add_u32_e32 v29, 0x400, v4
	v_mad_u64_u32 v[4:5], s[34:35], s4, v6, v[0:1]
	v_mov_b32_e32 v0, v5
	s_lshl_b64 s[6:7], s[6:7], 2
	v_mad_u64_u32 v[6:7], s[34:35], s5, v6, v[0:1]
	v_mov_b32_e32 v3, v1
	v_mov_b32_e32 v5, v6
	s_waitcnt lgkmcnt(0)
	s_add_u32 s6, s22, s6
	s_load_dwordx2 s[16:17], s[16:17], 0x0
	v_lshl_add_u64 v[4:5], v[4:5], 0, s[28:29]
	s_addc_u32 s7, s23, s7
	v_lshl_add_u64 v[2:3], s[2:3], 0, v[2:3]
	v_lshl_add_u64 v[20:21], v[4:5], 2, s[6:7]
	v_mul_lo_u32 v0, s19, v2
	v_mul_lo_u32 v4, s18, v3
	v_mad_u64_u32 v[2:3], s[6:7], s18, v2, 0
	v_add3_u32 v3, v3, v4, v0
	s_lshl_b64 s[6:7], s[20:21], 2
	v_lshl_add_u64 v[2:3], v[2:3], 2, s[6:7]
	v_lshlrev_b32_e32 v0, 2, v8
	v_lshl_add_u64 v[2:3], v[2:3], 0, v[0:1]
	v_lshlrev_b32_e32 v28, 2, v12
	s_lshl_b64 s[4:5], s[4:5], 4
	s_waitcnt lgkmcnt(0)
	v_lshl_add_u64 v[22:23], s[16:17], 0, v[2:3]
	s_mov_b64 s[6:7], 0
	v_mov_b64_e32 v[24:25], s[30:31]
	v_mov_b32_e32 v0, v1
	v_mov_b32_e32 v2, v1
	;; [unrolled: 1-line block ×15, first 2 shown]
.LBB182_2:                              ; =>This Inner Loop Header: Depth=1
	flat_load_dword v30, v[22:23]
	s_add_u32 s6, s6, 4
	s_addc_u32 s7, s7, 0
	v_cmp_lt_i64_e32 vcc, s[6:7], v[24:25]
	v_lshl_add_u64 v[22:23], v[22:23], 0, 16
	s_and_b64 vcc, exec, vcc
	s_waitcnt vmcnt(0) lgkmcnt(0)
	ds_write_b32 v26, v30
	flat_load_dword v30, v[20:21]
	v_lshl_add_u64 v[20:21], v[20:21], 0, s[4:5]
	s_waitcnt vmcnt(0) lgkmcnt(0)
	ds_write_b32 v27, v30
	s_waitcnt lgkmcnt(0)
	s_barrier
	ds_read2_b32 v[48:49], v28 offset1:16
	ds_read2_b32 v[58:59], v28 offset0:32 offset1:48
	ds_read_b128 v[30:33], v29
	ds_read_b128 v[34:37], v29 offset:256
	ds_read_b128 v[38:41], v29 offset:512
	;; [unrolled: 1-line block ×3, first 2 shown]
	ds_read2_b32 v[50:51], v28 offset0:64 offset1:80
	ds_read2_b32 v[60:61], v28 offset0:96 offset1:112
	;; [unrolled: 1-line block ×6, first 2 shown]
	s_waitcnt lgkmcnt(11)
	v_mov_b32_e32 v46, v49
	v_mov_b32_e32 v47, v48
	s_waitcnt lgkmcnt(10)
	v_mov_b32_e32 v56, v59
	v_mov_b32_e32 v57, v58
	;; [unrolled: 3-line block ×4, first 2 shown]
	v_pk_fma_f32 v[18:19], v[46:47], v[30:31], v[18:19] op_sel_hi:[1,0,1]
	v_pk_fma_f32 v[14:15], v[46:47], v[34:35], v[14:15] op_sel_hi:[1,0,1]
	;; [unrolled: 1-line block ×8, first 2 shown]
	s_waitcnt lgkmcnt(3)
	v_mov_b32_e32 v50, v53
	v_mov_b32_e32 v51, v52
	s_waitcnt lgkmcnt(2)
	v_mov_b32_e32 v60, v63
	v_mov_b32_e32 v61, v62
	v_pk_fma_f32 v[18:19], v[48:49], v[30:31], v[18:19] op_sel:[0,1,0]
	v_pk_fma_f32 v[14:15], v[48:49], v[34:35], v[14:15] op_sel:[0,1,0]
	;; [unrolled: 1-line block ×8, first 2 shown]
	s_waitcnt lgkmcnt(1)
	v_mov_b32_e32 v52, v55
	v_mov_b32_e32 v53, v54
	;; [unrolled: 1-line block ×3, first 2 shown]
	s_waitcnt lgkmcnt(0)
	v_mov_b32_e32 v62, v65
	v_mov_b32_e32 v63, v64
	;; [unrolled: 1-line block ×5, first 2 shown]
	v_pk_fma_f32 v[18:19], v[50:51], v[32:33], v[18:19] op_sel_hi:[1,0,1]
	v_pk_fma_f32 v[16:17], v[60:61], v[32:33], v[16:17] op_sel_hi:[1,0,1]
	;; [unrolled: 1-line block ×16, first 2 shown]
	s_barrier
	s_cbranch_vccnz .LBB182_2
.LBB182_3:
	s_load_dword s4, s[0:1], 0x18
	s_load_dword s5, s[0:1], 0x50
	s_lshl_b64 s[0:1], s[26:27], 2
	s_waitcnt lgkmcnt(0)
	s_add_u32 s0, s14, s0
	v_lshl_add_u64 v[20:21], s[28:29], 0, v[10:11]
	v_lshl_add_u64 v[10:11], s[2:3], 0, v[12:13]
	v_cmp_neq_f32_e64 s[6:7], s5, 0
	s_addc_u32 s1, s15, s1
	s_and_b64 vcc, exec, s[6:7]
	v_mul_lo_u32 v12, v21, s24
	v_mul_lo_u32 v13, v20, s25
	v_lshlrev_b64 v[10:11], 2, v[10:11]
	s_cbranch_vccnz .LBB182_7
; %bb.4:
	v_mad_u64_u32 v[22:23], s[2:3], v20, s24, 0
	v_add3_u32 v23, v23, v13, v12
	v_lshl_add_u64 v[22:23], v[22:23], 2, s[0:1]
	v_mul_f32_e32 v26, s4, v19
	v_lshl_add_u64 v[24:25], v[22:23], 0, v[10:11]
	flat_store_dword v[24:25], v26
	v_mul_f32_e32 v26, s4, v18
	flat_store_dword v[24:25], v26 offset:64
	v_mul_f32_e32 v26, s4, v17
	s_lshl_b64 s[2:3], s[24:25], 6
	flat_store_dword v[24:25], v26 offset:128
	v_mul_f32_e32 v26, s4, v16
	v_lshl_add_u64 v[22:23], v[22:23], 0, s[2:3]
	flat_store_dword v[24:25], v26 offset:192
	v_mul_f32_e32 v26, s4, v15
	v_lshl_add_u64 v[24:25], v[22:23], 0, v[10:11]
	flat_store_dword v[24:25], v26
	v_mul_f32_e32 v26, s4, v14
	flat_store_dword v[24:25], v26 offset:64
	v_mul_f32_e32 v26, s4, v9
	flat_store_dword v[24:25], v26 offset:128
	v_mul_f32_e32 v26, s4, v8
	v_lshl_add_u64 v[22:23], v[22:23], 0, s[2:3]
	flat_store_dword v[24:25], v26 offset:192
	v_mul_f32_e32 v26, s4, v7
	v_lshl_add_u64 v[24:25], v[22:23], 0, v[10:11]
	flat_store_dword v[24:25], v26
	v_mul_f32_e32 v26, s4, v6
	flat_store_dword v[24:25], v26 offset:64
	v_mul_f32_e32 v26, s4, v5
	;; [unrolled: 10-line block ×3, first 2 shown]
	flat_store_dword v[22:23], v24 offset:128
	v_mul_f32_e32 v24, s4, v0
	flat_store_dword v[22:23], v24 offset:192
	s_cbranch_execnz .LBB182_6
.LBB182_5:
	s_lshl_b64 s[2:3], s[12:13], 2
	s_add_u32 s2, s8, s2
	v_mul_lo_u32 v21, v21, s10
	v_mul_lo_u32 v24, v20, s11
	v_mad_u64_u32 v[22:23], s[6:7], v20, s10, 0
	s_addc_u32 s3, s9, s3
	v_add3_u32 v23, v23, v24, v21
	v_lshl_add_u64 v[22:23], v[22:23], 2, s[2:3]
	v_lshl_add_u64 v[24:25], v[22:23], 0, v[10:11]
	flat_load_dword v26, v[24:25]
	v_mad_u64_u32 v[20:21], s[2:3], v20, s24, 0
	v_add3_u32 v21, v21, v13, v12
	v_lshl_add_u64 v[12:13], v[20:21], 2, s[0:1]
	v_lshl_add_u64 v[20:21], v[12:13], 0, v[10:11]
	s_lshl_b64 s[0:1], s[10:11], 6
	s_lshl_b64 s[2:3], s[24:25], 6
	v_lshl_add_u64 v[12:13], v[12:13], 0, s[2:3]
	s_waitcnt vmcnt(0) lgkmcnt(0)
	v_mul_f32_e32 v26, s5, v26
	v_fmac_f32_e32 v26, s4, v19
	flat_store_dword v[20:21], v26
	flat_load_dword v19, v[24:25] offset:64
	s_waitcnt vmcnt(0) lgkmcnt(0)
	v_mul_f32_e32 v19, s5, v19
	v_fmac_f32_e32 v19, s4, v18
	flat_store_dword v[20:21], v19 offset:64
	flat_load_dword v18, v[24:25] offset:128
	s_waitcnt vmcnt(0) lgkmcnt(0)
	v_mul_f32_e32 v18, s5, v18
	v_fmac_f32_e32 v18, s4, v17
	flat_store_dword v[20:21], v18 offset:128
	flat_load_dword v17, v[24:25] offset:192
	v_lshl_add_u64 v[18:19], v[22:23], 0, s[0:1]
	v_lshl_add_u64 v[22:23], v[18:19], 0, v[10:11]
	s_waitcnt vmcnt(0) lgkmcnt(0)
	v_mul_f32_e32 v17, s5, v17
	v_fmac_f32_e32 v17, s4, v16
	flat_store_dword v[20:21], v17 offset:192
	flat_load_dword v20, v[22:23]
	v_lshl_add_u64 v[16:17], v[12:13], 0, v[10:11]
	s_waitcnt vmcnt(0) lgkmcnt(0)
	v_mul_f32_e32 v20, s5, v20
	v_fmac_f32_e32 v20, s4, v15
	flat_store_dword v[16:17], v20
	flat_load_dword v15, v[22:23] offset:64
	s_waitcnt vmcnt(0) lgkmcnt(0)
	v_mul_f32_e32 v15, s5, v15
	v_fmac_f32_e32 v15, s4, v14
	flat_store_dword v[16:17], v15 offset:64
	flat_load_dword v14, v[22:23] offset:128
	s_waitcnt vmcnt(0) lgkmcnt(0)
	v_mul_f32_e32 v14, s5, v14
	v_fmac_f32_e32 v14, s4, v9
	flat_store_dword v[16:17], v14 offset:128
	flat_load_dword v9, v[22:23] offset:192
	v_lshl_add_u64 v[14:15], v[18:19], 0, s[0:1]
	v_lshl_add_u64 v[18:19], v[14:15], 0, v[10:11]
	s_waitcnt vmcnt(0) lgkmcnt(0)
	v_mul_f32_e32 v9, s5, v9
	v_fmac_f32_e32 v9, s4, v8
	flat_store_dword v[16:17], v9 offset:192
	flat_load_dword v16, v[18:19]
	v_lshl_add_u64 v[8:9], v[12:13], 0, s[2:3]
	v_lshl_add_u64 v[12:13], v[8:9], 0, v[10:11]
	s_waitcnt vmcnt(0) lgkmcnt(0)
	v_mul_f32_e32 v16, s5, v16
	v_fmac_f32_e32 v16, s4, v7
	flat_store_dword v[12:13], v16
	flat_load_dword v7, v[18:19] offset:64
	s_waitcnt vmcnt(0) lgkmcnt(0)
	v_mul_f32_e32 v7, s5, v7
	v_fmac_f32_e32 v7, s4, v6
	flat_store_dword v[12:13], v7 offset:64
	flat_load_dword v6, v[18:19] offset:128
	s_waitcnt vmcnt(0) lgkmcnt(0)
	v_mul_f32_e32 v6, s5, v6
	v_fmac_f32_e32 v6, s4, v5
	flat_store_dword v[12:13], v6 offset:128
	flat_load_dword v5, v[18:19] offset:192
	v_lshl_add_u64 v[6:7], v[14:15], 0, s[0:1]
	v_lshl_add_u64 v[6:7], v[6:7], 0, v[10:11]
	s_waitcnt vmcnt(0) lgkmcnt(0)
	v_mul_f32_e32 v5, s5, v5
	v_fmac_f32_e32 v5, s4, v4
	flat_store_dword v[12:13], v5 offset:192
	flat_load_dword v12, v[6:7]
	v_lshl_add_u64 v[4:5], v[8:9], 0, s[2:3]
	v_lshl_add_u64 v[4:5], v[4:5], 0, v[10:11]
	s_waitcnt vmcnt(0) lgkmcnt(0)
	v_mul_f32_e32 v8, s5, v12
	v_fmac_f32_e32 v8, s4, v3
	flat_store_dword v[4:5], v8
	flat_load_dword v3, v[6:7] offset:64
	s_waitcnt vmcnt(0) lgkmcnt(0)
	v_mul_f32_e32 v3, s5, v3
	v_fmac_f32_e32 v3, s4, v2
	flat_store_dword v[4:5], v3 offset:64
	flat_load_dword v2, v[6:7] offset:128
	s_waitcnt vmcnt(0) lgkmcnt(0)
	v_mul_f32_e32 v2, s5, v2
	v_fmac_f32_e32 v2, s4, v1
	flat_store_dword v[4:5], v2 offset:128
	;; [unrolled: 5-line block ×3, first 2 shown]
.LBB182_6:
	s_endpgm
.LBB182_7:
	s_branch .LBB182_5
	.section	.rodata,"a",@progbits
	.p2align	6, 0x0
	.amdhsa_kernel _ZN12_GLOBAL__N_127rocblas_gemm_batched_kernelIfLi16ELi16ELi64ELi64ELi4ELi64ELi4ELi4ELi64ELc67ELc84EKPKfS3_KPfEEvlllT_PT11_llS8_llS6_PT12_llPT13_lli
		.amdhsa_group_segment_fixed_size 2048
		.amdhsa_private_segment_fixed_size 0
		.amdhsa_kernarg_size 140
		.amdhsa_user_sgpr_count 2
		.amdhsa_user_sgpr_dispatch_ptr 0
		.amdhsa_user_sgpr_queue_ptr 0
		.amdhsa_user_sgpr_kernarg_segment_ptr 1
		.amdhsa_user_sgpr_dispatch_id 0
		.amdhsa_user_sgpr_kernarg_preload_length 0
		.amdhsa_user_sgpr_kernarg_preload_offset 0
		.amdhsa_user_sgpr_private_segment_size 0
		.amdhsa_uses_dynamic_stack 0
		.amdhsa_enable_private_segment 0
		.amdhsa_system_sgpr_workgroup_id_x 1
		.amdhsa_system_sgpr_workgroup_id_y 1
		.amdhsa_system_sgpr_workgroup_id_z 1
		.amdhsa_system_sgpr_workgroup_info 0
		.amdhsa_system_vgpr_workitem_id 1
		.amdhsa_next_free_vgpr 70
		.amdhsa_next_free_sgpr 36
		.amdhsa_accum_offset 72
		.amdhsa_reserve_vcc 1
		.amdhsa_float_round_mode_32 0
		.amdhsa_float_round_mode_16_64 0
		.amdhsa_float_denorm_mode_32 3
		.amdhsa_float_denorm_mode_16_64 3
		.amdhsa_dx10_clamp 1
		.amdhsa_ieee_mode 1
		.amdhsa_fp16_overflow 0
		.amdhsa_tg_split 0
		.amdhsa_exception_fp_ieee_invalid_op 0
		.amdhsa_exception_fp_denorm_src 0
		.amdhsa_exception_fp_ieee_div_zero 0
		.amdhsa_exception_fp_ieee_overflow 0
		.amdhsa_exception_fp_ieee_underflow 0
		.amdhsa_exception_fp_ieee_inexact 0
		.amdhsa_exception_int_div_zero 0
	.end_amdhsa_kernel
	.section	.text._ZN12_GLOBAL__N_127rocblas_gemm_batched_kernelIfLi16ELi16ELi64ELi64ELi4ELi64ELi4ELi4ELi64ELc67ELc84EKPKfS3_KPfEEvlllT_PT11_llS8_llS6_PT12_llPT13_lli,"axG",@progbits,_ZN12_GLOBAL__N_127rocblas_gemm_batched_kernelIfLi16ELi16ELi64ELi64ELi4ELi64ELi4ELi4ELi64ELc67ELc84EKPKfS3_KPfEEvlllT_PT11_llS8_llS6_PT12_llPT13_lli,comdat
.Lfunc_end182:
	.size	_ZN12_GLOBAL__N_127rocblas_gemm_batched_kernelIfLi16ELi16ELi64ELi64ELi4ELi64ELi4ELi4ELi64ELc67ELc84EKPKfS3_KPfEEvlllT_PT11_llS8_llS6_PT12_llPT13_lli, .Lfunc_end182-_ZN12_GLOBAL__N_127rocblas_gemm_batched_kernelIfLi16ELi16ELi64ELi64ELi4ELi64ELi4ELi4ELi64ELc67ELc84EKPKfS3_KPfEEvlllT_PT11_llS8_llS6_PT12_llPT13_lli
                                        ; -- End function
	.set _ZN12_GLOBAL__N_127rocblas_gemm_batched_kernelIfLi16ELi16ELi64ELi64ELi4ELi64ELi4ELi4ELi64ELc67ELc84EKPKfS3_KPfEEvlllT_PT11_llS8_llS6_PT12_llPT13_lli.num_vgpr, 70
	.set _ZN12_GLOBAL__N_127rocblas_gemm_batched_kernelIfLi16ELi16ELi64ELi64ELi4ELi64ELi4ELi4ELi64ELc67ELc84EKPKfS3_KPfEEvlllT_PT11_llS8_llS6_PT12_llPT13_lli.num_agpr, 0
	.set _ZN12_GLOBAL__N_127rocblas_gemm_batched_kernelIfLi16ELi16ELi64ELi64ELi4ELi64ELi4ELi4ELi64ELc67ELc84EKPKfS3_KPfEEvlllT_PT11_llS8_llS6_PT12_llPT13_lli.numbered_sgpr, 36
	.set _ZN12_GLOBAL__N_127rocblas_gemm_batched_kernelIfLi16ELi16ELi64ELi64ELi4ELi64ELi4ELi4ELi64ELc67ELc84EKPKfS3_KPfEEvlllT_PT11_llS8_llS6_PT12_llPT13_lli.num_named_barrier, 0
	.set _ZN12_GLOBAL__N_127rocblas_gemm_batched_kernelIfLi16ELi16ELi64ELi64ELi4ELi64ELi4ELi4ELi64ELc67ELc84EKPKfS3_KPfEEvlllT_PT11_llS8_llS6_PT12_llPT13_lli.private_seg_size, 0
	.set _ZN12_GLOBAL__N_127rocblas_gemm_batched_kernelIfLi16ELi16ELi64ELi64ELi4ELi64ELi4ELi4ELi64ELc67ELc84EKPKfS3_KPfEEvlllT_PT11_llS8_llS6_PT12_llPT13_lli.uses_vcc, 1
	.set _ZN12_GLOBAL__N_127rocblas_gemm_batched_kernelIfLi16ELi16ELi64ELi64ELi4ELi64ELi4ELi4ELi64ELc67ELc84EKPKfS3_KPfEEvlllT_PT11_llS8_llS6_PT12_llPT13_lli.uses_flat_scratch, 0
	.set _ZN12_GLOBAL__N_127rocblas_gemm_batched_kernelIfLi16ELi16ELi64ELi64ELi4ELi64ELi4ELi4ELi64ELc67ELc84EKPKfS3_KPfEEvlllT_PT11_llS8_llS6_PT12_llPT13_lli.has_dyn_sized_stack, 0
	.set _ZN12_GLOBAL__N_127rocblas_gemm_batched_kernelIfLi16ELi16ELi64ELi64ELi4ELi64ELi4ELi4ELi64ELc67ELc84EKPKfS3_KPfEEvlllT_PT11_llS8_llS6_PT12_llPT13_lli.has_recursion, 0
	.set _ZN12_GLOBAL__N_127rocblas_gemm_batched_kernelIfLi16ELi16ELi64ELi64ELi4ELi64ELi4ELi4ELi64ELc67ELc84EKPKfS3_KPfEEvlllT_PT11_llS8_llS6_PT12_llPT13_lli.has_indirect_call, 0
	.section	.AMDGPU.csdata,"",@progbits
; Kernel info:
; codeLenInByte = 2096
; TotalNumSgprs: 42
; NumVgprs: 70
; NumAgprs: 0
; TotalNumVgprs: 70
; ScratchSize: 0
; MemoryBound: 0
; FloatMode: 240
; IeeeMode: 1
; LDSByteSize: 2048 bytes/workgroup (compile time only)
; SGPRBlocks: 5
; VGPRBlocks: 8
; NumSGPRsForWavesPerEU: 42
; NumVGPRsForWavesPerEU: 70
; AccumOffset: 72
; Occupancy: 7
; WaveLimiterHint : 1
; COMPUTE_PGM_RSRC2:SCRATCH_EN: 0
; COMPUTE_PGM_RSRC2:USER_SGPR: 2
; COMPUTE_PGM_RSRC2:TRAP_HANDLER: 0
; COMPUTE_PGM_RSRC2:TGID_X_EN: 1
; COMPUTE_PGM_RSRC2:TGID_Y_EN: 1
; COMPUTE_PGM_RSRC2:TGID_Z_EN: 1
; COMPUTE_PGM_RSRC2:TIDIG_COMP_CNT: 1
; COMPUTE_PGM_RSRC3_GFX90A:ACCUM_OFFSET: 17
; COMPUTE_PGM_RSRC3_GFX90A:TG_SPLIT: 0
	.section	.text._ZN12_GLOBAL__N_127rocblas_gemm_batched_kernelIfLi16ELi16ELi64ELi64ELi4ELi64ELi4ELi4ELi64ELc78ELc67EKPKfS3_KPfEEvlllT_PT11_llS8_llS6_PT12_llPT13_lli,"axG",@progbits,_ZN12_GLOBAL__N_127rocblas_gemm_batched_kernelIfLi16ELi16ELi64ELi64ELi4ELi64ELi4ELi4ELi64ELc78ELc67EKPKfS3_KPfEEvlllT_PT11_llS8_llS6_PT12_llPT13_lli,comdat
	.globl	_ZN12_GLOBAL__N_127rocblas_gemm_batched_kernelIfLi16ELi16ELi64ELi64ELi4ELi64ELi4ELi4ELi64ELc78ELc67EKPKfS3_KPfEEvlllT_PT11_llS8_llS6_PT12_llPT13_lli ; -- Begin function _ZN12_GLOBAL__N_127rocblas_gemm_batched_kernelIfLi16ELi16ELi64ELi64ELi4ELi64ELi4ELi4ELi64ELc78ELc67EKPKfS3_KPfEEvlllT_PT11_llS8_llS6_PT12_llPT13_lli
	.p2align	8
	.type	_ZN12_GLOBAL__N_127rocblas_gemm_batched_kernelIfLi16ELi16ELi64ELi64ELi4ELi64ELi4ELi4ELi64ELc78ELc67EKPKfS3_KPfEEvlllT_PT11_llS8_llS6_PT12_llPT13_lli,@function
_ZN12_GLOBAL__N_127rocblas_gemm_batched_kernelIfLi16ELi16ELi64ELi64ELi4ELi64ELi4ELi4ELi64ELc78ELc67EKPKfS3_KPfEEvlllT_PT11_llS8_llS6_PT12_llPT13_lli: ; @_ZN12_GLOBAL__N_127rocblas_gemm_batched_kernelIfLi16ELi16ELi64ELi64ELi4ELi64ELi4ELi4ELi64ELc78ELc67EKPKfS3_KPfEEvlllT_PT11_llS8_llS6_PT12_llPT13_lli
; %bb.0:
	s_load_dwordx2 s[30:31], s[0:1], 0x10
	s_load_dwordx4 s[24:27], s[0:1], 0x78
	s_load_dwordx8 s[8:15], s[0:1], 0x58
	s_mov_b32 s5, 0
	s_lshl_b64 s[34:35], s[4:5], 3
	s_mov_b32 s6, s3
	v_mov_b32_e32 v11, 0
	s_waitcnt lgkmcnt(0)
	s_add_u32 s4, s8, s34
	s_addc_u32 s5, s9, s35
	s_load_dwordx2 s[8:9], s[4:5], 0x0
	s_add_u32 s4, s14, s34
	s_addc_u32 s5, s15, s35
	s_load_dwordx2 s[14:15], s[4:5], 0x0
	s_ashr_i32 s3, s2, 31
	s_ashr_i32 s7, s6, 31
	v_cmp_lt_i64_e64 s[4:5], s[30:31], 1
	v_bfe_u32 v10, v0, 10, 10
	v_and_b32_e32 v12, 0x3ff, v0
	v_mov_b32_e32 v13, v11
	s_lshl_b64 s[2:3], s[2:3], 6
	s_lshl_b64 s[28:29], s[6:7], 6
	s_and_b64 vcc, exec, s[4:5]
	v_mov_b32_e32 v19, v11
	v_mov_b32_e32 v18, v11
	;; [unrolled: 1-line block ×16, first 2 shown]
	s_cbranch_vccnz .LBB183_3
; %bb.1:
	s_load_dwordx8 s[16:23], s[0:1], 0x20
	s_load_dwordx4 s[4:7], s[0:1], 0x40
	v_lshlrev_b32_e32 v4, 4, v10
	v_add_u32_e32 v5, v4, v12
	v_and_b32_e32 v2, 63, v5
	s_waitcnt lgkmcnt(0)
	s_add_u32 s16, s16, s34
	s_addc_u32 s17, s17, s35
	s_add_u32 s22, s22, s34
	s_addc_u32 s23, s23, s35
	v_lshrrev_b32_e32 v0, 2, v5
	v_and_b32_e32 v6, 3, v12
	v_lshrrev_b32_e32 v8, 6, v5
	v_lshlrev_b32_e32 v5, 2, v2
	s_load_dwordx2 s[22:23], s[22:23], 0x0
	v_lshl_or_b32 v26, v8, 8, v5
	v_lshlrev_b32_e32 v5, 2, v6
	v_mov_b32_e32 v1, 0
	v_lshl_or_b32 v5, v0, 4, v5
	v_add_u32_e32 v27, 0x400, v5
	v_add_u32_e32 v29, 0x400, v4
	v_mad_u64_u32 v[4:5], s[34:35], s4, v6, v[0:1]
	v_mov_b32_e32 v0, v5
	s_lshl_b64 s[6:7], s[6:7], 2
	v_mad_u64_u32 v[6:7], s[34:35], s5, v6, v[0:1]
	v_mov_b32_e32 v5, v6
	s_waitcnt lgkmcnt(0)
	s_add_u32 s6, s22, s6
	s_load_dwordx2 s[16:17], s[16:17], 0x0
	v_lshl_add_u64 v[4:5], v[4:5], 0, s[28:29]
	s_addc_u32 s7, s23, s7
	v_lshl_add_u64 v[20:21], v[4:5], 2, s[6:7]
	v_mov_b64_e32 v[4:5], s[2:3]
	s_lshl_b64 s[6:7], s[20:21], 2
	v_mad_u64_u32 v[4:5], s[20:21], s18, v8, v[4:5]
	v_mov_b32_e32 v0, v5
	s_lshl_b64 s[4:5], s[4:5], 4
	v_mad_u64_u32 v[6:7], s[20:21], s19, v8, v[0:1]
	v_mov_b32_e32 v3, v1
	v_mov_b32_e32 v5, v6
	s_waitcnt lgkmcnt(0)
	s_add_u32 s6, s16, s6
	v_lshl_add_u64 v[2:3], v[4:5], 0, v[2:3]
	s_addc_u32 s7, s17, s7
	v_lshlrev_b32_e32 v28, 2, v12
	v_lshl_add_u64 v[22:23], v[2:3], 2, s[6:7]
	s_lshl_b64 s[6:7], s[18:19], 4
	s_mov_b64 s[16:17], 0
	v_mov_b64_e32 v[24:25], s[30:31]
	v_mov_b32_e32 v0, v1
	v_mov_b32_e32 v2, v1
	;; [unrolled: 1-line block ×15, first 2 shown]
.LBB183_2:                              ; =>This Inner Loop Header: Depth=1
	flat_load_dword v30, v[22:23]
	s_add_u32 s16, s16, 4
	s_addc_u32 s17, s17, 0
	v_cmp_lt_i64_e32 vcc, s[16:17], v[24:25]
	v_lshl_add_u64 v[22:23], v[22:23], 0, s[6:7]
	s_and_b64 vcc, exec, vcc
	s_waitcnt vmcnt(0) lgkmcnt(0)
	ds_write_b32 v26, v30
	flat_load_dword v30, v[20:21]
	v_lshl_add_u64 v[20:21], v[20:21], 0, s[4:5]
	s_waitcnt vmcnt(0) lgkmcnt(0)
	ds_write_b32 v27, v30
	s_waitcnt lgkmcnt(0)
	s_barrier
	ds_read2_b32 v[48:49], v28 offset1:16
	ds_read2_b32 v[58:59], v28 offset0:32 offset1:48
	ds_read_b128 v[30:33], v29
	ds_read_b128 v[34:37], v29 offset:256
	ds_read_b128 v[38:41], v29 offset:512
	;; [unrolled: 1-line block ×3, first 2 shown]
	ds_read2_b32 v[50:51], v28 offset0:64 offset1:80
	ds_read2_b32 v[60:61], v28 offset0:96 offset1:112
	;; [unrolled: 1-line block ×6, first 2 shown]
	s_waitcnt lgkmcnt(11)
	v_mov_b32_e32 v46, v49
	v_mov_b32_e32 v47, v48
	s_waitcnt lgkmcnt(10)
	v_mov_b32_e32 v56, v59
	v_mov_b32_e32 v57, v58
	;; [unrolled: 3-line block ×4, first 2 shown]
	v_pk_fma_f32 v[18:19], v[46:47], v[30:31], v[18:19] op_sel_hi:[1,0,1]
	v_pk_fma_f32 v[14:15], v[46:47], v[34:35], v[14:15] op_sel_hi:[1,0,1]
	;; [unrolled: 1-line block ×8, first 2 shown]
	s_waitcnt lgkmcnt(3)
	v_mov_b32_e32 v50, v53
	v_mov_b32_e32 v51, v52
	s_waitcnt lgkmcnt(2)
	v_mov_b32_e32 v60, v63
	v_mov_b32_e32 v61, v62
	v_pk_fma_f32 v[18:19], v[48:49], v[30:31], v[18:19] op_sel:[0,1,0]
	v_pk_fma_f32 v[14:15], v[48:49], v[34:35], v[14:15] op_sel:[0,1,0]
	;; [unrolled: 1-line block ×8, first 2 shown]
	s_waitcnt lgkmcnt(1)
	v_mov_b32_e32 v52, v55
	v_mov_b32_e32 v53, v54
	;; [unrolled: 1-line block ×3, first 2 shown]
	s_waitcnt lgkmcnt(0)
	v_mov_b32_e32 v62, v65
	v_mov_b32_e32 v63, v64
	;; [unrolled: 1-line block ×5, first 2 shown]
	v_pk_fma_f32 v[18:19], v[50:51], v[32:33], v[18:19] op_sel_hi:[1,0,1]
	v_pk_fma_f32 v[16:17], v[60:61], v[32:33], v[16:17] op_sel_hi:[1,0,1]
	;; [unrolled: 1-line block ×16, first 2 shown]
	s_barrier
	s_cbranch_vccnz .LBB183_2
.LBB183_3:
	s_load_dword s4, s[0:1], 0x18
	s_load_dword s5, s[0:1], 0x50
	s_lshl_b64 s[0:1], s[26:27], 2
	s_waitcnt lgkmcnt(0)
	s_add_u32 s0, s14, s0
	v_lshl_add_u64 v[20:21], s[28:29], 0, v[10:11]
	v_lshl_add_u64 v[10:11], s[2:3], 0, v[12:13]
	v_cmp_neq_f32_e64 s[6:7], s5, 0
	s_addc_u32 s1, s15, s1
	s_and_b64 vcc, exec, s[6:7]
	v_mul_lo_u32 v12, v21, s24
	v_mul_lo_u32 v13, v20, s25
	v_lshlrev_b64 v[10:11], 2, v[10:11]
	s_cbranch_vccnz .LBB183_7
; %bb.4:
	v_mad_u64_u32 v[22:23], s[2:3], v20, s24, 0
	v_add3_u32 v23, v23, v13, v12
	v_lshl_add_u64 v[22:23], v[22:23], 2, s[0:1]
	v_mul_f32_e32 v26, s4, v19
	v_lshl_add_u64 v[24:25], v[22:23], 0, v[10:11]
	flat_store_dword v[24:25], v26
	v_mul_f32_e32 v26, s4, v18
	flat_store_dword v[24:25], v26 offset:64
	v_mul_f32_e32 v26, s4, v17
	s_lshl_b64 s[2:3], s[24:25], 6
	flat_store_dword v[24:25], v26 offset:128
	v_mul_f32_e32 v26, s4, v16
	v_lshl_add_u64 v[22:23], v[22:23], 0, s[2:3]
	flat_store_dword v[24:25], v26 offset:192
	v_mul_f32_e32 v26, s4, v15
	v_lshl_add_u64 v[24:25], v[22:23], 0, v[10:11]
	flat_store_dword v[24:25], v26
	v_mul_f32_e32 v26, s4, v14
	flat_store_dword v[24:25], v26 offset:64
	v_mul_f32_e32 v26, s4, v9
	flat_store_dword v[24:25], v26 offset:128
	v_mul_f32_e32 v26, s4, v8
	v_lshl_add_u64 v[22:23], v[22:23], 0, s[2:3]
	flat_store_dword v[24:25], v26 offset:192
	v_mul_f32_e32 v26, s4, v7
	v_lshl_add_u64 v[24:25], v[22:23], 0, v[10:11]
	flat_store_dword v[24:25], v26
	v_mul_f32_e32 v26, s4, v6
	flat_store_dword v[24:25], v26 offset:64
	v_mul_f32_e32 v26, s4, v5
	;; [unrolled: 10-line block ×3, first 2 shown]
	flat_store_dword v[22:23], v24 offset:128
	v_mul_f32_e32 v24, s4, v0
	flat_store_dword v[22:23], v24 offset:192
	s_cbranch_execnz .LBB183_6
.LBB183_5:
	s_lshl_b64 s[2:3], s[12:13], 2
	s_add_u32 s2, s8, s2
	v_mul_lo_u32 v21, v21, s10
	v_mul_lo_u32 v24, v20, s11
	v_mad_u64_u32 v[22:23], s[6:7], v20, s10, 0
	s_addc_u32 s3, s9, s3
	v_add3_u32 v23, v23, v24, v21
	v_lshl_add_u64 v[22:23], v[22:23], 2, s[2:3]
	v_lshl_add_u64 v[24:25], v[22:23], 0, v[10:11]
	flat_load_dword v26, v[24:25]
	v_mad_u64_u32 v[20:21], s[2:3], v20, s24, 0
	v_add3_u32 v21, v21, v13, v12
	v_lshl_add_u64 v[12:13], v[20:21], 2, s[0:1]
	v_lshl_add_u64 v[20:21], v[12:13], 0, v[10:11]
	s_lshl_b64 s[0:1], s[10:11], 6
	s_lshl_b64 s[2:3], s[24:25], 6
	v_lshl_add_u64 v[12:13], v[12:13], 0, s[2:3]
	s_waitcnt vmcnt(0) lgkmcnt(0)
	v_mul_f32_e32 v26, s5, v26
	v_fmac_f32_e32 v26, s4, v19
	flat_store_dword v[20:21], v26
	flat_load_dword v19, v[24:25] offset:64
	s_waitcnt vmcnt(0) lgkmcnt(0)
	v_mul_f32_e32 v19, s5, v19
	v_fmac_f32_e32 v19, s4, v18
	flat_store_dword v[20:21], v19 offset:64
	flat_load_dword v18, v[24:25] offset:128
	s_waitcnt vmcnt(0) lgkmcnt(0)
	v_mul_f32_e32 v18, s5, v18
	v_fmac_f32_e32 v18, s4, v17
	flat_store_dword v[20:21], v18 offset:128
	flat_load_dword v17, v[24:25] offset:192
	v_lshl_add_u64 v[18:19], v[22:23], 0, s[0:1]
	v_lshl_add_u64 v[22:23], v[18:19], 0, v[10:11]
	s_waitcnt vmcnt(0) lgkmcnt(0)
	v_mul_f32_e32 v17, s5, v17
	v_fmac_f32_e32 v17, s4, v16
	flat_store_dword v[20:21], v17 offset:192
	flat_load_dword v20, v[22:23]
	v_lshl_add_u64 v[16:17], v[12:13], 0, v[10:11]
	s_waitcnt vmcnt(0) lgkmcnt(0)
	v_mul_f32_e32 v20, s5, v20
	v_fmac_f32_e32 v20, s4, v15
	flat_store_dword v[16:17], v20
	flat_load_dword v15, v[22:23] offset:64
	s_waitcnt vmcnt(0) lgkmcnt(0)
	v_mul_f32_e32 v15, s5, v15
	v_fmac_f32_e32 v15, s4, v14
	flat_store_dword v[16:17], v15 offset:64
	flat_load_dword v14, v[22:23] offset:128
	s_waitcnt vmcnt(0) lgkmcnt(0)
	v_mul_f32_e32 v14, s5, v14
	v_fmac_f32_e32 v14, s4, v9
	flat_store_dword v[16:17], v14 offset:128
	flat_load_dword v9, v[22:23] offset:192
	v_lshl_add_u64 v[14:15], v[18:19], 0, s[0:1]
	v_lshl_add_u64 v[18:19], v[14:15], 0, v[10:11]
	s_waitcnt vmcnt(0) lgkmcnt(0)
	v_mul_f32_e32 v9, s5, v9
	v_fmac_f32_e32 v9, s4, v8
	flat_store_dword v[16:17], v9 offset:192
	flat_load_dword v16, v[18:19]
	v_lshl_add_u64 v[8:9], v[12:13], 0, s[2:3]
	v_lshl_add_u64 v[12:13], v[8:9], 0, v[10:11]
	s_waitcnt vmcnt(0) lgkmcnt(0)
	v_mul_f32_e32 v16, s5, v16
	v_fmac_f32_e32 v16, s4, v7
	flat_store_dword v[12:13], v16
	flat_load_dword v7, v[18:19] offset:64
	s_waitcnt vmcnt(0) lgkmcnt(0)
	v_mul_f32_e32 v7, s5, v7
	v_fmac_f32_e32 v7, s4, v6
	flat_store_dword v[12:13], v7 offset:64
	flat_load_dword v6, v[18:19] offset:128
	s_waitcnt vmcnt(0) lgkmcnt(0)
	v_mul_f32_e32 v6, s5, v6
	v_fmac_f32_e32 v6, s4, v5
	flat_store_dword v[12:13], v6 offset:128
	flat_load_dword v5, v[18:19] offset:192
	v_lshl_add_u64 v[6:7], v[14:15], 0, s[0:1]
	v_lshl_add_u64 v[6:7], v[6:7], 0, v[10:11]
	s_waitcnt vmcnt(0) lgkmcnt(0)
	v_mul_f32_e32 v5, s5, v5
	v_fmac_f32_e32 v5, s4, v4
	flat_store_dword v[12:13], v5 offset:192
	flat_load_dword v12, v[6:7]
	v_lshl_add_u64 v[4:5], v[8:9], 0, s[2:3]
	v_lshl_add_u64 v[4:5], v[4:5], 0, v[10:11]
	s_waitcnt vmcnt(0) lgkmcnt(0)
	v_mul_f32_e32 v8, s5, v12
	v_fmac_f32_e32 v8, s4, v3
	flat_store_dword v[4:5], v8
	flat_load_dword v3, v[6:7] offset:64
	s_waitcnt vmcnt(0) lgkmcnt(0)
	v_mul_f32_e32 v3, s5, v3
	v_fmac_f32_e32 v3, s4, v2
	flat_store_dword v[4:5], v3 offset:64
	flat_load_dword v2, v[6:7] offset:128
	s_waitcnt vmcnt(0) lgkmcnt(0)
	v_mul_f32_e32 v2, s5, v2
	v_fmac_f32_e32 v2, s4, v1
	flat_store_dword v[4:5], v2 offset:128
	;; [unrolled: 5-line block ×3, first 2 shown]
.LBB183_6:
	s_endpgm
.LBB183_7:
	s_branch .LBB183_5
	.section	.rodata,"a",@progbits
	.p2align	6, 0x0
	.amdhsa_kernel _ZN12_GLOBAL__N_127rocblas_gemm_batched_kernelIfLi16ELi16ELi64ELi64ELi4ELi64ELi4ELi4ELi64ELc78ELc67EKPKfS3_KPfEEvlllT_PT11_llS8_llS6_PT12_llPT13_lli
		.amdhsa_group_segment_fixed_size 2048
		.amdhsa_private_segment_fixed_size 0
		.amdhsa_kernarg_size 140
		.amdhsa_user_sgpr_count 2
		.amdhsa_user_sgpr_dispatch_ptr 0
		.amdhsa_user_sgpr_queue_ptr 0
		.amdhsa_user_sgpr_kernarg_segment_ptr 1
		.amdhsa_user_sgpr_dispatch_id 0
		.amdhsa_user_sgpr_kernarg_preload_length 0
		.amdhsa_user_sgpr_kernarg_preload_offset 0
		.amdhsa_user_sgpr_private_segment_size 0
		.amdhsa_uses_dynamic_stack 0
		.amdhsa_enable_private_segment 0
		.amdhsa_system_sgpr_workgroup_id_x 1
		.amdhsa_system_sgpr_workgroup_id_y 1
		.amdhsa_system_sgpr_workgroup_id_z 1
		.amdhsa_system_sgpr_workgroup_info 0
		.amdhsa_system_vgpr_workitem_id 1
		.amdhsa_next_free_vgpr 70
		.amdhsa_next_free_sgpr 36
		.amdhsa_accum_offset 72
		.amdhsa_reserve_vcc 1
		.amdhsa_float_round_mode_32 0
		.amdhsa_float_round_mode_16_64 0
		.amdhsa_float_denorm_mode_32 3
		.amdhsa_float_denorm_mode_16_64 3
		.amdhsa_dx10_clamp 1
		.amdhsa_ieee_mode 1
		.amdhsa_fp16_overflow 0
		.amdhsa_tg_split 0
		.amdhsa_exception_fp_ieee_invalid_op 0
		.amdhsa_exception_fp_denorm_src 0
		.amdhsa_exception_fp_ieee_div_zero 0
		.amdhsa_exception_fp_ieee_overflow 0
		.amdhsa_exception_fp_ieee_underflow 0
		.amdhsa_exception_fp_ieee_inexact 0
		.amdhsa_exception_int_div_zero 0
	.end_amdhsa_kernel
	.section	.text._ZN12_GLOBAL__N_127rocblas_gemm_batched_kernelIfLi16ELi16ELi64ELi64ELi4ELi64ELi4ELi4ELi64ELc78ELc67EKPKfS3_KPfEEvlllT_PT11_llS8_llS6_PT12_llPT13_lli,"axG",@progbits,_ZN12_GLOBAL__N_127rocblas_gemm_batched_kernelIfLi16ELi16ELi64ELi64ELi4ELi64ELi4ELi4ELi64ELc78ELc67EKPKfS3_KPfEEvlllT_PT11_llS8_llS6_PT12_llPT13_lli,comdat
.Lfunc_end183:
	.size	_ZN12_GLOBAL__N_127rocblas_gemm_batched_kernelIfLi16ELi16ELi64ELi64ELi4ELi64ELi4ELi4ELi64ELc78ELc67EKPKfS3_KPfEEvlllT_PT11_llS8_llS6_PT12_llPT13_lli, .Lfunc_end183-_ZN12_GLOBAL__N_127rocblas_gemm_batched_kernelIfLi16ELi16ELi64ELi64ELi4ELi64ELi4ELi4ELi64ELc78ELc67EKPKfS3_KPfEEvlllT_PT11_llS8_llS6_PT12_llPT13_lli
                                        ; -- End function
	.set _ZN12_GLOBAL__N_127rocblas_gemm_batched_kernelIfLi16ELi16ELi64ELi64ELi4ELi64ELi4ELi4ELi64ELc78ELc67EKPKfS3_KPfEEvlllT_PT11_llS8_llS6_PT12_llPT13_lli.num_vgpr, 70
	.set _ZN12_GLOBAL__N_127rocblas_gemm_batched_kernelIfLi16ELi16ELi64ELi64ELi4ELi64ELi4ELi4ELi64ELc78ELc67EKPKfS3_KPfEEvlllT_PT11_llS8_llS6_PT12_llPT13_lli.num_agpr, 0
	.set _ZN12_GLOBAL__N_127rocblas_gemm_batched_kernelIfLi16ELi16ELi64ELi64ELi4ELi64ELi4ELi4ELi64ELc78ELc67EKPKfS3_KPfEEvlllT_PT11_llS8_llS6_PT12_llPT13_lli.numbered_sgpr, 36
	.set _ZN12_GLOBAL__N_127rocblas_gemm_batched_kernelIfLi16ELi16ELi64ELi64ELi4ELi64ELi4ELi4ELi64ELc78ELc67EKPKfS3_KPfEEvlllT_PT11_llS8_llS6_PT12_llPT13_lli.num_named_barrier, 0
	.set _ZN12_GLOBAL__N_127rocblas_gemm_batched_kernelIfLi16ELi16ELi64ELi64ELi4ELi64ELi4ELi4ELi64ELc78ELc67EKPKfS3_KPfEEvlllT_PT11_llS8_llS6_PT12_llPT13_lli.private_seg_size, 0
	.set _ZN12_GLOBAL__N_127rocblas_gemm_batched_kernelIfLi16ELi16ELi64ELi64ELi4ELi64ELi4ELi4ELi64ELc78ELc67EKPKfS3_KPfEEvlllT_PT11_llS8_llS6_PT12_llPT13_lli.uses_vcc, 1
	.set _ZN12_GLOBAL__N_127rocblas_gemm_batched_kernelIfLi16ELi16ELi64ELi64ELi4ELi64ELi4ELi4ELi64ELc78ELc67EKPKfS3_KPfEEvlllT_PT11_llS8_llS6_PT12_llPT13_lli.uses_flat_scratch, 0
	.set _ZN12_GLOBAL__N_127rocblas_gemm_batched_kernelIfLi16ELi16ELi64ELi64ELi4ELi64ELi4ELi4ELi64ELc78ELc67EKPKfS3_KPfEEvlllT_PT11_llS8_llS6_PT12_llPT13_lli.has_dyn_sized_stack, 0
	.set _ZN12_GLOBAL__N_127rocblas_gemm_batched_kernelIfLi16ELi16ELi64ELi64ELi4ELi64ELi4ELi4ELi64ELc78ELc67EKPKfS3_KPfEEvlllT_PT11_llS8_llS6_PT12_llPT13_lli.has_recursion, 0
	.set _ZN12_GLOBAL__N_127rocblas_gemm_batched_kernelIfLi16ELi16ELi64ELi64ELi4ELi64ELi4ELi4ELi64ELc78ELc67EKPKfS3_KPfEEvlllT_PT11_llS8_llS6_PT12_llPT13_lli.has_indirect_call, 0
	.section	.AMDGPU.csdata,"",@progbits
; Kernel info:
; codeLenInByte = 2084
; TotalNumSgprs: 42
; NumVgprs: 70
; NumAgprs: 0
; TotalNumVgprs: 70
; ScratchSize: 0
; MemoryBound: 0
; FloatMode: 240
; IeeeMode: 1
; LDSByteSize: 2048 bytes/workgroup (compile time only)
; SGPRBlocks: 5
; VGPRBlocks: 8
; NumSGPRsForWavesPerEU: 42
; NumVGPRsForWavesPerEU: 70
; AccumOffset: 72
; Occupancy: 7
; WaveLimiterHint : 1
; COMPUTE_PGM_RSRC2:SCRATCH_EN: 0
; COMPUTE_PGM_RSRC2:USER_SGPR: 2
; COMPUTE_PGM_RSRC2:TRAP_HANDLER: 0
; COMPUTE_PGM_RSRC2:TGID_X_EN: 1
; COMPUTE_PGM_RSRC2:TGID_Y_EN: 1
; COMPUTE_PGM_RSRC2:TGID_Z_EN: 1
; COMPUTE_PGM_RSRC2:TIDIG_COMP_CNT: 1
; COMPUTE_PGM_RSRC3_GFX90A:ACCUM_OFFSET: 17
; COMPUTE_PGM_RSRC3_GFX90A:TG_SPLIT: 0
	.section	.text._ZN12_GLOBAL__N_127rocblas_gemm_batched_kernelIfLi16ELi16ELi64ELi64ELi4ELi64ELi4ELi4ELi64ELc84ELc67EKPKfS3_KPfEEvlllT_PT11_llS8_llS6_PT12_llPT13_lli,"axG",@progbits,_ZN12_GLOBAL__N_127rocblas_gemm_batched_kernelIfLi16ELi16ELi64ELi64ELi4ELi64ELi4ELi4ELi64ELc84ELc67EKPKfS3_KPfEEvlllT_PT11_llS8_llS6_PT12_llPT13_lli,comdat
	.globl	_ZN12_GLOBAL__N_127rocblas_gemm_batched_kernelIfLi16ELi16ELi64ELi64ELi4ELi64ELi4ELi4ELi64ELc84ELc67EKPKfS3_KPfEEvlllT_PT11_llS8_llS6_PT12_llPT13_lli ; -- Begin function _ZN12_GLOBAL__N_127rocblas_gemm_batched_kernelIfLi16ELi16ELi64ELi64ELi4ELi64ELi4ELi4ELi64ELc84ELc67EKPKfS3_KPfEEvlllT_PT11_llS8_llS6_PT12_llPT13_lli
	.p2align	8
	.type	_ZN12_GLOBAL__N_127rocblas_gemm_batched_kernelIfLi16ELi16ELi64ELi64ELi4ELi64ELi4ELi4ELi64ELc84ELc67EKPKfS3_KPfEEvlllT_PT11_llS8_llS6_PT12_llPT13_lli,@function
_ZN12_GLOBAL__N_127rocblas_gemm_batched_kernelIfLi16ELi16ELi64ELi64ELi4ELi64ELi4ELi4ELi64ELc84ELc67EKPKfS3_KPfEEvlllT_PT11_llS8_llS6_PT12_llPT13_lli: ; @_ZN12_GLOBAL__N_127rocblas_gemm_batched_kernelIfLi16ELi16ELi64ELi64ELi4ELi64ELi4ELi4ELi64ELc84ELc67EKPKfS3_KPfEEvlllT_PT11_llS8_llS6_PT12_llPT13_lli
; %bb.0:
	s_load_dwordx2 s[30:31], s[0:1], 0x10
	s_load_dwordx4 s[24:27], s[0:1], 0x78
	s_load_dwordx8 s[8:15], s[0:1], 0x58
	s_mov_b32 s5, 0
	s_lshl_b64 s[34:35], s[4:5], 3
	s_mov_b32 s6, s3
	v_mov_b32_e32 v11, 0
	s_waitcnt lgkmcnt(0)
	s_add_u32 s4, s8, s34
	s_addc_u32 s5, s9, s35
	s_load_dwordx2 s[8:9], s[4:5], 0x0
	s_add_u32 s4, s14, s34
	s_addc_u32 s5, s15, s35
	s_load_dwordx2 s[14:15], s[4:5], 0x0
	s_ashr_i32 s3, s2, 31
	s_ashr_i32 s7, s6, 31
	v_cmp_lt_i64_e64 s[4:5], s[30:31], 1
	v_bfe_u32 v10, v0, 10, 10
	v_and_b32_e32 v12, 0x3ff, v0
	v_mov_b32_e32 v13, v11
	s_lshl_b64 s[2:3], s[2:3], 6
	s_lshl_b64 s[28:29], s[6:7], 6
	s_and_b64 vcc, exec, s[4:5]
	v_mov_b32_e32 v19, v11
	v_mov_b32_e32 v18, v11
	v_mov_b32_e32 v17, v11
	v_mov_b32_e32 v16, v11
	v_mov_b32_e32 v15, v11
	v_mov_b32_e32 v14, v11
	v_mov_b32_e32 v9, v11
	v_mov_b32_e32 v8, v11
	v_mov_b32_e32 v7, v11
	v_mov_b32_e32 v6, v11
	v_mov_b32_e32 v5, v11
	v_mov_b32_e32 v4, v11
	v_mov_b32_e32 v3, v11
	v_mov_b32_e32 v2, v11
	v_mov_b32_e32 v1, v11
	v_mov_b32_e32 v0, v11
	s_cbranch_vccnz .LBB184_3
; %bb.1:
	s_load_dwordx8 s[16:23], s[0:1], 0x20
	s_load_dwordx4 s[4:7], s[0:1], 0x40
	v_lshlrev_b32_e32 v4, 4, v10
	v_add_u32_e32 v5, v4, v12
	v_and_b32_e32 v2, 63, v5
	s_waitcnt lgkmcnt(0)
	s_add_u32 s16, s16, s34
	s_addc_u32 s17, s17, s35
	s_add_u32 s22, s22, s34
	s_addc_u32 s23, s23, s35
	v_lshrrev_b32_e32 v0, 2, v5
	v_and_b32_e32 v6, 3, v12
	v_lshrrev_b32_e32 v8, 6, v5
	v_lshlrev_b32_e32 v5, 2, v2
	s_load_dwordx2 s[22:23], s[22:23], 0x0
	v_lshl_or_b32 v26, v8, 8, v5
	v_lshlrev_b32_e32 v5, 2, v6
	v_mov_b32_e32 v1, 0
	v_lshl_or_b32 v5, v0, 4, v5
	v_add_u32_e32 v27, 0x400, v5
	v_add_u32_e32 v29, 0x400, v4
	v_mad_u64_u32 v[4:5], s[34:35], s4, v6, v[0:1]
	v_mov_b32_e32 v0, v5
	s_lshl_b64 s[6:7], s[6:7], 2
	v_mad_u64_u32 v[6:7], s[34:35], s5, v6, v[0:1]
	v_mov_b32_e32 v3, v1
	v_mov_b32_e32 v5, v6
	s_waitcnt lgkmcnt(0)
	s_add_u32 s6, s22, s6
	s_load_dwordx2 s[16:17], s[16:17], 0x0
	v_lshl_add_u64 v[4:5], v[4:5], 0, s[28:29]
	s_addc_u32 s7, s23, s7
	v_lshl_add_u64 v[2:3], s[2:3], 0, v[2:3]
	v_lshl_add_u64 v[20:21], v[4:5], 2, s[6:7]
	v_mul_lo_u32 v0, s19, v2
	v_mul_lo_u32 v4, s18, v3
	v_mad_u64_u32 v[2:3], s[6:7], s18, v2, 0
	v_add3_u32 v3, v3, v4, v0
	s_lshl_b64 s[6:7], s[20:21], 2
	v_lshl_add_u64 v[2:3], v[2:3], 2, s[6:7]
	v_lshlrev_b32_e32 v0, 2, v8
	v_lshl_add_u64 v[2:3], v[2:3], 0, v[0:1]
	v_lshlrev_b32_e32 v28, 2, v12
	s_lshl_b64 s[4:5], s[4:5], 4
	s_waitcnt lgkmcnt(0)
	v_lshl_add_u64 v[22:23], s[16:17], 0, v[2:3]
	s_mov_b64 s[6:7], 0
	v_mov_b64_e32 v[24:25], s[30:31]
	v_mov_b32_e32 v0, v1
	v_mov_b32_e32 v2, v1
	;; [unrolled: 1-line block ×15, first 2 shown]
.LBB184_2:                              ; =>This Inner Loop Header: Depth=1
	flat_load_dword v30, v[22:23]
	s_add_u32 s6, s6, 4
	s_addc_u32 s7, s7, 0
	v_cmp_lt_i64_e32 vcc, s[6:7], v[24:25]
	v_lshl_add_u64 v[22:23], v[22:23], 0, 16
	s_and_b64 vcc, exec, vcc
	s_waitcnt vmcnt(0) lgkmcnt(0)
	ds_write_b32 v26, v30
	flat_load_dword v30, v[20:21]
	v_lshl_add_u64 v[20:21], v[20:21], 0, s[4:5]
	s_waitcnt vmcnt(0) lgkmcnt(0)
	ds_write_b32 v27, v30
	s_waitcnt lgkmcnt(0)
	s_barrier
	ds_read2_b32 v[48:49], v28 offset1:16
	ds_read2_b32 v[58:59], v28 offset0:32 offset1:48
	ds_read_b128 v[30:33], v29
	ds_read_b128 v[34:37], v29 offset:256
	ds_read_b128 v[38:41], v29 offset:512
	ds_read_b128 v[42:45], v29 offset:768
	ds_read2_b32 v[50:51], v28 offset0:64 offset1:80
	ds_read2_b32 v[60:61], v28 offset0:96 offset1:112
	;; [unrolled: 1-line block ×6, first 2 shown]
	s_waitcnt lgkmcnt(11)
	v_mov_b32_e32 v46, v49
	v_mov_b32_e32 v47, v48
	s_waitcnt lgkmcnt(10)
	v_mov_b32_e32 v56, v59
	v_mov_b32_e32 v57, v58
	;; [unrolled: 3-line block ×4, first 2 shown]
	v_pk_fma_f32 v[18:19], v[46:47], v[30:31], v[18:19] op_sel_hi:[1,0,1]
	v_pk_fma_f32 v[14:15], v[46:47], v[34:35], v[14:15] op_sel_hi:[1,0,1]
	;; [unrolled: 1-line block ×8, first 2 shown]
	s_waitcnt lgkmcnt(3)
	v_mov_b32_e32 v50, v53
	v_mov_b32_e32 v51, v52
	s_waitcnt lgkmcnt(2)
	v_mov_b32_e32 v60, v63
	v_mov_b32_e32 v61, v62
	v_pk_fma_f32 v[18:19], v[48:49], v[30:31], v[18:19] op_sel:[0,1,0]
	v_pk_fma_f32 v[14:15], v[48:49], v[34:35], v[14:15] op_sel:[0,1,0]
	;; [unrolled: 1-line block ×8, first 2 shown]
	s_waitcnt lgkmcnt(1)
	v_mov_b32_e32 v52, v55
	v_mov_b32_e32 v53, v54
	;; [unrolled: 1-line block ×3, first 2 shown]
	s_waitcnt lgkmcnt(0)
	v_mov_b32_e32 v62, v65
	v_mov_b32_e32 v63, v64
	;; [unrolled: 1-line block ×5, first 2 shown]
	v_pk_fma_f32 v[18:19], v[50:51], v[32:33], v[18:19] op_sel_hi:[1,0,1]
	v_pk_fma_f32 v[16:17], v[60:61], v[32:33], v[16:17] op_sel_hi:[1,0,1]
	;; [unrolled: 1-line block ×16, first 2 shown]
	s_barrier
	s_cbranch_vccnz .LBB184_2
.LBB184_3:
	s_load_dword s4, s[0:1], 0x18
	s_load_dword s5, s[0:1], 0x50
	s_lshl_b64 s[0:1], s[26:27], 2
	s_waitcnt lgkmcnt(0)
	s_add_u32 s0, s14, s0
	v_lshl_add_u64 v[20:21], s[28:29], 0, v[10:11]
	v_lshl_add_u64 v[10:11], s[2:3], 0, v[12:13]
	v_cmp_neq_f32_e64 s[6:7], s5, 0
	s_addc_u32 s1, s15, s1
	s_and_b64 vcc, exec, s[6:7]
	v_mul_lo_u32 v12, v21, s24
	v_mul_lo_u32 v13, v20, s25
	v_lshlrev_b64 v[10:11], 2, v[10:11]
	s_cbranch_vccnz .LBB184_7
; %bb.4:
	v_mad_u64_u32 v[22:23], s[2:3], v20, s24, 0
	v_add3_u32 v23, v23, v13, v12
	v_lshl_add_u64 v[22:23], v[22:23], 2, s[0:1]
	v_mul_f32_e32 v26, s4, v19
	v_lshl_add_u64 v[24:25], v[22:23], 0, v[10:11]
	flat_store_dword v[24:25], v26
	v_mul_f32_e32 v26, s4, v18
	flat_store_dword v[24:25], v26 offset:64
	v_mul_f32_e32 v26, s4, v17
	s_lshl_b64 s[2:3], s[24:25], 6
	flat_store_dword v[24:25], v26 offset:128
	v_mul_f32_e32 v26, s4, v16
	v_lshl_add_u64 v[22:23], v[22:23], 0, s[2:3]
	flat_store_dword v[24:25], v26 offset:192
	v_mul_f32_e32 v26, s4, v15
	v_lshl_add_u64 v[24:25], v[22:23], 0, v[10:11]
	flat_store_dword v[24:25], v26
	v_mul_f32_e32 v26, s4, v14
	flat_store_dword v[24:25], v26 offset:64
	v_mul_f32_e32 v26, s4, v9
	flat_store_dword v[24:25], v26 offset:128
	v_mul_f32_e32 v26, s4, v8
	v_lshl_add_u64 v[22:23], v[22:23], 0, s[2:3]
	flat_store_dword v[24:25], v26 offset:192
	v_mul_f32_e32 v26, s4, v7
	v_lshl_add_u64 v[24:25], v[22:23], 0, v[10:11]
	flat_store_dword v[24:25], v26
	v_mul_f32_e32 v26, s4, v6
	flat_store_dword v[24:25], v26 offset:64
	v_mul_f32_e32 v26, s4, v5
	;; [unrolled: 10-line block ×3, first 2 shown]
	flat_store_dword v[22:23], v24 offset:128
	v_mul_f32_e32 v24, s4, v0
	flat_store_dword v[22:23], v24 offset:192
	s_cbranch_execnz .LBB184_6
.LBB184_5:
	s_lshl_b64 s[2:3], s[12:13], 2
	s_add_u32 s2, s8, s2
	v_mul_lo_u32 v21, v21, s10
	v_mul_lo_u32 v24, v20, s11
	v_mad_u64_u32 v[22:23], s[6:7], v20, s10, 0
	s_addc_u32 s3, s9, s3
	v_add3_u32 v23, v23, v24, v21
	v_lshl_add_u64 v[22:23], v[22:23], 2, s[2:3]
	v_lshl_add_u64 v[24:25], v[22:23], 0, v[10:11]
	flat_load_dword v26, v[24:25]
	v_mad_u64_u32 v[20:21], s[2:3], v20, s24, 0
	v_add3_u32 v21, v21, v13, v12
	v_lshl_add_u64 v[12:13], v[20:21], 2, s[0:1]
	v_lshl_add_u64 v[20:21], v[12:13], 0, v[10:11]
	s_lshl_b64 s[0:1], s[10:11], 6
	s_lshl_b64 s[2:3], s[24:25], 6
	v_lshl_add_u64 v[12:13], v[12:13], 0, s[2:3]
	s_waitcnt vmcnt(0) lgkmcnt(0)
	v_mul_f32_e32 v26, s5, v26
	v_fmac_f32_e32 v26, s4, v19
	flat_store_dword v[20:21], v26
	flat_load_dword v19, v[24:25] offset:64
	s_waitcnt vmcnt(0) lgkmcnt(0)
	v_mul_f32_e32 v19, s5, v19
	v_fmac_f32_e32 v19, s4, v18
	flat_store_dword v[20:21], v19 offset:64
	flat_load_dword v18, v[24:25] offset:128
	s_waitcnt vmcnt(0) lgkmcnt(0)
	v_mul_f32_e32 v18, s5, v18
	v_fmac_f32_e32 v18, s4, v17
	flat_store_dword v[20:21], v18 offset:128
	flat_load_dword v17, v[24:25] offset:192
	v_lshl_add_u64 v[18:19], v[22:23], 0, s[0:1]
	v_lshl_add_u64 v[22:23], v[18:19], 0, v[10:11]
	s_waitcnt vmcnt(0) lgkmcnt(0)
	v_mul_f32_e32 v17, s5, v17
	v_fmac_f32_e32 v17, s4, v16
	flat_store_dword v[20:21], v17 offset:192
	flat_load_dword v20, v[22:23]
	v_lshl_add_u64 v[16:17], v[12:13], 0, v[10:11]
	s_waitcnt vmcnt(0) lgkmcnt(0)
	v_mul_f32_e32 v20, s5, v20
	v_fmac_f32_e32 v20, s4, v15
	flat_store_dword v[16:17], v20
	flat_load_dword v15, v[22:23] offset:64
	s_waitcnt vmcnt(0) lgkmcnt(0)
	v_mul_f32_e32 v15, s5, v15
	v_fmac_f32_e32 v15, s4, v14
	flat_store_dword v[16:17], v15 offset:64
	flat_load_dword v14, v[22:23] offset:128
	s_waitcnt vmcnt(0) lgkmcnt(0)
	v_mul_f32_e32 v14, s5, v14
	v_fmac_f32_e32 v14, s4, v9
	flat_store_dword v[16:17], v14 offset:128
	flat_load_dword v9, v[22:23] offset:192
	v_lshl_add_u64 v[14:15], v[18:19], 0, s[0:1]
	v_lshl_add_u64 v[18:19], v[14:15], 0, v[10:11]
	s_waitcnt vmcnt(0) lgkmcnt(0)
	v_mul_f32_e32 v9, s5, v9
	v_fmac_f32_e32 v9, s4, v8
	flat_store_dword v[16:17], v9 offset:192
	flat_load_dword v16, v[18:19]
	v_lshl_add_u64 v[8:9], v[12:13], 0, s[2:3]
	v_lshl_add_u64 v[12:13], v[8:9], 0, v[10:11]
	s_waitcnt vmcnt(0) lgkmcnt(0)
	v_mul_f32_e32 v16, s5, v16
	v_fmac_f32_e32 v16, s4, v7
	flat_store_dword v[12:13], v16
	flat_load_dword v7, v[18:19] offset:64
	s_waitcnt vmcnt(0) lgkmcnt(0)
	v_mul_f32_e32 v7, s5, v7
	v_fmac_f32_e32 v7, s4, v6
	flat_store_dword v[12:13], v7 offset:64
	flat_load_dword v6, v[18:19] offset:128
	s_waitcnt vmcnt(0) lgkmcnt(0)
	v_mul_f32_e32 v6, s5, v6
	v_fmac_f32_e32 v6, s4, v5
	flat_store_dword v[12:13], v6 offset:128
	flat_load_dword v5, v[18:19] offset:192
	v_lshl_add_u64 v[6:7], v[14:15], 0, s[0:1]
	v_lshl_add_u64 v[6:7], v[6:7], 0, v[10:11]
	s_waitcnt vmcnt(0) lgkmcnt(0)
	v_mul_f32_e32 v5, s5, v5
	v_fmac_f32_e32 v5, s4, v4
	flat_store_dword v[12:13], v5 offset:192
	flat_load_dword v12, v[6:7]
	v_lshl_add_u64 v[4:5], v[8:9], 0, s[2:3]
	v_lshl_add_u64 v[4:5], v[4:5], 0, v[10:11]
	s_waitcnt vmcnt(0) lgkmcnt(0)
	v_mul_f32_e32 v8, s5, v12
	v_fmac_f32_e32 v8, s4, v3
	flat_store_dword v[4:5], v8
	flat_load_dword v3, v[6:7] offset:64
	s_waitcnt vmcnt(0) lgkmcnt(0)
	v_mul_f32_e32 v3, s5, v3
	v_fmac_f32_e32 v3, s4, v2
	flat_store_dword v[4:5], v3 offset:64
	flat_load_dword v2, v[6:7] offset:128
	s_waitcnt vmcnt(0) lgkmcnt(0)
	v_mul_f32_e32 v2, s5, v2
	v_fmac_f32_e32 v2, s4, v1
	flat_store_dword v[4:5], v2 offset:128
	;; [unrolled: 5-line block ×3, first 2 shown]
.LBB184_6:
	s_endpgm
.LBB184_7:
	s_branch .LBB184_5
	.section	.rodata,"a",@progbits
	.p2align	6, 0x0
	.amdhsa_kernel _ZN12_GLOBAL__N_127rocblas_gemm_batched_kernelIfLi16ELi16ELi64ELi64ELi4ELi64ELi4ELi4ELi64ELc84ELc67EKPKfS3_KPfEEvlllT_PT11_llS8_llS6_PT12_llPT13_lli
		.amdhsa_group_segment_fixed_size 2048
		.amdhsa_private_segment_fixed_size 0
		.amdhsa_kernarg_size 140
		.amdhsa_user_sgpr_count 2
		.amdhsa_user_sgpr_dispatch_ptr 0
		.amdhsa_user_sgpr_queue_ptr 0
		.amdhsa_user_sgpr_kernarg_segment_ptr 1
		.amdhsa_user_sgpr_dispatch_id 0
		.amdhsa_user_sgpr_kernarg_preload_length 0
		.amdhsa_user_sgpr_kernarg_preload_offset 0
		.amdhsa_user_sgpr_private_segment_size 0
		.amdhsa_uses_dynamic_stack 0
		.amdhsa_enable_private_segment 0
		.amdhsa_system_sgpr_workgroup_id_x 1
		.amdhsa_system_sgpr_workgroup_id_y 1
		.amdhsa_system_sgpr_workgroup_id_z 1
		.amdhsa_system_sgpr_workgroup_info 0
		.amdhsa_system_vgpr_workitem_id 1
		.amdhsa_next_free_vgpr 70
		.amdhsa_next_free_sgpr 36
		.amdhsa_accum_offset 72
		.amdhsa_reserve_vcc 1
		.amdhsa_float_round_mode_32 0
		.amdhsa_float_round_mode_16_64 0
		.amdhsa_float_denorm_mode_32 3
		.amdhsa_float_denorm_mode_16_64 3
		.amdhsa_dx10_clamp 1
		.amdhsa_ieee_mode 1
		.amdhsa_fp16_overflow 0
		.amdhsa_tg_split 0
		.amdhsa_exception_fp_ieee_invalid_op 0
		.amdhsa_exception_fp_denorm_src 0
		.amdhsa_exception_fp_ieee_div_zero 0
		.amdhsa_exception_fp_ieee_overflow 0
		.amdhsa_exception_fp_ieee_underflow 0
		.amdhsa_exception_fp_ieee_inexact 0
		.amdhsa_exception_int_div_zero 0
	.end_amdhsa_kernel
	.section	.text._ZN12_GLOBAL__N_127rocblas_gemm_batched_kernelIfLi16ELi16ELi64ELi64ELi4ELi64ELi4ELi4ELi64ELc84ELc67EKPKfS3_KPfEEvlllT_PT11_llS8_llS6_PT12_llPT13_lli,"axG",@progbits,_ZN12_GLOBAL__N_127rocblas_gemm_batched_kernelIfLi16ELi16ELi64ELi64ELi4ELi64ELi4ELi4ELi64ELc84ELc67EKPKfS3_KPfEEvlllT_PT11_llS8_llS6_PT12_llPT13_lli,comdat
.Lfunc_end184:
	.size	_ZN12_GLOBAL__N_127rocblas_gemm_batched_kernelIfLi16ELi16ELi64ELi64ELi4ELi64ELi4ELi4ELi64ELc84ELc67EKPKfS3_KPfEEvlllT_PT11_llS8_llS6_PT12_llPT13_lli, .Lfunc_end184-_ZN12_GLOBAL__N_127rocblas_gemm_batched_kernelIfLi16ELi16ELi64ELi64ELi4ELi64ELi4ELi4ELi64ELc84ELc67EKPKfS3_KPfEEvlllT_PT11_llS8_llS6_PT12_llPT13_lli
                                        ; -- End function
	.set _ZN12_GLOBAL__N_127rocblas_gemm_batched_kernelIfLi16ELi16ELi64ELi64ELi4ELi64ELi4ELi4ELi64ELc84ELc67EKPKfS3_KPfEEvlllT_PT11_llS8_llS6_PT12_llPT13_lli.num_vgpr, 70
	.set _ZN12_GLOBAL__N_127rocblas_gemm_batched_kernelIfLi16ELi16ELi64ELi64ELi4ELi64ELi4ELi4ELi64ELc84ELc67EKPKfS3_KPfEEvlllT_PT11_llS8_llS6_PT12_llPT13_lli.num_agpr, 0
	.set _ZN12_GLOBAL__N_127rocblas_gemm_batched_kernelIfLi16ELi16ELi64ELi64ELi4ELi64ELi4ELi4ELi64ELc84ELc67EKPKfS3_KPfEEvlllT_PT11_llS8_llS6_PT12_llPT13_lli.numbered_sgpr, 36
	.set _ZN12_GLOBAL__N_127rocblas_gemm_batched_kernelIfLi16ELi16ELi64ELi64ELi4ELi64ELi4ELi4ELi64ELc84ELc67EKPKfS3_KPfEEvlllT_PT11_llS8_llS6_PT12_llPT13_lli.num_named_barrier, 0
	.set _ZN12_GLOBAL__N_127rocblas_gemm_batched_kernelIfLi16ELi16ELi64ELi64ELi4ELi64ELi4ELi4ELi64ELc84ELc67EKPKfS3_KPfEEvlllT_PT11_llS8_llS6_PT12_llPT13_lli.private_seg_size, 0
	.set _ZN12_GLOBAL__N_127rocblas_gemm_batched_kernelIfLi16ELi16ELi64ELi64ELi4ELi64ELi4ELi4ELi64ELc84ELc67EKPKfS3_KPfEEvlllT_PT11_llS8_llS6_PT12_llPT13_lli.uses_vcc, 1
	.set _ZN12_GLOBAL__N_127rocblas_gemm_batched_kernelIfLi16ELi16ELi64ELi64ELi4ELi64ELi4ELi4ELi64ELc84ELc67EKPKfS3_KPfEEvlllT_PT11_llS8_llS6_PT12_llPT13_lli.uses_flat_scratch, 0
	.set _ZN12_GLOBAL__N_127rocblas_gemm_batched_kernelIfLi16ELi16ELi64ELi64ELi4ELi64ELi4ELi4ELi64ELc84ELc67EKPKfS3_KPfEEvlllT_PT11_llS8_llS6_PT12_llPT13_lli.has_dyn_sized_stack, 0
	.set _ZN12_GLOBAL__N_127rocblas_gemm_batched_kernelIfLi16ELi16ELi64ELi64ELi4ELi64ELi4ELi4ELi64ELc84ELc67EKPKfS3_KPfEEvlllT_PT11_llS8_llS6_PT12_llPT13_lli.has_recursion, 0
	.set _ZN12_GLOBAL__N_127rocblas_gemm_batched_kernelIfLi16ELi16ELi64ELi64ELi4ELi64ELi4ELi4ELi64ELc84ELc67EKPKfS3_KPfEEvlllT_PT11_llS8_llS6_PT12_llPT13_lli.has_indirect_call, 0
	.section	.AMDGPU.csdata,"",@progbits
; Kernel info:
; codeLenInByte = 2096
; TotalNumSgprs: 42
; NumVgprs: 70
; NumAgprs: 0
; TotalNumVgprs: 70
; ScratchSize: 0
; MemoryBound: 0
; FloatMode: 240
; IeeeMode: 1
; LDSByteSize: 2048 bytes/workgroup (compile time only)
; SGPRBlocks: 5
; VGPRBlocks: 8
; NumSGPRsForWavesPerEU: 42
; NumVGPRsForWavesPerEU: 70
; AccumOffset: 72
; Occupancy: 7
; WaveLimiterHint : 1
; COMPUTE_PGM_RSRC2:SCRATCH_EN: 0
; COMPUTE_PGM_RSRC2:USER_SGPR: 2
; COMPUTE_PGM_RSRC2:TRAP_HANDLER: 0
; COMPUTE_PGM_RSRC2:TGID_X_EN: 1
; COMPUTE_PGM_RSRC2:TGID_Y_EN: 1
; COMPUTE_PGM_RSRC2:TGID_Z_EN: 1
; COMPUTE_PGM_RSRC2:TIDIG_COMP_CNT: 1
; COMPUTE_PGM_RSRC3_GFX90A:ACCUM_OFFSET: 17
; COMPUTE_PGM_RSRC3_GFX90A:TG_SPLIT: 0
	.section	.text._ZN12_GLOBAL__N_127rocblas_gemm_batched_kernelIfLi16ELi16ELi32ELi32ELi8ELi32ELi8ELi8ELi32ELc78ELc78EKPKfS3_KPfEEvlllT_PT11_llS8_llS6_PT12_llPT13_lli,"axG",@progbits,_ZN12_GLOBAL__N_127rocblas_gemm_batched_kernelIfLi16ELi16ELi32ELi32ELi8ELi32ELi8ELi8ELi32ELc78ELc78EKPKfS3_KPfEEvlllT_PT11_llS8_llS6_PT12_llPT13_lli,comdat
	.globl	_ZN12_GLOBAL__N_127rocblas_gemm_batched_kernelIfLi16ELi16ELi32ELi32ELi8ELi32ELi8ELi8ELi32ELc78ELc78EKPKfS3_KPfEEvlllT_PT11_llS8_llS6_PT12_llPT13_lli ; -- Begin function _ZN12_GLOBAL__N_127rocblas_gemm_batched_kernelIfLi16ELi16ELi32ELi32ELi8ELi32ELi8ELi8ELi32ELc78ELc78EKPKfS3_KPfEEvlllT_PT11_llS8_llS6_PT12_llPT13_lli
	.p2align	8
	.type	_ZN12_GLOBAL__N_127rocblas_gemm_batched_kernelIfLi16ELi16ELi32ELi32ELi8ELi32ELi8ELi8ELi32ELc78ELc78EKPKfS3_KPfEEvlllT_PT11_llS8_llS6_PT12_llPT13_lli,@function
_ZN12_GLOBAL__N_127rocblas_gemm_batched_kernelIfLi16ELi16ELi32ELi32ELi8ELi32ELi8ELi8ELi32ELc78ELc78EKPKfS3_KPfEEvlllT_PT11_llS8_llS6_PT12_llPT13_lli: ; @_ZN12_GLOBAL__N_127rocblas_gemm_batched_kernelIfLi16ELi16ELi32ELi32ELi8ELi32ELi8ELi8ELi32ELc78ELc78EKPKfS3_KPfEEvlllT_PT11_llS8_llS6_PT12_llPT13_lli
; %bb.0:
	s_load_dwordx2 s[28:29], s[0:1], 0x10
	s_load_dwordx4 s[24:27], s[0:1], 0x78
	s_load_dwordx8 s[8:15], s[0:1], 0x58
	s_mov_b32 s5, 0
	s_lshl_b64 s[30:31], s[4:5], 3
	s_mov_b32 s16, s3
	v_mov_b32_e32 v3, 0
	s_waitcnt lgkmcnt(0)
	s_add_u32 s4, s8, s30
	s_addc_u32 s5, s9, s31
	s_add_u32 s6, s14, s30
	s_addc_u32 s7, s15, s31
	s_load_dwordx2 s[4:5], s[4:5], 0x0
	s_ashr_i32 s3, s2, 31
	s_load_dwordx2 s[6:7], s[6:7], 0x0
	s_ashr_i32 s17, s16, 31
	v_cmp_lt_i64_e64 s[14:15], s[28:29], 1
	v_bfe_u32 v2, v0, 10, 10
	v_and_b32_e32 v4, 0x3ff, v0
	v_mov_b32_e32 v5, v3
	s_lshl_b64 s[2:3], s[2:3], 5
	s_lshl_b64 s[8:9], s[16:17], 5
	s_and_b64 vcc, exec, s[14:15]
	v_mov_b32_e32 v7, v3
	v_mov_b32_e32 v6, v3
	;; [unrolled: 1-line block ×4, first 2 shown]
	s_cbranch_vccnz .LBB185_3
; %bb.1:
	s_load_dwordx8 s[16:23], s[0:1], 0x20
	s_load_dwordx4 s[36:39], s[0:1], 0x40
	v_lshl_add_u32 v8, v2, 4, v4
	v_and_b32_e32 v10, 31, v8
	v_lshrrev_b32_e32 v0, 3, v8
	s_waitcnt lgkmcnt(0)
	s_add_u32 s14, s16, s30
	s_addc_u32 s15, s17, s31
	v_and_b32_e32 v9, 7, v4
	v_lshrrev_b32_e32 v12, 5, v8
	v_lshlrev_b32_e32 v8, 2, v10
	s_add_u32 s16, s22, s30
	v_mov_b32_e32 v1, 0
	v_lshl_or_b32 v14, v12, 7, v8
	v_lshlrev_b32_e32 v8, 2, v9
	s_addc_u32 s17, s23, s31
	v_lshl_add_u64 v[6:7], v[0:1], 0, s[8:9]
	v_lshl_or_b32 v0, v0, 5, v8
	s_load_dwordx2 s[16:17], s[16:17], 0x0
	v_add_u32_e32 v15, 0x400, v0
	v_mov_b32_e32 v0, 0x400
	v_lshl_add_u32 v17, v2, 5, v0
	v_mul_lo_u32 v0, s37, v6
	v_mul_lo_u32 v9, s36, v7
	v_mad_u64_u32 v[6:7], s[22:23], s36, v6, 0
	v_add3_u32 v7, v7, v9, v0
	s_lshl_b64 s[22:23], s[38:39], 2
	v_lshl_add_u64 v[6:7], v[6:7], 2, s[22:23]
	v_mov_b32_e32 v9, v1
	s_load_dwordx2 s[14:15], s[14:15], 0x0
	v_lshl_add_u64 v[6:7], v[6:7], 0, v[8:9]
	s_waitcnt lgkmcnt(0)
	v_lshl_add_u64 v[8:9], s[16:17], 0, v[6:7]
	v_mov_b64_e32 v[6:7], s[2:3]
	s_lshl_b64 s[16:17], s[20:21], 2
	v_mad_u64_u32 v[6:7], s[20:21], s18, v12, v[6:7]
	v_mov_b32_e32 v0, v7
	v_mad_u64_u32 v[12:13], s[20:21], s19, v12, v[0:1]
	v_mov_b32_e32 v11, v1
	v_mov_b32_e32 v7, v12
	s_add_u32 s14, s14, s16
	v_lshl_add_u64 v[6:7], v[6:7], 0, v[10:11]
	s_addc_u32 s15, s15, s17
	v_lshlrev_b32_e32 v16, 2, v4
	v_lshl_add_u64 v[10:11], v[6:7], 2, s[14:15]
	s_lshl_b64 s[14:15], s[18:19], 5
	s_mov_b64 s[16:17], 0
	v_mov_b64_e32 v[12:13], s[28:29]
	v_mov_b32_e32 v0, v1
	v_mov_b32_e32 v6, v1
	;; [unrolled: 1-line block ×3, first 2 shown]
.LBB185_2:                              ; =>This Inner Loop Header: Depth=1
	flat_load_dword v18, v[10:11]
	s_add_u32 s16, s16, 8
	s_addc_u32 s17, s17, 0
	v_cmp_lt_i64_e32 vcc, s[16:17], v[12:13]
	v_lshl_add_u64 v[10:11], v[10:11], 0, s[14:15]
	s_and_b64 vcc, exec, vcc
	s_waitcnt vmcnt(0) lgkmcnt(0)
	ds_write_b32 v14, v18
	flat_load_dword v18, v[8:9]
	v_lshl_add_u64 v[8:9], v[8:9], 0, 32
	s_waitcnt vmcnt(0) lgkmcnt(0)
	ds_write_b32 v15, v18
	s_waitcnt lgkmcnt(0)
	s_barrier
	ds_read_b128 v[18:21], v17
	ds_read_b128 v[22:25], v17 offset:16
	ds_read2_b32 v[36:37], v16 offset1:16
	ds_read2_b32 v[38:39], v16 offset0:32 offset1:48
	ds_read2_b32 v[40:41], v16 offset0:64 offset1:80
	;; [unrolled: 1-line block ×4, first 2 shown]
	ds_read_b128 v[26:29], v17 offset:512
	ds_read_b128 v[30:33], v17 offset:528
	ds_read2_b32 v[48:49], v16 offset0:160 offset1:176
	ds_read2_b32 v[50:51], v16 offset0:192 offset1:208
	;; [unrolled: 1-line block ×3, first 2 shown]
	s_waitcnt lgkmcnt(9)
	v_mov_b32_e32 v34, v37
	v_mov_b32_e32 v35, v36
	s_waitcnt lgkmcnt(8)
	v_mov_b32_e32 v36, v39
	v_mov_b32_e32 v37, v38
	v_pk_fma_f32 v[6:7], v[34:35], v[18:19], v[6:7] op_sel_hi:[1,0,1]
	s_waitcnt lgkmcnt(4)
	v_pk_fma_f32 v[0:1], v[34:35], v[26:27], v[0:1] op_sel_hi:[1,0,1]
	v_mov_b32_e32 v38, v41
	v_mov_b32_e32 v39, v40
	v_pk_fma_f32 v[6:7], v[36:37], v[18:19], v[6:7] op_sel:[0,1,0]
	v_pk_fma_f32 v[0:1], v[36:37], v[26:27], v[0:1] op_sel:[0,1,0]
	v_mov_b32_e32 v40, v43
	v_mov_b32_e32 v41, v42
	;; [unrolled: 1-line block ×4, first 2 shown]
	v_pk_fma_f32 v[6:7], v[38:39], v[20:21], v[6:7] op_sel_hi:[1,0,1]
	v_pk_fma_f32 v[0:1], v[38:39], v[28:29], v[0:1] op_sel_hi:[1,0,1]
	v_mov_b32_e32 v44, v47
	v_mov_b32_e32 v45, v46
	v_pk_fma_f32 v[6:7], v[40:41], v[42:43], v[6:7] op_sel_hi:[1,0,1]
	v_pk_fma_f32 v[0:1], v[40:41], v[54:55], v[0:1] op_sel_hi:[1,0,1]
	s_waitcnt lgkmcnt(2)
	v_mov_b32_e32 v46, v49
	v_mov_b32_e32 v47, v48
	v_pk_fma_f32 v[6:7], v[44:45], v[22:23], v[6:7] op_sel_hi:[1,0,1]
	v_pk_fma_f32 v[0:1], v[44:45], v[30:31], v[0:1] op_sel_hi:[1,0,1]
	s_waitcnt lgkmcnt(1)
	v_mov_b32_e32 v48, v51
	v_mov_b32_e32 v49, v50
	v_pk_fma_f32 v[6:7], v[46:47], v[22:23], v[6:7] op_sel:[0,1,0]
	v_pk_fma_f32 v[0:1], v[46:47], v[30:31], v[0:1] op_sel:[0,1,0]
	s_waitcnt lgkmcnt(0)
	v_mov_b32_e32 v50, v53
	v_mov_b32_e32 v51, v52
	;; [unrolled: 1-line block ×4, first 2 shown]
	v_pk_fma_f32 v[6:7], v[48:49], v[24:25], v[6:7] op_sel_hi:[1,0,1]
	v_pk_fma_f32 v[0:1], v[48:49], v[32:33], v[0:1] op_sel_hi:[1,0,1]
	;; [unrolled: 1-line block ×4, first 2 shown]
	s_barrier
	s_cbranch_vccnz .LBB185_2
.LBB185_3:
	s_load_dword s14, s[0:1], 0x18
	s_load_dword s15, s[0:1], 0x50
	s_lshl_b64 s[0:1], s[26:27], 2
	s_waitcnt lgkmcnt(0)
	s_add_u32 s0, s6, s0
	s_addc_u32 s1, s7, s1
	v_lshl_add_u64 v[8:9], s[8:9], 0, v[2:3]
	v_cmp_neq_f32_e64 s[6:7], s15, 0
	v_lshl_add_u64 v[2:3], s[2:3], 0, v[4:5]
	s_and_b64 vcc, exec, s[6:7]
	v_mul_lo_u32 v4, v9, s24
	v_mul_lo_u32 v5, v8, s25
	v_lshlrev_b64 v[2:3], 2, v[2:3]
	s_cbranch_vccnz .LBB185_7
; %bb.4:
	v_mad_u64_u32 v[10:11], s[2:3], v8, s24, 0
	v_add3_u32 v11, v11, v5, v4
	v_lshl_add_u64 v[10:11], v[10:11], 2, s[0:1]
	v_mul_f32_e32 v14, s14, v7
	v_lshl_add_u64 v[12:13], v[10:11], 0, v[2:3]
	s_lshl_b64 s[2:3], s[24:25], 6
	flat_store_dword v[12:13], v14
	v_mul_f32_e32 v14, s14, v6
	v_lshl_add_u64 v[10:11], v[10:11], 0, s[2:3]
	flat_store_dword v[12:13], v14 offset:64
	v_mul_f32_e32 v12, s14, v1
	v_lshl_add_u64 v[10:11], v[10:11], 0, v[2:3]
	flat_store_dword v[10:11], v12
	v_mul_f32_e32 v12, s14, v0
	flat_store_dword v[10:11], v12 offset:64
	s_cbranch_execnz .LBB185_6
.LBB185_5:
	s_lshl_b64 s[2:3], s[12:13], 2
	s_add_u32 s2, s4, s2
	s_addc_u32 s3, s5, s3
	v_mul_lo_u32 v9, v9, s10
	v_mul_lo_u32 v12, v8, s11
	v_mad_u64_u32 v[10:11], s[4:5], v8, s10, 0
	v_add3_u32 v11, v11, v12, v9
	v_lshl_add_u64 v[10:11], v[10:11], 2, s[2:3]
	v_lshl_add_u64 v[12:13], v[10:11], 0, v[2:3]
	flat_load_dword v14, v[12:13]
	v_mad_u64_u32 v[8:9], s[2:3], v8, s24, 0
	v_add3_u32 v9, v9, v5, v4
	v_lshl_add_u64 v[4:5], v[8:9], 2, s[0:1]
	v_lshl_add_u64 v[8:9], v[4:5], 0, v[2:3]
	s_lshl_b64 s[0:1], s[10:11], 6
	v_lshl_add_u64 v[10:11], v[10:11], 0, s[0:1]
	v_lshl_add_u64 v[10:11], v[10:11], 0, v[2:3]
	s_lshl_b64 s[0:1], s[24:25], 6
	v_lshl_add_u64 v[4:5], v[4:5], 0, s[0:1]
	v_lshl_add_u64 v[2:3], v[4:5], 0, v[2:3]
	s_waitcnt vmcnt(0) lgkmcnt(0)
	v_mul_f32_e32 v14, s15, v14
	v_fmac_f32_e32 v14, s14, v7
	flat_store_dword v[8:9], v14
	flat_load_dword v7, v[12:13] offset:64
	s_waitcnt vmcnt(0) lgkmcnt(0)
	v_mul_f32_e32 v7, s15, v7
	v_fmac_f32_e32 v7, s14, v6
	flat_store_dword v[8:9], v7 offset:64
	flat_load_dword v6, v[10:11]
	s_waitcnt vmcnt(0) lgkmcnt(0)
	v_mul_f32_e32 v6, s15, v6
	v_fmac_f32_e32 v6, s14, v1
	flat_store_dword v[2:3], v6
	flat_load_dword v1, v[10:11] offset:64
	s_waitcnt vmcnt(0) lgkmcnt(0)
	v_mul_f32_e32 v1, s15, v1
	v_fmac_f32_e32 v1, s14, v0
	flat_store_dword v[2:3], v1 offset:64
.LBB185_6:
	s_endpgm
.LBB185_7:
	s_branch .LBB185_5
	.section	.rodata,"a",@progbits
	.p2align	6, 0x0
	.amdhsa_kernel _ZN12_GLOBAL__N_127rocblas_gemm_batched_kernelIfLi16ELi16ELi32ELi32ELi8ELi32ELi8ELi8ELi32ELc78ELc78EKPKfS3_KPfEEvlllT_PT11_llS8_llS6_PT12_llPT13_lli
		.amdhsa_group_segment_fixed_size 2048
		.amdhsa_private_segment_fixed_size 0
		.amdhsa_kernarg_size 140
		.amdhsa_user_sgpr_count 2
		.amdhsa_user_sgpr_dispatch_ptr 0
		.amdhsa_user_sgpr_queue_ptr 0
		.amdhsa_user_sgpr_kernarg_segment_ptr 1
		.amdhsa_user_sgpr_dispatch_id 0
		.amdhsa_user_sgpr_kernarg_preload_length 0
		.amdhsa_user_sgpr_kernarg_preload_offset 0
		.amdhsa_user_sgpr_private_segment_size 0
		.amdhsa_uses_dynamic_stack 0
		.amdhsa_enable_private_segment 0
		.amdhsa_system_sgpr_workgroup_id_x 1
		.amdhsa_system_sgpr_workgroup_id_y 1
		.amdhsa_system_sgpr_workgroup_id_z 1
		.amdhsa_system_sgpr_workgroup_info 0
		.amdhsa_system_vgpr_workitem_id 1
		.amdhsa_next_free_vgpr 58
		.amdhsa_next_free_sgpr 40
		.amdhsa_accum_offset 60
		.amdhsa_reserve_vcc 1
		.amdhsa_float_round_mode_32 0
		.amdhsa_float_round_mode_16_64 0
		.amdhsa_float_denorm_mode_32 3
		.amdhsa_float_denorm_mode_16_64 3
		.amdhsa_dx10_clamp 1
		.amdhsa_ieee_mode 1
		.amdhsa_fp16_overflow 0
		.amdhsa_tg_split 0
		.amdhsa_exception_fp_ieee_invalid_op 0
		.amdhsa_exception_fp_denorm_src 0
		.amdhsa_exception_fp_ieee_div_zero 0
		.amdhsa_exception_fp_ieee_overflow 0
		.amdhsa_exception_fp_ieee_underflow 0
		.amdhsa_exception_fp_ieee_inexact 0
		.amdhsa_exception_int_div_zero 0
	.end_amdhsa_kernel
	.section	.text._ZN12_GLOBAL__N_127rocblas_gemm_batched_kernelIfLi16ELi16ELi32ELi32ELi8ELi32ELi8ELi8ELi32ELc78ELc78EKPKfS3_KPfEEvlllT_PT11_llS8_llS6_PT12_llPT13_lli,"axG",@progbits,_ZN12_GLOBAL__N_127rocblas_gemm_batched_kernelIfLi16ELi16ELi32ELi32ELi8ELi32ELi8ELi8ELi32ELc78ELc78EKPKfS3_KPfEEvlllT_PT11_llS8_llS6_PT12_llPT13_lli,comdat
.Lfunc_end185:
	.size	_ZN12_GLOBAL__N_127rocblas_gemm_batched_kernelIfLi16ELi16ELi32ELi32ELi8ELi32ELi8ELi8ELi32ELc78ELc78EKPKfS3_KPfEEvlllT_PT11_llS8_llS6_PT12_llPT13_lli, .Lfunc_end185-_ZN12_GLOBAL__N_127rocblas_gemm_batched_kernelIfLi16ELi16ELi32ELi32ELi8ELi32ELi8ELi8ELi32ELc78ELc78EKPKfS3_KPfEEvlllT_PT11_llS8_llS6_PT12_llPT13_lli
                                        ; -- End function
	.set _ZN12_GLOBAL__N_127rocblas_gemm_batched_kernelIfLi16ELi16ELi32ELi32ELi8ELi32ELi8ELi8ELi32ELc78ELc78EKPKfS3_KPfEEvlllT_PT11_llS8_llS6_PT12_llPT13_lli.num_vgpr, 58
	.set _ZN12_GLOBAL__N_127rocblas_gemm_batched_kernelIfLi16ELi16ELi32ELi32ELi8ELi32ELi8ELi8ELi32ELc78ELc78EKPKfS3_KPfEEvlllT_PT11_llS8_llS6_PT12_llPT13_lli.num_agpr, 0
	.set _ZN12_GLOBAL__N_127rocblas_gemm_batched_kernelIfLi16ELi16ELi32ELi32ELi8ELi32ELi8ELi8ELi32ELc78ELc78EKPKfS3_KPfEEvlllT_PT11_llS8_llS6_PT12_llPT13_lli.numbered_sgpr, 40
	.set _ZN12_GLOBAL__N_127rocblas_gemm_batched_kernelIfLi16ELi16ELi32ELi32ELi8ELi32ELi8ELi8ELi32ELc78ELc78EKPKfS3_KPfEEvlllT_PT11_llS8_llS6_PT12_llPT13_lli.num_named_barrier, 0
	.set _ZN12_GLOBAL__N_127rocblas_gemm_batched_kernelIfLi16ELi16ELi32ELi32ELi8ELi32ELi8ELi8ELi32ELc78ELc78EKPKfS3_KPfEEvlllT_PT11_llS8_llS6_PT12_llPT13_lli.private_seg_size, 0
	.set _ZN12_GLOBAL__N_127rocblas_gemm_batched_kernelIfLi16ELi16ELi32ELi32ELi8ELi32ELi8ELi8ELi32ELc78ELc78EKPKfS3_KPfEEvlllT_PT11_llS8_llS6_PT12_llPT13_lli.uses_vcc, 1
	.set _ZN12_GLOBAL__N_127rocblas_gemm_batched_kernelIfLi16ELi16ELi32ELi32ELi8ELi32ELi8ELi8ELi32ELc78ELc78EKPKfS3_KPfEEvlllT_PT11_llS8_llS6_PT12_llPT13_lli.uses_flat_scratch, 0
	.set _ZN12_GLOBAL__N_127rocblas_gemm_batched_kernelIfLi16ELi16ELi32ELi32ELi8ELi32ELi8ELi8ELi32ELc78ELc78EKPKfS3_KPfEEvlllT_PT11_llS8_llS6_PT12_llPT13_lli.has_dyn_sized_stack, 0
	.set _ZN12_GLOBAL__N_127rocblas_gemm_batched_kernelIfLi16ELi16ELi32ELi32ELi8ELi32ELi8ELi8ELi32ELc78ELc78EKPKfS3_KPfEEvlllT_PT11_llS8_llS6_PT12_llPT13_lli.has_recursion, 0
	.set _ZN12_GLOBAL__N_127rocblas_gemm_batched_kernelIfLi16ELi16ELi32ELi32ELi8ELi32ELi8ELi8ELi32ELc78ELc78EKPKfS3_KPfEEvlllT_PT11_llS8_llS6_PT12_llPT13_lli.has_indirect_call, 0
	.section	.AMDGPU.csdata,"",@progbits
; Kernel info:
; codeLenInByte = 1296
; TotalNumSgprs: 46
; NumVgprs: 58
; NumAgprs: 0
; TotalNumVgprs: 58
; ScratchSize: 0
; MemoryBound: 0
; FloatMode: 240
; IeeeMode: 1
; LDSByteSize: 2048 bytes/workgroup (compile time only)
; SGPRBlocks: 5
; VGPRBlocks: 7
; NumSGPRsForWavesPerEU: 46
; NumVGPRsForWavesPerEU: 58
; AccumOffset: 60
; Occupancy: 8
; WaveLimiterHint : 1
; COMPUTE_PGM_RSRC2:SCRATCH_EN: 0
; COMPUTE_PGM_RSRC2:USER_SGPR: 2
; COMPUTE_PGM_RSRC2:TRAP_HANDLER: 0
; COMPUTE_PGM_RSRC2:TGID_X_EN: 1
; COMPUTE_PGM_RSRC2:TGID_Y_EN: 1
; COMPUTE_PGM_RSRC2:TGID_Z_EN: 1
; COMPUTE_PGM_RSRC2:TIDIG_COMP_CNT: 1
; COMPUTE_PGM_RSRC3_GFX90A:ACCUM_OFFSET: 14
; COMPUTE_PGM_RSRC3_GFX90A:TG_SPLIT: 0
	.section	.text._ZN12_GLOBAL__N_127rocblas_gemm_batched_kernelIfLi16ELi16ELi32ELi32ELi8ELi32ELi8ELi8ELi32ELc84ELc78EKPKfS3_KPfEEvlllT_PT11_llS8_llS6_PT12_llPT13_lli,"axG",@progbits,_ZN12_GLOBAL__N_127rocblas_gemm_batched_kernelIfLi16ELi16ELi32ELi32ELi8ELi32ELi8ELi8ELi32ELc84ELc78EKPKfS3_KPfEEvlllT_PT11_llS8_llS6_PT12_llPT13_lli,comdat
	.globl	_ZN12_GLOBAL__N_127rocblas_gemm_batched_kernelIfLi16ELi16ELi32ELi32ELi8ELi32ELi8ELi8ELi32ELc84ELc78EKPKfS3_KPfEEvlllT_PT11_llS8_llS6_PT12_llPT13_lli ; -- Begin function _ZN12_GLOBAL__N_127rocblas_gemm_batched_kernelIfLi16ELi16ELi32ELi32ELi8ELi32ELi8ELi8ELi32ELc84ELc78EKPKfS3_KPfEEvlllT_PT11_llS8_llS6_PT12_llPT13_lli
	.p2align	8
	.type	_ZN12_GLOBAL__N_127rocblas_gemm_batched_kernelIfLi16ELi16ELi32ELi32ELi8ELi32ELi8ELi8ELi32ELc84ELc78EKPKfS3_KPfEEvlllT_PT11_llS8_llS6_PT12_llPT13_lli,@function
_ZN12_GLOBAL__N_127rocblas_gemm_batched_kernelIfLi16ELi16ELi32ELi32ELi8ELi32ELi8ELi8ELi32ELc84ELc78EKPKfS3_KPfEEvlllT_PT11_llS8_llS6_PT12_llPT13_lli: ; @_ZN12_GLOBAL__N_127rocblas_gemm_batched_kernelIfLi16ELi16ELi32ELi32ELi8ELi32ELi8ELi8ELi32ELc84ELc78EKPKfS3_KPfEEvlllT_PT11_llS8_llS6_PT12_llPT13_lli
; %bb.0:
	s_load_dwordx2 s[28:29], s[0:1], 0x10
	s_load_dwordx4 s[24:27], s[0:1], 0x78
	s_load_dwordx8 s[8:15], s[0:1], 0x58
	s_mov_b32 s5, 0
	s_lshl_b64 s[30:31], s[4:5], 3
	s_mov_b32 s16, s3
	v_mov_b32_e32 v3, 0
	s_waitcnt lgkmcnt(0)
	s_add_u32 s4, s8, s30
	s_addc_u32 s5, s9, s31
	s_add_u32 s6, s14, s30
	s_addc_u32 s7, s15, s31
	s_load_dwordx2 s[4:5], s[4:5], 0x0
	s_ashr_i32 s3, s2, 31
	s_load_dwordx2 s[6:7], s[6:7], 0x0
	s_ashr_i32 s17, s16, 31
	v_cmp_lt_i64_e64 s[14:15], s[28:29], 1
	v_bfe_u32 v2, v0, 10, 10
	v_and_b32_e32 v4, 0x3ff, v0
	v_mov_b32_e32 v5, v3
	s_lshl_b64 s[2:3], s[2:3], 5
	s_lshl_b64 s[8:9], s[16:17], 5
	s_and_b64 vcc, exec, s[14:15]
	v_mov_b32_e32 v7, v3
	v_mov_b32_e32 v6, v3
	;; [unrolled: 1-line block ×4, first 2 shown]
	s_cbranch_vccnz .LBB186_3
; %bb.1:
	s_load_dwordx8 s[16:23], s[0:1], 0x20
	s_load_dwordx4 s[36:39], s[0:1], 0x40
	v_lshl_add_u32 v8, v2, 4, v4
	v_and_b32_e32 v10, 31, v8
	v_lshrrev_b32_e32 v0, 3, v8
	s_waitcnt lgkmcnt(0)
	s_add_u32 s14, s16, s30
	s_addc_u32 s15, s17, s31
	v_and_b32_e32 v9, 7, v4
	v_lshrrev_b32_e32 v12, 5, v8
	v_lshlrev_b32_e32 v8, 2, v10
	s_add_u32 s16, s22, s30
	v_mov_b32_e32 v1, 0
	v_lshl_or_b32 v14, v12, 7, v8
	v_lshlrev_b32_e32 v8, 2, v9
	s_addc_u32 s17, s23, s31
	v_lshl_add_u64 v[6:7], v[0:1], 0, s[8:9]
	v_lshl_or_b32 v0, v0, 5, v8
	s_load_dwordx2 s[16:17], s[16:17], 0x0
	v_add_u32_e32 v15, 0x400, v0
	v_mov_b32_e32 v0, 0x400
	v_lshl_add_u32 v17, v2, 5, v0
	v_mul_lo_u32 v0, s37, v6
	v_mul_lo_u32 v9, s36, v7
	v_mad_u64_u32 v[6:7], s[22:23], s36, v6, 0
	v_add3_u32 v7, v7, v9, v0
	s_lshl_b64 s[22:23], s[38:39], 2
	v_lshl_add_u64 v[6:7], v[6:7], 2, s[22:23]
	v_mov_b32_e32 v9, v1
	v_mov_b32_e32 v11, v1
	v_lshl_add_u64 v[6:7], v[6:7], 0, v[8:9]
	s_load_dwordx2 s[14:15], s[14:15], 0x0
	s_waitcnt lgkmcnt(0)
	v_lshl_add_u64 v[8:9], s[16:17], 0, v[6:7]
	v_lshl_add_u64 v[6:7], s[2:3], 0, v[10:11]
	v_mul_lo_u32 v0, s19, v6
	v_mul_lo_u32 v10, s18, v7
	v_mad_u64_u32 v[6:7], s[16:17], s18, v6, 0
	v_add3_u32 v7, v7, v10, v0
	s_lshl_b64 s[16:17], s[20:21], 2
	v_lshl_add_u64 v[6:7], v[6:7], 2, s[16:17]
	v_lshlrev_b32_e32 v0, 2, v12
	v_lshl_add_u64 v[6:7], v[6:7], 0, v[0:1]
	v_lshlrev_b32_e32 v16, 2, v4
	v_lshl_add_u64 v[10:11], s[14:15], 0, v[6:7]
	s_mov_b64 s[14:15], 0
	v_mov_b64_e32 v[12:13], s[28:29]
	v_mov_b32_e32 v0, v1
	v_mov_b32_e32 v6, v1
	;; [unrolled: 1-line block ×3, first 2 shown]
.LBB186_2:                              ; =>This Inner Loop Header: Depth=1
	flat_load_dword v18, v[10:11]
	s_add_u32 s14, s14, 8
	s_addc_u32 s15, s15, 0
	v_cmp_lt_i64_e32 vcc, s[14:15], v[12:13]
	v_lshl_add_u64 v[10:11], v[10:11], 0, 32
	s_and_b64 vcc, exec, vcc
	s_waitcnt vmcnt(0) lgkmcnt(0)
	ds_write_b32 v14, v18
	flat_load_dword v18, v[8:9]
	v_lshl_add_u64 v[8:9], v[8:9], 0, 32
	s_waitcnt vmcnt(0) lgkmcnt(0)
	ds_write_b32 v15, v18
	s_waitcnt lgkmcnt(0)
	s_barrier
	ds_read_b128 v[18:21], v17
	ds_read_b128 v[22:25], v17 offset:16
	ds_read2_b32 v[36:37], v16 offset1:16
	ds_read2_b32 v[38:39], v16 offset0:32 offset1:48
	ds_read2_b32 v[40:41], v16 offset0:64 offset1:80
	;; [unrolled: 1-line block ×4, first 2 shown]
	ds_read_b128 v[26:29], v17 offset:512
	ds_read_b128 v[30:33], v17 offset:528
	ds_read2_b32 v[48:49], v16 offset0:160 offset1:176
	ds_read2_b32 v[50:51], v16 offset0:192 offset1:208
	;; [unrolled: 1-line block ×3, first 2 shown]
	s_waitcnt lgkmcnt(9)
	v_mov_b32_e32 v34, v37
	v_mov_b32_e32 v35, v36
	s_waitcnt lgkmcnt(8)
	v_mov_b32_e32 v36, v39
	v_mov_b32_e32 v37, v38
	v_pk_fma_f32 v[6:7], v[34:35], v[18:19], v[6:7] op_sel_hi:[1,0,1]
	s_waitcnt lgkmcnt(4)
	v_pk_fma_f32 v[0:1], v[34:35], v[26:27], v[0:1] op_sel_hi:[1,0,1]
	v_mov_b32_e32 v38, v41
	v_mov_b32_e32 v39, v40
	v_pk_fma_f32 v[6:7], v[36:37], v[18:19], v[6:7] op_sel:[0,1,0]
	v_pk_fma_f32 v[0:1], v[36:37], v[26:27], v[0:1] op_sel:[0,1,0]
	v_mov_b32_e32 v40, v43
	v_mov_b32_e32 v41, v42
	v_mov_b32_e32 v42, v21
	v_mov_b32_e32 v54, v29
	v_pk_fma_f32 v[6:7], v[38:39], v[20:21], v[6:7] op_sel_hi:[1,0,1]
	v_pk_fma_f32 v[0:1], v[38:39], v[28:29], v[0:1] op_sel_hi:[1,0,1]
	v_mov_b32_e32 v44, v47
	v_mov_b32_e32 v45, v46
	v_pk_fma_f32 v[6:7], v[40:41], v[42:43], v[6:7] op_sel_hi:[1,0,1]
	v_pk_fma_f32 v[0:1], v[40:41], v[54:55], v[0:1] op_sel_hi:[1,0,1]
	s_waitcnt lgkmcnt(2)
	v_mov_b32_e32 v46, v49
	v_mov_b32_e32 v47, v48
	v_pk_fma_f32 v[6:7], v[44:45], v[22:23], v[6:7] op_sel_hi:[1,0,1]
	v_pk_fma_f32 v[0:1], v[44:45], v[30:31], v[0:1] op_sel_hi:[1,0,1]
	s_waitcnt lgkmcnt(1)
	v_mov_b32_e32 v48, v51
	v_mov_b32_e32 v49, v50
	v_pk_fma_f32 v[6:7], v[46:47], v[22:23], v[6:7] op_sel:[0,1,0]
	v_pk_fma_f32 v[0:1], v[46:47], v[30:31], v[0:1] op_sel:[0,1,0]
	s_waitcnt lgkmcnt(0)
	v_mov_b32_e32 v50, v53
	v_mov_b32_e32 v51, v52
	;; [unrolled: 1-line block ×4, first 2 shown]
	v_pk_fma_f32 v[6:7], v[48:49], v[24:25], v[6:7] op_sel_hi:[1,0,1]
	v_pk_fma_f32 v[0:1], v[48:49], v[32:33], v[0:1] op_sel_hi:[1,0,1]
	;; [unrolled: 1-line block ×4, first 2 shown]
	s_barrier
	s_cbranch_vccnz .LBB186_2
.LBB186_3:
	s_load_dword s14, s[0:1], 0x18
	s_load_dword s15, s[0:1], 0x50
	s_lshl_b64 s[0:1], s[26:27], 2
	s_waitcnt lgkmcnt(0)
	s_add_u32 s0, s6, s0
	s_addc_u32 s1, s7, s1
	v_lshl_add_u64 v[8:9], s[8:9], 0, v[2:3]
	v_cmp_neq_f32_e64 s[6:7], s15, 0
	v_lshl_add_u64 v[2:3], s[2:3], 0, v[4:5]
	s_and_b64 vcc, exec, s[6:7]
	v_mul_lo_u32 v4, v9, s24
	v_mul_lo_u32 v5, v8, s25
	v_lshlrev_b64 v[2:3], 2, v[2:3]
	s_cbranch_vccnz .LBB186_7
; %bb.4:
	v_mad_u64_u32 v[10:11], s[2:3], v8, s24, 0
	v_add3_u32 v11, v11, v5, v4
	v_lshl_add_u64 v[10:11], v[10:11], 2, s[0:1]
	v_mul_f32_e32 v14, s14, v7
	v_lshl_add_u64 v[12:13], v[10:11], 0, v[2:3]
	s_lshl_b64 s[2:3], s[24:25], 6
	flat_store_dword v[12:13], v14
	v_mul_f32_e32 v14, s14, v6
	v_lshl_add_u64 v[10:11], v[10:11], 0, s[2:3]
	flat_store_dword v[12:13], v14 offset:64
	v_mul_f32_e32 v12, s14, v1
	v_lshl_add_u64 v[10:11], v[10:11], 0, v[2:3]
	flat_store_dword v[10:11], v12
	v_mul_f32_e32 v12, s14, v0
	flat_store_dword v[10:11], v12 offset:64
	s_cbranch_execnz .LBB186_6
.LBB186_5:
	s_lshl_b64 s[2:3], s[12:13], 2
	s_add_u32 s2, s4, s2
	s_addc_u32 s3, s5, s3
	v_mul_lo_u32 v9, v9, s10
	v_mul_lo_u32 v12, v8, s11
	v_mad_u64_u32 v[10:11], s[4:5], v8, s10, 0
	v_add3_u32 v11, v11, v12, v9
	v_lshl_add_u64 v[10:11], v[10:11], 2, s[2:3]
	v_lshl_add_u64 v[12:13], v[10:11], 0, v[2:3]
	flat_load_dword v14, v[12:13]
	v_mad_u64_u32 v[8:9], s[2:3], v8, s24, 0
	v_add3_u32 v9, v9, v5, v4
	v_lshl_add_u64 v[4:5], v[8:9], 2, s[0:1]
	v_lshl_add_u64 v[8:9], v[4:5], 0, v[2:3]
	s_lshl_b64 s[0:1], s[10:11], 6
	v_lshl_add_u64 v[10:11], v[10:11], 0, s[0:1]
	v_lshl_add_u64 v[10:11], v[10:11], 0, v[2:3]
	s_lshl_b64 s[0:1], s[24:25], 6
	v_lshl_add_u64 v[4:5], v[4:5], 0, s[0:1]
	v_lshl_add_u64 v[2:3], v[4:5], 0, v[2:3]
	s_waitcnt vmcnt(0) lgkmcnt(0)
	v_mul_f32_e32 v14, s15, v14
	v_fmac_f32_e32 v14, s14, v7
	flat_store_dword v[8:9], v14
	flat_load_dword v7, v[12:13] offset:64
	s_waitcnt vmcnt(0) lgkmcnt(0)
	v_mul_f32_e32 v7, s15, v7
	v_fmac_f32_e32 v7, s14, v6
	flat_store_dword v[8:9], v7 offset:64
	flat_load_dword v6, v[10:11]
	s_waitcnt vmcnt(0) lgkmcnt(0)
	v_mul_f32_e32 v6, s15, v6
	v_fmac_f32_e32 v6, s14, v1
	flat_store_dword v[2:3], v6
	flat_load_dword v1, v[10:11] offset:64
	s_waitcnt vmcnt(0) lgkmcnt(0)
	v_mul_f32_e32 v1, s15, v1
	v_fmac_f32_e32 v1, s14, v0
	flat_store_dword v[2:3], v1 offset:64
.LBB186_6:
	s_endpgm
.LBB186_7:
	s_branch .LBB186_5
	.section	.rodata,"a",@progbits
	.p2align	6, 0x0
	.amdhsa_kernel _ZN12_GLOBAL__N_127rocblas_gemm_batched_kernelIfLi16ELi16ELi32ELi32ELi8ELi32ELi8ELi8ELi32ELc84ELc78EKPKfS3_KPfEEvlllT_PT11_llS8_llS6_PT12_llPT13_lli
		.amdhsa_group_segment_fixed_size 2048
		.amdhsa_private_segment_fixed_size 0
		.amdhsa_kernarg_size 140
		.amdhsa_user_sgpr_count 2
		.amdhsa_user_sgpr_dispatch_ptr 0
		.amdhsa_user_sgpr_queue_ptr 0
		.amdhsa_user_sgpr_kernarg_segment_ptr 1
		.amdhsa_user_sgpr_dispatch_id 0
		.amdhsa_user_sgpr_kernarg_preload_length 0
		.amdhsa_user_sgpr_kernarg_preload_offset 0
		.amdhsa_user_sgpr_private_segment_size 0
		.amdhsa_uses_dynamic_stack 0
		.amdhsa_enable_private_segment 0
		.amdhsa_system_sgpr_workgroup_id_x 1
		.amdhsa_system_sgpr_workgroup_id_y 1
		.amdhsa_system_sgpr_workgroup_id_z 1
		.amdhsa_system_sgpr_workgroup_info 0
		.amdhsa_system_vgpr_workitem_id 1
		.amdhsa_next_free_vgpr 58
		.amdhsa_next_free_sgpr 40
		.amdhsa_accum_offset 60
		.amdhsa_reserve_vcc 1
		.amdhsa_float_round_mode_32 0
		.amdhsa_float_round_mode_16_64 0
		.amdhsa_float_denorm_mode_32 3
		.amdhsa_float_denorm_mode_16_64 3
		.amdhsa_dx10_clamp 1
		.amdhsa_ieee_mode 1
		.amdhsa_fp16_overflow 0
		.amdhsa_tg_split 0
		.amdhsa_exception_fp_ieee_invalid_op 0
		.amdhsa_exception_fp_denorm_src 0
		.amdhsa_exception_fp_ieee_div_zero 0
		.amdhsa_exception_fp_ieee_overflow 0
		.amdhsa_exception_fp_ieee_underflow 0
		.amdhsa_exception_fp_ieee_inexact 0
		.amdhsa_exception_int_div_zero 0
	.end_amdhsa_kernel
	.section	.text._ZN12_GLOBAL__N_127rocblas_gemm_batched_kernelIfLi16ELi16ELi32ELi32ELi8ELi32ELi8ELi8ELi32ELc84ELc78EKPKfS3_KPfEEvlllT_PT11_llS8_llS6_PT12_llPT13_lli,"axG",@progbits,_ZN12_GLOBAL__N_127rocblas_gemm_batched_kernelIfLi16ELi16ELi32ELi32ELi8ELi32ELi8ELi8ELi32ELc84ELc78EKPKfS3_KPfEEvlllT_PT11_llS8_llS6_PT12_llPT13_lli,comdat
.Lfunc_end186:
	.size	_ZN12_GLOBAL__N_127rocblas_gemm_batched_kernelIfLi16ELi16ELi32ELi32ELi8ELi32ELi8ELi8ELi32ELc84ELc78EKPKfS3_KPfEEvlllT_PT11_llS8_llS6_PT12_llPT13_lli, .Lfunc_end186-_ZN12_GLOBAL__N_127rocblas_gemm_batched_kernelIfLi16ELi16ELi32ELi32ELi8ELi32ELi8ELi8ELi32ELc84ELc78EKPKfS3_KPfEEvlllT_PT11_llS8_llS6_PT12_llPT13_lli
                                        ; -- End function
	.set _ZN12_GLOBAL__N_127rocblas_gemm_batched_kernelIfLi16ELi16ELi32ELi32ELi8ELi32ELi8ELi8ELi32ELc84ELc78EKPKfS3_KPfEEvlllT_PT11_llS8_llS6_PT12_llPT13_lli.num_vgpr, 58
	.set _ZN12_GLOBAL__N_127rocblas_gemm_batched_kernelIfLi16ELi16ELi32ELi32ELi8ELi32ELi8ELi8ELi32ELc84ELc78EKPKfS3_KPfEEvlllT_PT11_llS8_llS6_PT12_llPT13_lli.num_agpr, 0
	.set _ZN12_GLOBAL__N_127rocblas_gemm_batched_kernelIfLi16ELi16ELi32ELi32ELi8ELi32ELi8ELi8ELi32ELc84ELc78EKPKfS3_KPfEEvlllT_PT11_llS8_llS6_PT12_llPT13_lli.numbered_sgpr, 40
	.set _ZN12_GLOBAL__N_127rocblas_gemm_batched_kernelIfLi16ELi16ELi32ELi32ELi8ELi32ELi8ELi8ELi32ELc84ELc78EKPKfS3_KPfEEvlllT_PT11_llS8_llS6_PT12_llPT13_lli.num_named_barrier, 0
	.set _ZN12_GLOBAL__N_127rocblas_gemm_batched_kernelIfLi16ELi16ELi32ELi32ELi8ELi32ELi8ELi8ELi32ELc84ELc78EKPKfS3_KPfEEvlllT_PT11_llS8_llS6_PT12_llPT13_lli.private_seg_size, 0
	.set _ZN12_GLOBAL__N_127rocblas_gemm_batched_kernelIfLi16ELi16ELi32ELi32ELi8ELi32ELi8ELi8ELi32ELc84ELc78EKPKfS3_KPfEEvlllT_PT11_llS8_llS6_PT12_llPT13_lli.uses_vcc, 1
	.set _ZN12_GLOBAL__N_127rocblas_gemm_batched_kernelIfLi16ELi16ELi32ELi32ELi8ELi32ELi8ELi8ELi32ELc84ELc78EKPKfS3_KPfEEvlllT_PT11_llS8_llS6_PT12_llPT13_lli.uses_flat_scratch, 0
	.set _ZN12_GLOBAL__N_127rocblas_gemm_batched_kernelIfLi16ELi16ELi32ELi32ELi8ELi32ELi8ELi8ELi32ELc84ELc78EKPKfS3_KPfEEvlllT_PT11_llS8_llS6_PT12_llPT13_lli.has_dyn_sized_stack, 0
	.set _ZN12_GLOBAL__N_127rocblas_gemm_batched_kernelIfLi16ELi16ELi32ELi32ELi8ELi32ELi8ELi8ELi32ELc84ELc78EKPKfS3_KPfEEvlllT_PT11_llS8_llS6_PT12_llPT13_lli.has_recursion, 0
	.set _ZN12_GLOBAL__N_127rocblas_gemm_batched_kernelIfLi16ELi16ELi32ELi32ELi8ELi32ELi8ELi8ELi32ELc84ELc78EKPKfS3_KPfEEvlllT_PT11_llS8_llS6_PT12_llPT13_lli.has_indirect_call, 0
	.section	.AMDGPU.csdata,"",@progbits
; Kernel info:
; codeLenInByte = 1308
; TotalNumSgprs: 46
; NumVgprs: 58
; NumAgprs: 0
; TotalNumVgprs: 58
; ScratchSize: 0
; MemoryBound: 0
; FloatMode: 240
; IeeeMode: 1
; LDSByteSize: 2048 bytes/workgroup (compile time only)
; SGPRBlocks: 5
; VGPRBlocks: 7
; NumSGPRsForWavesPerEU: 46
; NumVGPRsForWavesPerEU: 58
; AccumOffset: 60
; Occupancy: 8
; WaveLimiterHint : 1
; COMPUTE_PGM_RSRC2:SCRATCH_EN: 0
; COMPUTE_PGM_RSRC2:USER_SGPR: 2
; COMPUTE_PGM_RSRC2:TRAP_HANDLER: 0
; COMPUTE_PGM_RSRC2:TGID_X_EN: 1
; COMPUTE_PGM_RSRC2:TGID_Y_EN: 1
; COMPUTE_PGM_RSRC2:TGID_Z_EN: 1
; COMPUTE_PGM_RSRC2:TIDIG_COMP_CNT: 1
; COMPUTE_PGM_RSRC3_GFX90A:ACCUM_OFFSET: 14
; COMPUTE_PGM_RSRC3_GFX90A:TG_SPLIT: 0
	.section	.text._ZN12_GLOBAL__N_127rocblas_gemm_batched_kernelIfLi16ELi16ELi32ELi32ELi8ELi32ELi8ELi8ELi32ELc78ELc84EKPKfS3_KPfEEvlllT_PT11_llS8_llS6_PT12_llPT13_lli,"axG",@progbits,_ZN12_GLOBAL__N_127rocblas_gemm_batched_kernelIfLi16ELi16ELi32ELi32ELi8ELi32ELi8ELi8ELi32ELc78ELc84EKPKfS3_KPfEEvlllT_PT11_llS8_llS6_PT12_llPT13_lli,comdat
	.globl	_ZN12_GLOBAL__N_127rocblas_gemm_batched_kernelIfLi16ELi16ELi32ELi32ELi8ELi32ELi8ELi8ELi32ELc78ELc84EKPKfS3_KPfEEvlllT_PT11_llS8_llS6_PT12_llPT13_lli ; -- Begin function _ZN12_GLOBAL__N_127rocblas_gemm_batched_kernelIfLi16ELi16ELi32ELi32ELi8ELi32ELi8ELi8ELi32ELc78ELc84EKPKfS3_KPfEEvlllT_PT11_llS8_llS6_PT12_llPT13_lli
	.p2align	8
	.type	_ZN12_GLOBAL__N_127rocblas_gemm_batched_kernelIfLi16ELi16ELi32ELi32ELi8ELi32ELi8ELi8ELi32ELc78ELc84EKPKfS3_KPfEEvlllT_PT11_llS8_llS6_PT12_llPT13_lli,@function
_ZN12_GLOBAL__N_127rocblas_gemm_batched_kernelIfLi16ELi16ELi32ELi32ELi8ELi32ELi8ELi8ELi32ELc78ELc84EKPKfS3_KPfEEvlllT_PT11_llS8_llS6_PT12_llPT13_lli: ; @_ZN12_GLOBAL__N_127rocblas_gemm_batched_kernelIfLi16ELi16ELi32ELi32ELi8ELi32ELi8ELi8ELi32ELc78ELc84EKPKfS3_KPfEEvlllT_PT11_llS8_llS6_PT12_llPT13_lli
; %bb.0:
	s_load_dwordx2 s[30:31], s[0:1], 0x10
	s_load_dwordx4 s[24:27], s[0:1], 0x78
	s_load_dwordx8 s[8:15], s[0:1], 0x58
	s_mov_b32 s5, 0
	s_lshl_b64 s[34:35], s[4:5], 3
	s_mov_b32 s6, s3
	v_mov_b32_e32 v3, 0
	s_waitcnt lgkmcnt(0)
	s_add_u32 s4, s8, s34
	s_addc_u32 s5, s9, s35
	s_load_dwordx2 s[8:9], s[4:5], 0x0
	s_add_u32 s4, s14, s34
	s_addc_u32 s5, s15, s35
	s_load_dwordx2 s[14:15], s[4:5], 0x0
	s_ashr_i32 s3, s2, 31
	s_ashr_i32 s7, s6, 31
	v_cmp_lt_i64_e64 s[4:5], s[30:31], 1
	v_bfe_u32 v2, v0, 10, 10
	v_and_b32_e32 v4, 0x3ff, v0
	v_mov_b32_e32 v5, v3
	s_lshl_b64 s[2:3], s[2:3], 5
	s_lshl_b64 s[28:29], s[6:7], 5
	s_and_b64 vcc, exec, s[4:5]
	v_mov_b32_e32 v7, v3
	v_mov_b32_e32 v6, v3
	;; [unrolled: 1-line block ×4, first 2 shown]
	s_cbranch_vccnz .LBB187_3
; %bb.1:
	s_load_dwordx8 s[16:23], s[0:1], 0x20
	s_load_dwordx4 s[4:7], s[0:1], 0x40
	v_lshl_add_u32 v8, v2, 4, v4
	v_and_b32_e32 v6, 31, v8
	v_lshrrev_b32_e32 v0, 3, v8
	s_waitcnt lgkmcnt(0)
	s_add_u32 s16, s16, s34
	s_addc_u32 s17, s17, s35
	s_add_u32 s22, s22, s34
	v_and_b32_e32 v10, 7, v4
	v_lshrrev_b32_e32 v12, 5, v8
	v_lshlrev_b32_e32 v8, 2, v6
	s_addc_u32 s23, s23, s35
	v_lshl_or_b32 v14, v12, 7, v8
	v_lshlrev_b32_e32 v8, 2, v10
	s_load_dwordx2 s[22:23], s[22:23], 0x0
	v_lshl_or_b32 v8, v0, 5, v8
	v_mov_b32_e32 v1, 0
	v_add_u32_e32 v15, 0x400, v8
	v_mov_b32_e32 v8, 0x400
	v_lshl_add_u32 v17, v2, 5, v8
	v_mad_u64_u32 v[8:9], s[34:35], s4, v10, v[0:1]
	v_mov_b32_e32 v0, v9
	s_lshl_b64 s[6:7], s[6:7], 2
	v_mad_u64_u32 v[10:11], s[34:35], s5, v10, v[0:1]
	s_load_dwordx2 s[16:17], s[16:17], 0x0
	v_mov_b32_e32 v9, v10
	s_waitcnt lgkmcnt(0)
	s_add_u32 s6, s22, s6
	v_lshl_add_u64 v[8:9], v[8:9], 0, s[28:29]
	s_addc_u32 s7, s23, s7
	v_mov_b64_e32 v[10:11], s[2:3]
	v_lshl_add_u64 v[8:9], v[8:9], 2, s[6:7]
	s_lshl_b64 s[6:7], s[20:21], 2
	v_mad_u64_u32 v[10:11], s[20:21], s18, v12, v[10:11]
	v_mov_b32_e32 v0, v11
	s_lshl_b64 s[4:5], s[4:5], 5
	v_mad_u64_u32 v[12:13], s[20:21], s19, v12, v[0:1]
	v_mov_b32_e32 v7, v1
	v_mov_b32_e32 v11, v12
	s_add_u32 s6, s16, s6
	v_lshl_add_u64 v[6:7], v[10:11], 0, v[6:7]
	s_addc_u32 s7, s17, s7
	v_lshlrev_b32_e32 v16, 2, v4
	v_lshl_add_u64 v[10:11], v[6:7], 2, s[6:7]
	s_lshl_b64 s[6:7], s[18:19], 5
	s_mov_b64 s[16:17], 0
	v_mov_b64_e32 v[12:13], s[30:31]
	v_mov_b32_e32 v0, v1
	v_mov_b32_e32 v6, v1
	;; [unrolled: 1-line block ×3, first 2 shown]
.LBB187_2:                              ; =>This Inner Loop Header: Depth=1
	flat_load_dword v18, v[10:11]
	s_add_u32 s16, s16, 8
	s_addc_u32 s17, s17, 0
	v_cmp_lt_i64_e32 vcc, s[16:17], v[12:13]
	v_lshl_add_u64 v[10:11], v[10:11], 0, s[6:7]
	s_and_b64 vcc, exec, vcc
	s_waitcnt vmcnt(0) lgkmcnt(0)
	ds_write_b32 v14, v18
	flat_load_dword v18, v[8:9]
	v_lshl_add_u64 v[8:9], v[8:9], 0, s[4:5]
	s_waitcnt vmcnt(0) lgkmcnt(0)
	ds_write_b32 v15, v18
	s_waitcnt lgkmcnt(0)
	s_barrier
	ds_read_b128 v[18:21], v17
	ds_read_b128 v[22:25], v17 offset:16
	ds_read2_b32 v[36:37], v16 offset1:16
	ds_read2_b32 v[38:39], v16 offset0:32 offset1:48
	ds_read2_b32 v[40:41], v16 offset0:64 offset1:80
	;; [unrolled: 1-line block ×4, first 2 shown]
	ds_read_b128 v[26:29], v17 offset:512
	ds_read_b128 v[30:33], v17 offset:528
	ds_read2_b32 v[48:49], v16 offset0:160 offset1:176
	ds_read2_b32 v[50:51], v16 offset0:192 offset1:208
	;; [unrolled: 1-line block ×3, first 2 shown]
	s_waitcnt lgkmcnt(9)
	v_mov_b32_e32 v34, v37
	v_mov_b32_e32 v35, v36
	s_waitcnt lgkmcnt(8)
	v_mov_b32_e32 v36, v39
	v_mov_b32_e32 v37, v38
	v_pk_fma_f32 v[6:7], v[34:35], v[18:19], v[6:7] op_sel_hi:[1,0,1]
	s_waitcnt lgkmcnt(4)
	v_pk_fma_f32 v[0:1], v[34:35], v[26:27], v[0:1] op_sel_hi:[1,0,1]
	v_mov_b32_e32 v38, v41
	v_mov_b32_e32 v39, v40
	v_pk_fma_f32 v[6:7], v[36:37], v[18:19], v[6:7] op_sel:[0,1,0]
	v_pk_fma_f32 v[0:1], v[36:37], v[26:27], v[0:1] op_sel:[0,1,0]
	v_mov_b32_e32 v40, v43
	v_mov_b32_e32 v41, v42
	;; [unrolled: 1-line block ×4, first 2 shown]
	v_pk_fma_f32 v[6:7], v[38:39], v[20:21], v[6:7] op_sel_hi:[1,0,1]
	v_pk_fma_f32 v[0:1], v[38:39], v[28:29], v[0:1] op_sel_hi:[1,0,1]
	v_mov_b32_e32 v44, v47
	v_mov_b32_e32 v45, v46
	v_pk_fma_f32 v[6:7], v[40:41], v[42:43], v[6:7] op_sel_hi:[1,0,1]
	v_pk_fma_f32 v[0:1], v[40:41], v[54:55], v[0:1] op_sel_hi:[1,0,1]
	s_waitcnt lgkmcnt(2)
	v_mov_b32_e32 v46, v49
	v_mov_b32_e32 v47, v48
	v_pk_fma_f32 v[6:7], v[44:45], v[22:23], v[6:7] op_sel_hi:[1,0,1]
	v_pk_fma_f32 v[0:1], v[44:45], v[30:31], v[0:1] op_sel_hi:[1,0,1]
	s_waitcnt lgkmcnt(1)
	v_mov_b32_e32 v48, v51
	v_mov_b32_e32 v49, v50
	v_pk_fma_f32 v[6:7], v[46:47], v[22:23], v[6:7] op_sel:[0,1,0]
	v_pk_fma_f32 v[0:1], v[46:47], v[30:31], v[0:1] op_sel:[0,1,0]
	s_waitcnt lgkmcnt(0)
	v_mov_b32_e32 v50, v53
	v_mov_b32_e32 v51, v52
	;; [unrolled: 1-line block ×4, first 2 shown]
	v_pk_fma_f32 v[6:7], v[48:49], v[24:25], v[6:7] op_sel_hi:[1,0,1]
	v_pk_fma_f32 v[0:1], v[48:49], v[32:33], v[0:1] op_sel_hi:[1,0,1]
	;; [unrolled: 1-line block ×4, first 2 shown]
	s_barrier
	s_cbranch_vccnz .LBB187_2
.LBB187_3:
	s_load_dword s4, s[0:1], 0x18
	s_load_dword s5, s[0:1], 0x50
	s_lshl_b64 s[0:1], s[26:27], 2
	s_waitcnt lgkmcnt(0)
	s_add_u32 s0, s14, s0
	v_lshl_add_u64 v[8:9], s[28:29], 0, v[2:3]
	v_lshl_add_u64 v[2:3], s[2:3], 0, v[4:5]
	v_cmp_neq_f32_e64 s[6:7], s5, 0
	s_addc_u32 s1, s15, s1
	s_and_b64 vcc, exec, s[6:7]
	v_mul_lo_u32 v4, v9, s24
	v_mul_lo_u32 v5, v8, s25
	v_lshlrev_b64 v[2:3], 2, v[2:3]
	s_cbranch_vccnz .LBB187_7
; %bb.4:
	v_mad_u64_u32 v[10:11], s[2:3], v8, s24, 0
	v_add3_u32 v11, v11, v5, v4
	v_lshl_add_u64 v[10:11], v[10:11], 2, s[0:1]
	v_mul_f32_e32 v14, s4, v7
	v_lshl_add_u64 v[12:13], v[10:11], 0, v[2:3]
	s_lshl_b64 s[2:3], s[24:25], 6
	flat_store_dword v[12:13], v14
	v_mul_f32_e32 v14, s4, v6
	v_lshl_add_u64 v[10:11], v[10:11], 0, s[2:3]
	flat_store_dword v[12:13], v14 offset:64
	v_mul_f32_e32 v12, s4, v1
	v_lshl_add_u64 v[10:11], v[10:11], 0, v[2:3]
	flat_store_dword v[10:11], v12
	v_mul_f32_e32 v12, s4, v0
	flat_store_dword v[10:11], v12 offset:64
	s_cbranch_execnz .LBB187_6
.LBB187_5:
	s_lshl_b64 s[2:3], s[12:13], 2
	s_add_u32 s2, s8, s2
	v_mul_lo_u32 v9, v9, s10
	v_mul_lo_u32 v12, v8, s11
	v_mad_u64_u32 v[10:11], s[6:7], v8, s10, 0
	s_addc_u32 s3, s9, s3
	v_add3_u32 v11, v11, v12, v9
	v_lshl_add_u64 v[10:11], v[10:11], 2, s[2:3]
	v_lshl_add_u64 v[12:13], v[10:11], 0, v[2:3]
	flat_load_dword v14, v[12:13]
	v_mad_u64_u32 v[8:9], s[2:3], v8, s24, 0
	v_add3_u32 v9, v9, v5, v4
	v_lshl_add_u64 v[4:5], v[8:9], 2, s[0:1]
	v_lshl_add_u64 v[8:9], v[4:5], 0, v[2:3]
	s_lshl_b64 s[0:1], s[10:11], 6
	v_lshl_add_u64 v[10:11], v[10:11], 0, s[0:1]
	v_lshl_add_u64 v[10:11], v[10:11], 0, v[2:3]
	s_lshl_b64 s[0:1], s[24:25], 6
	v_lshl_add_u64 v[4:5], v[4:5], 0, s[0:1]
	v_lshl_add_u64 v[2:3], v[4:5], 0, v[2:3]
	s_waitcnt vmcnt(0) lgkmcnt(0)
	v_mul_f32_e32 v14, s5, v14
	v_fmac_f32_e32 v14, s4, v7
	flat_store_dword v[8:9], v14
	flat_load_dword v7, v[12:13] offset:64
	s_waitcnt vmcnt(0) lgkmcnt(0)
	v_mul_f32_e32 v7, s5, v7
	v_fmac_f32_e32 v7, s4, v6
	flat_store_dword v[8:9], v7 offset:64
	flat_load_dword v6, v[10:11]
	s_waitcnt vmcnt(0) lgkmcnt(0)
	v_mul_f32_e32 v6, s5, v6
	v_fmac_f32_e32 v6, s4, v1
	flat_store_dword v[2:3], v6
	flat_load_dword v1, v[10:11] offset:64
	s_waitcnt vmcnt(0) lgkmcnt(0)
	v_mul_f32_e32 v1, s5, v1
	v_fmac_f32_e32 v1, s4, v0
	flat_store_dword v[2:3], v1 offset:64
.LBB187_6:
	s_endpgm
.LBB187_7:
	s_branch .LBB187_5
	.section	.rodata,"a",@progbits
	.p2align	6, 0x0
	.amdhsa_kernel _ZN12_GLOBAL__N_127rocblas_gemm_batched_kernelIfLi16ELi16ELi32ELi32ELi8ELi32ELi8ELi8ELi32ELc78ELc84EKPKfS3_KPfEEvlllT_PT11_llS8_llS6_PT12_llPT13_lli
		.amdhsa_group_segment_fixed_size 2048
		.amdhsa_private_segment_fixed_size 0
		.amdhsa_kernarg_size 140
		.amdhsa_user_sgpr_count 2
		.amdhsa_user_sgpr_dispatch_ptr 0
		.amdhsa_user_sgpr_queue_ptr 0
		.amdhsa_user_sgpr_kernarg_segment_ptr 1
		.amdhsa_user_sgpr_dispatch_id 0
		.amdhsa_user_sgpr_kernarg_preload_length 0
		.amdhsa_user_sgpr_kernarg_preload_offset 0
		.amdhsa_user_sgpr_private_segment_size 0
		.amdhsa_uses_dynamic_stack 0
		.amdhsa_enable_private_segment 0
		.amdhsa_system_sgpr_workgroup_id_x 1
		.amdhsa_system_sgpr_workgroup_id_y 1
		.amdhsa_system_sgpr_workgroup_id_z 1
		.amdhsa_system_sgpr_workgroup_info 0
		.amdhsa_system_vgpr_workitem_id 1
		.amdhsa_next_free_vgpr 58
		.amdhsa_next_free_sgpr 36
		.amdhsa_accum_offset 60
		.amdhsa_reserve_vcc 1
		.amdhsa_float_round_mode_32 0
		.amdhsa_float_round_mode_16_64 0
		.amdhsa_float_denorm_mode_32 3
		.amdhsa_float_denorm_mode_16_64 3
		.amdhsa_dx10_clamp 1
		.amdhsa_ieee_mode 1
		.amdhsa_fp16_overflow 0
		.amdhsa_tg_split 0
		.amdhsa_exception_fp_ieee_invalid_op 0
		.amdhsa_exception_fp_denorm_src 0
		.amdhsa_exception_fp_ieee_div_zero 0
		.amdhsa_exception_fp_ieee_overflow 0
		.amdhsa_exception_fp_ieee_underflow 0
		.amdhsa_exception_fp_ieee_inexact 0
		.amdhsa_exception_int_div_zero 0
	.end_amdhsa_kernel
	.section	.text._ZN12_GLOBAL__N_127rocblas_gemm_batched_kernelIfLi16ELi16ELi32ELi32ELi8ELi32ELi8ELi8ELi32ELc78ELc84EKPKfS3_KPfEEvlllT_PT11_llS8_llS6_PT12_llPT13_lli,"axG",@progbits,_ZN12_GLOBAL__N_127rocblas_gemm_batched_kernelIfLi16ELi16ELi32ELi32ELi8ELi32ELi8ELi8ELi32ELc78ELc84EKPKfS3_KPfEEvlllT_PT11_llS8_llS6_PT12_llPT13_lli,comdat
.Lfunc_end187:
	.size	_ZN12_GLOBAL__N_127rocblas_gemm_batched_kernelIfLi16ELi16ELi32ELi32ELi8ELi32ELi8ELi8ELi32ELc78ELc84EKPKfS3_KPfEEvlllT_PT11_llS8_llS6_PT12_llPT13_lli, .Lfunc_end187-_ZN12_GLOBAL__N_127rocblas_gemm_batched_kernelIfLi16ELi16ELi32ELi32ELi8ELi32ELi8ELi8ELi32ELc78ELc84EKPKfS3_KPfEEvlllT_PT11_llS8_llS6_PT12_llPT13_lli
                                        ; -- End function
	.set _ZN12_GLOBAL__N_127rocblas_gemm_batched_kernelIfLi16ELi16ELi32ELi32ELi8ELi32ELi8ELi8ELi32ELc78ELc84EKPKfS3_KPfEEvlllT_PT11_llS8_llS6_PT12_llPT13_lli.num_vgpr, 58
	.set _ZN12_GLOBAL__N_127rocblas_gemm_batched_kernelIfLi16ELi16ELi32ELi32ELi8ELi32ELi8ELi8ELi32ELc78ELc84EKPKfS3_KPfEEvlllT_PT11_llS8_llS6_PT12_llPT13_lli.num_agpr, 0
	.set _ZN12_GLOBAL__N_127rocblas_gemm_batched_kernelIfLi16ELi16ELi32ELi32ELi8ELi32ELi8ELi8ELi32ELc78ELc84EKPKfS3_KPfEEvlllT_PT11_llS8_llS6_PT12_llPT13_lli.numbered_sgpr, 36
	.set _ZN12_GLOBAL__N_127rocblas_gemm_batched_kernelIfLi16ELi16ELi32ELi32ELi8ELi32ELi8ELi8ELi32ELc78ELc84EKPKfS3_KPfEEvlllT_PT11_llS8_llS6_PT12_llPT13_lli.num_named_barrier, 0
	.set _ZN12_GLOBAL__N_127rocblas_gemm_batched_kernelIfLi16ELi16ELi32ELi32ELi8ELi32ELi8ELi8ELi32ELc78ELc84EKPKfS3_KPfEEvlllT_PT11_llS8_llS6_PT12_llPT13_lli.private_seg_size, 0
	.set _ZN12_GLOBAL__N_127rocblas_gemm_batched_kernelIfLi16ELi16ELi32ELi32ELi8ELi32ELi8ELi8ELi32ELc78ELc84EKPKfS3_KPfEEvlllT_PT11_llS8_llS6_PT12_llPT13_lli.uses_vcc, 1
	.set _ZN12_GLOBAL__N_127rocblas_gemm_batched_kernelIfLi16ELi16ELi32ELi32ELi8ELi32ELi8ELi8ELi32ELc78ELc84EKPKfS3_KPfEEvlllT_PT11_llS8_llS6_PT12_llPT13_lli.uses_flat_scratch, 0
	.set _ZN12_GLOBAL__N_127rocblas_gemm_batched_kernelIfLi16ELi16ELi32ELi32ELi8ELi32ELi8ELi8ELi32ELc78ELc84EKPKfS3_KPfEEvlllT_PT11_llS8_llS6_PT12_llPT13_lli.has_dyn_sized_stack, 0
	.set _ZN12_GLOBAL__N_127rocblas_gemm_batched_kernelIfLi16ELi16ELi32ELi32ELi8ELi32ELi8ELi8ELi32ELc78ELc84EKPKfS3_KPfEEvlllT_PT11_llS8_llS6_PT12_llPT13_lli.has_recursion, 0
	.set _ZN12_GLOBAL__N_127rocblas_gemm_batched_kernelIfLi16ELi16ELi32ELi32ELi8ELi32ELi8ELi8ELi32ELc78ELc84EKPKfS3_KPfEEvlllT_PT11_llS8_llS6_PT12_llPT13_lli.has_indirect_call, 0
	.section	.AMDGPU.csdata,"",@progbits
; Kernel info:
; codeLenInByte = 1280
; TotalNumSgprs: 42
; NumVgprs: 58
; NumAgprs: 0
; TotalNumVgprs: 58
; ScratchSize: 0
; MemoryBound: 0
; FloatMode: 240
; IeeeMode: 1
; LDSByteSize: 2048 bytes/workgroup (compile time only)
; SGPRBlocks: 5
; VGPRBlocks: 7
; NumSGPRsForWavesPerEU: 42
; NumVGPRsForWavesPerEU: 58
; AccumOffset: 60
; Occupancy: 8
; WaveLimiterHint : 1
; COMPUTE_PGM_RSRC2:SCRATCH_EN: 0
; COMPUTE_PGM_RSRC2:USER_SGPR: 2
; COMPUTE_PGM_RSRC2:TRAP_HANDLER: 0
; COMPUTE_PGM_RSRC2:TGID_X_EN: 1
; COMPUTE_PGM_RSRC2:TGID_Y_EN: 1
; COMPUTE_PGM_RSRC2:TGID_Z_EN: 1
; COMPUTE_PGM_RSRC2:TIDIG_COMP_CNT: 1
; COMPUTE_PGM_RSRC3_GFX90A:ACCUM_OFFSET: 14
; COMPUTE_PGM_RSRC3_GFX90A:TG_SPLIT: 0
	.section	.text._ZN12_GLOBAL__N_127rocblas_gemm_batched_kernelIfLi16ELi16ELi32ELi32ELi8ELi32ELi8ELi8ELi32ELc84ELc84EKPKfS3_KPfEEvlllT_PT11_llS8_llS6_PT12_llPT13_lli,"axG",@progbits,_ZN12_GLOBAL__N_127rocblas_gemm_batched_kernelIfLi16ELi16ELi32ELi32ELi8ELi32ELi8ELi8ELi32ELc84ELc84EKPKfS3_KPfEEvlllT_PT11_llS8_llS6_PT12_llPT13_lli,comdat
	.globl	_ZN12_GLOBAL__N_127rocblas_gemm_batched_kernelIfLi16ELi16ELi32ELi32ELi8ELi32ELi8ELi8ELi32ELc84ELc84EKPKfS3_KPfEEvlllT_PT11_llS8_llS6_PT12_llPT13_lli ; -- Begin function _ZN12_GLOBAL__N_127rocblas_gemm_batched_kernelIfLi16ELi16ELi32ELi32ELi8ELi32ELi8ELi8ELi32ELc84ELc84EKPKfS3_KPfEEvlllT_PT11_llS8_llS6_PT12_llPT13_lli
	.p2align	8
	.type	_ZN12_GLOBAL__N_127rocblas_gemm_batched_kernelIfLi16ELi16ELi32ELi32ELi8ELi32ELi8ELi8ELi32ELc84ELc84EKPKfS3_KPfEEvlllT_PT11_llS8_llS6_PT12_llPT13_lli,@function
_ZN12_GLOBAL__N_127rocblas_gemm_batched_kernelIfLi16ELi16ELi32ELi32ELi8ELi32ELi8ELi8ELi32ELc84ELc84EKPKfS3_KPfEEvlllT_PT11_llS8_llS6_PT12_llPT13_lli: ; @_ZN12_GLOBAL__N_127rocblas_gemm_batched_kernelIfLi16ELi16ELi32ELi32ELi8ELi32ELi8ELi8ELi32ELc84ELc84EKPKfS3_KPfEEvlllT_PT11_llS8_llS6_PT12_llPT13_lli
; %bb.0:
	s_load_dwordx2 s[30:31], s[0:1], 0x10
	s_load_dwordx4 s[24:27], s[0:1], 0x78
	s_load_dwordx8 s[8:15], s[0:1], 0x58
	s_mov_b32 s5, 0
	s_lshl_b64 s[34:35], s[4:5], 3
	s_mov_b32 s6, s3
	v_mov_b32_e32 v3, 0
	s_waitcnt lgkmcnt(0)
	s_add_u32 s4, s8, s34
	s_addc_u32 s5, s9, s35
	s_load_dwordx2 s[8:9], s[4:5], 0x0
	s_add_u32 s4, s14, s34
	s_addc_u32 s5, s15, s35
	s_load_dwordx2 s[14:15], s[4:5], 0x0
	s_ashr_i32 s3, s2, 31
	s_ashr_i32 s7, s6, 31
	v_cmp_lt_i64_e64 s[4:5], s[30:31], 1
	v_bfe_u32 v2, v0, 10, 10
	v_and_b32_e32 v4, 0x3ff, v0
	v_mov_b32_e32 v5, v3
	s_lshl_b64 s[2:3], s[2:3], 5
	s_lshl_b64 s[28:29], s[6:7], 5
	s_and_b64 vcc, exec, s[4:5]
	v_mov_b32_e32 v7, v3
	v_mov_b32_e32 v6, v3
	;; [unrolled: 1-line block ×4, first 2 shown]
	s_cbranch_vccnz .LBB188_3
; %bb.1:
	s_load_dwordx8 s[16:23], s[0:1], 0x20
	s_load_dwordx4 s[4:7], s[0:1], 0x40
	v_lshl_add_u32 v8, v2, 4, v4
	v_and_b32_e32 v6, 31, v8
	v_lshrrev_b32_e32 v0, 3, v8
	s_waitcnt lgkmcnt(0)
	s_add_u32 s16, s16, s34
	s_addc_u32 s17, s17, s35
	s_add_u32 s22, s22, s34
	v_and_b32_e32 v10, 7, v4
	v_lshrrev_b32_e32 v12, 5, v8
	v_lshlrev_b32_e32 v8, 2, v6
	s_addc_u32 s23, s23, s35
	v_lshl_or_b32 v14, v12, 7, v8
	v_lshlrev_b32_e32 v8, 2, v10
	s_load_dwordx2 s[22:23], s[22:23], 0x0
	v_lshl_or_b32 v8, v0, 5, v8
	v_mov_b32_e32 v1, 0
	v_add_u32_e32 v15, 0x400, v8
	v_mov_b32_e32 v8, 0x400
	v_lshl_add_u32 v17, v2, 5, v8
	v_mad_u64_u32 v[8:9], s[34:35], s4, v10, v[0:1]
	v_mov_b32_e32 v0, v9
	s_lshl_b64 s[6:7], s[6:7], 2
	v_mad_u64_u32 v[10:11], s[34:35], s5, v10, v[0:1]
	v_mov_b32_e32 v7, v1
	v_mov_b32_e32 v9, v10
	s_waitcnt lgkmcnt(0)
	s_add_u32 s6, s22, s6
	s_load_dwordx2 s[16:17], s[16:17], 0x0
	v_lshl_add_u64 v[8:9], v[8:9], 0, s[28:29]
	s_addc_u32 s7, s23, s7
	v_lshl_add_u64 v[6:7], s[2:3], 0, v[6:7]
	v_lshl_add_u64 v[8:9], v[8:9], 2, s[6:7]
	v_mul_lo_u32 v0, s19, v6
	v_mul_lo_u32 v10, s18, v7
	v_mad_u64_u32 v[6:7], s[6:7], s18, v6, 0
	v_add3_u32 v7, v7, v10, v0
	s_lshl_b64 s[6:7], s[20:21], 2
	v_lshl_add_u64 v[6:7], v[6:7], 2, s[6:7]
	v_lshlrev_b32_e32 v0, 2, v12
	v_lshl_add_u64 v[6:7], v[6:7], 0, v[0:1]
	v_lshlrev_b32_e32 v16, 2, v4
	s_lshl_b64 s[4:5], s[4:5], 5
	s_waitcnt lgkmcnt(0)
	v_lshl_add_u64 v[10:11], s[16:17], 0, v[6:7]
	s_mov_b64 s[6:7], 0
	v_mov_b64_e32 v[12:13], s[30:31]
	v_mov_b32_e32 v0, v1
	v_mov_b32_e32 v6, v1
	;; [unrolled: 1-line block ×3, first 2 shown]
.LBB188_2:                              ; =>This Inner Loop Header: Depth=1
	flat_load_dword v18, v[10:11]
	s_add_u32 s6, s6, 8
	s_addc_u32 s7, s7, 0
	v_cmp_lt_i64_e32 vcc, s[6:7], v[12:13]
	v_lshl_add_u64 v[10:11], v[10:11], 0, 32
	s_and_b64 vcc, exec, vcc
	s_waitcnt vmcnt(0) lgkmcnt(0)
	ds_write_b32 v14, v18
	flat_load_dword v18, v[8:9]
	v_lshl_add_u64 v[8:9], v[8:9], 0, s[4:5]
	s_waitcnt vmcnt(0) lgkmcnt(0)
	ds_write_b32 v15, v18
	s_waitcnt lgkmcnt(0)
	s_barrier
	ds_read_b128 v[18:21], v17
	ds_read_b128 v[22:25], v17 offset:16
	ds_read2_b32 v[36:37], v16 offset1:16
	ds_read2_b32 v[38:39], v16 offset0:32 offset1:48
	ds_read2_b32 v[40:41], v16 offset0:64 offset1:80
	;; [unrolled: 1-line block ×4, first 2 shown]
	ds_read_b128 v[26:29], v17 offset:512
	ds_read_b128 v[30:33], v17 offset:528
	ds_read2_b32 v[48:49], v16 offset0:160 offset1:176
	ds_read2_b32 v[50:51], v16 offset0:192 offset1:208
	;; [unrolled: 1-line block ×3, first 2 shown]
	s_waitcnt lgkmcnt(9)
	v_mov_b32_e32 v34, v37
	v_mov_b32_e32 v35, v36
	s_waitcnt lgkmcnt(8)
	v_mov_b32_e32 v36, v39
	v_mov_b32_e32 v37, v38
	v_pk_fma_f32 v[6:7], v[34:35], v[18:19], v[6:7] op_sel_hi:[1,0,1]
	s_waitcnt lgkmcnt(4)
	v_pk_fma_f32 v[0:1], v[34:35], v[26:27], v[0:1] op_sel_hi:[1,0,1]
	v_mov_b32_e32 v38, v41
	v_mov_b32_e32 v39, v40
	v_pk_fma_f32 v[6:7], v[36:37], v[18:19], v[6:7] op_sel:[0,1,0]
	v_pk_fma_f32 v[0:1], v[36:37], v[26:27], v[0:1] op_sel:[0,1,0]
	v_mov_b32_e32 v40, v43
	v_mov_b32_e32 v41, v42
	;; [unrolled: 1-line block ×4, first 2 shown]
	v_pk_fma_f32 v[6:7], v[38:39], v[20:21], v[6:7] op_sel_hi:[1,0,1]
	v_pk_fma_f32 v[0:1], v[38:39], v[28:29], v[0:1] op_sel_hi:[1,0,1]
	v_mov_b32_e32 v44, v47
	v_mov_b32_e32 v45, v46
	v_pk_fma_f32 v[6:7], v[40:41], v[42:43], v[6:7] op_sel_hi:[1,0,1]
	v_pk_fma_f32 v[0:1], v[40:41], v[54:55], v[0:1] op_sel_hi:[1,0,1]
	s_waitcnt lgkmcnt(2)
	v_mov_b32_e32 v46, v49
	v_mov_b32_e32 v47, v48
	v_pk_fma_f32 v[6:7], v[44:45], v[22:23], v[6:7] op_sel_hi:[1,0,1]
	v_pk_fma_f32 v[0:1], v[44:45], v[30:31], v[0:1] op_sel_hi:[1,0,1]
	s_waitcnt lgkmcnt(1)
	v_mov_b32_e32 v48, v51
	v_mov_b32_e32 v49, v50
	v_pk_fma_f32 v[6:7], v[46:47], v[22:23], v[6:7] op_sel:[0,1,0]
	v_pk_fma_f32 v[0:1], v[46:47], v[30:31], v[0:1] op_sel:[0,1,0]
	s_waitcnt lgkmcnt(0)
	v_mov_b32_e32 v50, v53
	v_mov_b32_e32 v51, v52
	;; [unrolled: 1-line block ×4, first 2 shown]
	v_pk_fma_f32 v[6:7], v[48:49], v[24:25], v[6:7] op_sel_hi:[1,0,1]
	v_pk_fma_f32 v[0:1], v[48:49], v[32:33], v[0:1] op_sel_hi:[1,0,1]
	v_pk_fma_f32 v[6:7], v[50:51], v[52:53], v[6:7] op_sel_hi:[1,0,1]
	v_pk_fma_f32 v[0:1], v[50:51], v[56:57], v[0:1] op_sel_hi:[1,0,1]
	s_barrier
	s_cbranch_vccnz .LBB188_2
.LBB188_3:
	s_load_dword s4, s[0:1], 0x18
	s_load_dword s5, s[0:1], 0x50
	s_lshl_b64 s[0:1], s[26:27], 2
	s_waitcnt lgkmcnt(0)
	s_add_u32 s0, s14, s0
	v_lshl_add_u64 v[8:9], s[28:29], 0, v[2:3]
	v_lshl_add_u64 v[2:3], s[2:3], 0, v[4:5]
	v_cmp_neq_f32_e64 s[6:7], s5, 0
	s_addc_u32 s1, s15, s1
	s_and_b64 vcc, exec, s[6:7]
	v_mul_lo_u32 v4, v9, s24
	v_mul_lo_u32 v5, v8, s25
	v_lshlrev_b64 v[2:3], 2, v[2:3]
	s_cbranch_vccnz .LBB188_7
; %bb.4:
	v_mad_u64_u32 v[10:11], s[2:3], v8, s24, 0
	v_add3_u32 v11, v11, v5, v4
	v_lshl_add_u64 v[10:11], v[10:11], 2, s[0:1]
	v_mul_f32_e32 v14, s4, v7
	v_lshl_add_u64 v[12:13], v[10:11], 0, v[2:3]
	s_lshl_b64 s[2:3], s[24:25], 6
	flat_store_dword v[12:13], v14
	v_mul_f32_e32 v14, s4, v6
	v_lshl_add_u64 v[10:11], v[10:11], 0, s[2:3]
	flat_store_dword v[12:13], v14 offset:64
	v_mul_f32_e32 v12, s4, v1
	v_lshl_add_u64 v[10:11], v[10:11], 0, v[2:3]
	flat_store_dword v[10:11], v12
	v_mul_f32_e32 v12, s4, v0
	flat_store_dword v[10:11], v12 offset:64
	s_cbranch_execnz .LBB188_6
.LBB188_5:
	s_lshl_b64 s[2:3], s[12:13], 2
	s_add_u32 s2, s8, s2
	v_mul_lo_u32 v9, v9, s10
	v_mul_lo_u32 v12, v8, s11
	v_mad_u64_u32 v[10:11], s[6:7], v8, s10, 0
	s_addc_u32 s3, s9, s3
	v_add3_u32 v11, v11, v12, v9
	v_lshl_add_u64 v[10:11], v[10:11], 2, s[2:3]
	v_lshl_add_u64 v[12:13], v[10:11], 0, v[2:3]
	flat_load_dword v14, v[12:13]
	v_mad_u64_u32 v[8:9], s[2:3], v8, s24, 0
	v_add3_u32 v9, v9, v5, v4
	v_lshl_add_u64 v[4:5], v[8:9], 2, s[0:1]
	v_lshl_add_u64 v[8:9], v[4:5], 0, v[2:3]
	s_lshl_b64 s[0:1], s[10:11], 6
	v_lshl_add_u64 v[10:11], v[10:11], 0, s[0:1]
	v_lshl_add_u64 v[10:11], v[10:11], 0, v[2:3]
	s_lshl_b64 s[0:1], s[24:25], 6
	v_lshl_add_u64 v[4:5], v[4:5], 0, s[0:1]
	v_lshl_add_u64 v[2:3], v[4:5], 0, v[2:3]
	s_waitcnt vmcnt(0) lgkmcnt(0)
	v_mul_f32_e32 v14, s5, v14
	v_fmac_f32_e32 v14, s4, v7
	flat_store_dword v[8:9], v14
	flat_load_dword v7, v[12:13] offset:64
	s_waitcnt vmcnt(0) lgkmcnt(0)
	v_mul_f32_e32 v7, s5, v7
	v_fmac_f32_e32 v7, s4, v6
	flat_store_dword v[8:9], v7 offset:64
	flat_load_dword v6, v[10:11]
	s_waitcnt vmcnt(0) lgkmcnt(0)
	v_mul_f32_e32 v6, s5, v6
	v_fmac_f32_e32 v6, s4, v1
	flat_store_dword v[2:3], v6
	flat_load_dword v1, v[10:11] offset:64
	s_waitcnt vmcnt(0) lgkmcnt(0)
	v_mul_f32_e32 v1, s5, v1
	v_fmac_f32_e32 v1, s4, v0
	flat_store_dword v[2:3], v1 offset:64
.LBB188_6:
	s_endpgm
.LBB188_7:
	s_branch .LBB188_5
	.section	.rodata,"a",@progbits
	.p2align	6, 0x0
	.amdhsa_kernel _ZN12_GLOBAL__N_127rocblas_gemm_batched_kernelIfLi16ELi16ELi32ELi32ELi8ELi32ELi8ELi8ELi32ELc84ELc84EKPKfS3_KPfEEvlllT_PT11_llS8_llS6_PT12_llPT13_lli
		.amdhsa_group_segment_fixed_size 2048
		.amdhsa_private_segment_fixed_size 0
		.amdhsa_kernarg_size 140
		.amdhsa_user_sgpr_count 2
		.amdhsa_user_sgpr_dispatch_ptr 0
		.amdhsa_user_sgpr_queue_ptr 0
		.amdhsa_user_sgpr_kernarg_segment_ptr 1
		.amdhsa_user_sgpr_dispatch_id 0
		.amdhsa_user_sgpr_kernarg_preload_length 0
		.amdhsa_user_sgpr_kernarg_preload_offset 0
		.amdhsa_user_sgpr_private_segment_size 0
		.amdhsa_uses_dynamic_stack 0
		.amdhsa_enable_private_segment 0
		.amdhsa_system_sgpr_workgroup_id_x 1
		.amdhsa_system_sgpr_workgroup_id_y 1
		.amdhsa_system_sgpr_workgroup_id_z 1
		.amdhsa_system_sgpr_workgroup_info 0
		.amdhsa_system_vgpr_workitem_id 1
		.amdhsa_next_free_vgpr 58
		.amdhsa_next_free_sgpr 36
		.amdhsa_accum_offset 60
		.amdhsa_reserve_vcc 1
		.amdhsa_float_round_mode_32 0
		.amdhsa_float_round_mode_16_64 0
		.amdhsa_float_denorm_mode_32 3
		.amdhsa_float_denorm_mode_16_64 3
		.amdhsa_dx10_clamp 1
		.amdhsa_ieee_mode 1
		.amdhsa_fp16_overflow 0
		.amdhsa_tg_split 0
		.amdhsa_exception_fp_ieee_invalid_op 0
		.amdhsa_exception_fp_denorm_src 0
		.amdhsa_exception_fp_ieee_div_zero 0
		.amdhsa_exception_fp_ieee_overflow 0
		.amdhsa_exception_fp_ieee_underflow 0
		.amdhsa_exception_fp_ieee_inexact 0
		.amdhsa_exception_int_div_zero 0
	.end_amdhsa_kernel
	.section	.text._ZN12_GLOBAL__N_127rocblas_gemm_batched_kernelIfLi16ELi16ELi32ELi32ELi8ELi32ELi8ELi8ELi32ELc84ELc84EKPKfS3_KPfEEvlllT_PT11_llS8_llS6_PT12_llPT13_lli,"axG",@progbits,_ZN12_GLOBAL__N_127rocblas_gemm_batched_kernelIfLi16ELi16ELi32ELi32ELi8ELi32ELi8ELi8ELi32ELc84ELc84EKPKfS3_KPfEEvlllT_PT11_llS8_llS6_PT12_llPT13_lli,comdat
.Lfunc_end188:
	.size	_ZN12_GLOBAL__N_127rocblas_gemm_batched_kernelIfLi16ELi16ELi32ELi32ELi8ELi32ELi8ELi8ELi32ELc84ELc84EKPKfS3_KPfEEvlllT_PT11_llS8_llS6_PT12_llPT13_lli, .Lfunc_end188-_ZN12_GLOBAL__N_127rocblas_gemm_batched_kernelIfLi16ELi16ELi32ELi32ELi8ELi32ELi8ELi8ELi32ELc84ELc84EKPKfS3_KPfEEvlllT_PT11_llS8_llS6_PT12_llPT13_lli
                                        ; -- End function
	.set _ZN12_GLOBAL__N_127rocblas_gemm_batched_kernelIfLi16ELi16ELi32ELi32ELi8ELi32ELi8ELi8ELi32ELc84ELc84EKPKfS3_KPfEEvlllT_PT11_llS8_llS6_PT12_llPT13_lli.num_vgpr, 58
	.set _ZN12_GLOBAL__N_127rocblas_gemm_batched_kernelIfLi16ELi16ELi32ELi32ELi8ELi32ELi8ELi8ELi32ELc84ELc84EKPKfS3_KPfEEvlllT_PT11_llS8_llS6_PT12_llPT13_lli.num_agpr, 0
	.set _ZN12_GLOBAL__N_127rocblas_gemm_batched_kernelIfLi16ELi16ELi32ELi32ELi8ELi32ELi8ELi8ELi32ELc84ELc84EKPKfS3_KPfEEvlllT_PT11_llS8_llS6_PT12_llPT13_lli.numbered_sgpr, 36
	.set _ZN12_GLOBAL__N_127rocblas_gemm_batched_kernelIfLi16ELi16ELi32ELi32ELi8ELi32ELi8ELi8ELi32ELc84ELc84EKPKfS3_KPfEEvlllT_PT11_llS8_llS6_PT12_llPT13_lli.num_named_barrier, 0
	.set _ZN12_GLOBAL__N_127rocblas_gemm_batched_kernelIfLi16ELi16ELi32ELi32ELi8ELi32ELi8ELi8ELi32ELc84ELc84EKPKfS3_KPfEEvlllT_PT11_llS8_llS6_PT12_llPT13_lli.private_seg_size, 0
	.set _ZN12_GLOBAL__N_127rocblas_gemm_batched_kernelIfLi16ELi16ELi32ELi32ELi8ELi32ELi8ELi8ELi32ELc84ELc84EKPKfS3_KPfEEvlllT_PT11_llS8_llS6_PT12_llPT13_lli.uses_vcc, 1
	.set _ZN12_GLOBAL__N_127rocblas_gemm_batched_kernelIfLi16ELi16ELi32ELi32ELi8ELi32ELi8ELi8ELi32ELc84ELc84EKPKfS3_KPfEEvlllT_PT11_llS8_llS6_PT12_llPT13_lli.uses_flat_scratch, 0
	.set _ZN12_GLOBAL__N_127rocblas_gemm_batched_kernelIfLi16ELi16ELi32ELi32ELi8ELi32ELi8ELi8ELi32ELc84ELc84EKPKfS3_KPfEEvlllT_PT11_llS8_llS6_PT12_llPT13_lli.has_dyn_sized_stack, 0
	.set _ZN12_GLOBAL__N_127rocblas_gemm_batched_kernelIfLi16ELi16ELi32ELi32ELi8ELi32ELi8ELi8ELi32ELc84ELc84EKPKfS3_KPfEEvlllT_PT11_llS8_llS6_PT12_llPT13_lli.has_recursion, 0
	.set _ZN12_GLOBAL__N_127rocblas_gemm_batched_kernelIfLi16ELi16ELi32ELi32ELi8ELi32ELi8ELi8ELi32ELc84ELc84EKPKfS3_KPfEEvlllT_PT11_llS8_llS6_PT12_llPT13_lli.has_indirect_call, 0
	.section	.AMDGPU.csdata,"",@progbits
; Kernel info:
; codeLenInByte = 1296
; TotalNumSgprs: 42
; NumVgprs: 58
; NumAgprs: 0
; TotalNumVgprs: 58
; ScratchSize: 0
; MemoryBound: 0
; FloatMode: 240
; IeeeMode: 1
; LDSByteSize: 2048 bytes/workgroup (compile time only)
; SGPRBlocks: 5
; VGPRBlocks: 7
; NumSGPRsForWavesPerEU: 42
; NumVGPRsForWavesPerEU: 58
; AccumOffset: 60
; Occupancy: 8
; WaveLimiterHint : 1
; COMPUTE_PGM_RSRC2:SCRATCH_EN: 0
; COMPUTE_PGM_RSRC2:USER_SGPR: 2
; COMPUTE_PGM_RSRC2:TRAP_HANDLER: 0
; COMPUTE_PGM_RSRC2:TGID_X_EN: 1
; COMPUTE_PGM_RSRC2:TGID_Y_EN: 1
; COMPUTE_PGM_RSRC2:TGID_Z_EN: 1
; COMPUTE_PGM_RSRC2:TIDIG_COMP_CNT: 1
; COMPUTE_PGM_RSRC3_GFX90A:ACCUM_OFFSET: 14
; COMPUTE_PGM_RSRC3_GFX90A:TG_SPLIT: 0
	.section	.text._ZN12_GLOBAL__N_127rocblas_gemm_batched_kernelIfLi16ELi16ELi32ELi32ELi8ELi32ELi8ELi8ELi32ELc67ELc67EKPKfS3_KPfEEvlllT_PT11_llS8_llS6_PT12_llPT13_lli,"axG",@progbits,_ZN12_GLOBAL__N_127rocblas_gemm_batched_kernelIfLi16ELi16ELi32ELi32ELi8ELi32ELi8ELi8ELi32ELc67ELc67EKPKfS3_KPfEEvlllT_PT11_llS8_llS6_PT12_llPT13_lli,comdat
	.globl	_ZN12_GLOBAL__N_127rocblas_gemm_batched_kernelIfLi16ELi16ELi32ELi32ELi8ELi32ELi8ELi8ELi32ELc67ELc67EKPKfS3_KPfEEvlllT_PT11_llS8_llS6_PT12_llPT13_lli ; -- Begin function _ZN12_GLOBAL__N_127rocblas_gemm_batched_kernelIfLi16ELi16ELi32ELi32ELi8ELi32ELi8ELi8ELi32ELc67ELc67EKPKfS3_KPfEEvlllT_PT11_llS8_llS6_PT12_llPT13_lli
	.p2align	8
	.type	_ZN12_GLOBAL__N_127rocblas_gemm_batched_kernelIfLi16ELi16ELi32ELi32ELi8ELi32ELi8ELi8ELi32ELc67ELc67EKPKfS3_KPfEEvlllT_PT11_llS8_llS6_PT12_llPT13_lli,@function
_ZN12_GLOBAL__N_127rocblas_gemm_batched_kernelIfLi16ELi16ELi32ELi32ELi8ELi32ELi8ELi8ELi32ELc67ELc67EKPKfS3_KPfEEvlllT_PT11_llS8_llS6_PT12_llPT13_lli: ; @_ZN12_GLOBAL__N_127rocblas_gemm_batched_kernelIfLi16ELi16ELi32ELi32ELi8ELi32ELi8ELi8ELi32ELc67ELc67EKPKfS3_KPfEEvlllT_PT11_llS8_llS6_PT12_llPT13_lli
; %bb.0:
	s_load_dwordx2 s[30:31], s[0:1], 0x10
	s_load_dwordx4 s[24:27], s[0:1], 0x78
	s_load_dwordx8 s[8:15], s[0:1], 0x58
	s_mov_b32 s5, 0
	s_lshl_b64 s[34:35], s[4:5], 3
	s_mov_b32 s6, s3
	v_mov_b32_e32 v3, 0
	s_waitcnt lgkmcnt(0)
	s_add_u32 s4, s8, s34
	s_addc_u32 s5, s9, s35
	s_load_dwordx2 s[8:9], s[4:5], 0x0
	s_add_u32 s4, s14, s34
	s_addc_u32 s5, s15, s35
	s_load_dwordx2 s[14:15], s[4:5], 0x0
	s_ashr_i32 s3, s2, 31
	s_ashr_i32 s7, s6, 31
	v_cmp_lt_i64_e64 s[4:5], s[30:31], 1
	v_bfe_u32 v2, v0, 10, 10
	v_and_b32_e32 v4, 0x3ff, v0
	v_mov_b32_e32 v5, v3
	s_lshl_b64 s[2:3], s[2:3], 5
	s_lshl_b64 s[28:29], s[6:7], 5
	s_and_b64 vcc, exec, s[4:5]
	v_mov_b32_e32 v7, v3
	v_mov_b32_e32 v6, v3
	;; [unrolled: 1-line block ×4, first 2 shown]
	s_cbranch_vccnz .LBB189_3
; %bb.1:
	s_load_dwordx8 s[16:23], s[0:1], 0x20
	s_load_dwordx4 s[4:7], s[0:1], 0x40
	v_lshl_add_u32 v8, v2, 4, v4
	v_and_b32_e32 v6, 31, v8
	v_lshrrev_b32_e32 v0, 3, v8
	s_waitcnt lgkmcnt(0)
	s_add_u32 s16, s16, s34
	s_addc_u32 s17, s17, s35
	s_add_u32 s22, s22, s34
	v_and_b32_e32 v10, 7, v4
	v_lshrrev_b32_e32 v12, 5, v8
	v_lshlrev_b32_e32 v8, 2, v6
	s_addc_u32 s23, s23, s35
	v_lshl_or_b32 v14, v12, 7, v8
	v_lshlrev_b32_e32 v8, 2, v10
	s_load_dwordx2 s[22:23], s[22:23], 0x0
	v_lshl_or_b32 v8, v0, 5, v8
	v_mov_b32_e32 v1, 0
	v_add_u32_e32 v15, 0x400, v8
	v_mov_b32_e32 v8, 0x400
	v_lshl_add_u32 v17, v2, 5, v8
	v_mad_u64_u32 v[8:9], s[34:35], s4, v10, v[0:1]
	v_mov_b32_e32 v0, v9
	s_lshl_b64 s[6:7], s[6:7], 2
	v_mad_u64_u32 v[10:11], s[34:35], s5, v10, v[0:1]
	v_mov_b32_e32 v7, v1
	v_mov_b32_e32 v9, v10
	s_waitcnt lgkmcnt(0)
	s_add_u32 s6, s22, s6
	s_load_dwordx2 s[16:17], s[16:17], 0x0
	v_lshl_add_u64 v[8:9], v[8:9], 0, s[28:29]
	s_addc_u32 s7, s23, s7
	v_lshl_add_u64 v[6:7], s[2:3], 0, v[6:7]
	v_lshl_add_u64 v[8:9], v[8:9], 2, s[6:7]
	v_mul_lo_u32 v0, s19, v6
	v_mul_lo_u32 v10, s18, v7
	v_mad_u64_u32 v[6:7], s[6:7], s18, v6, 0
	v_add3_u32 v7, v7, v10, v0
	s_lshl_b64 s[6:7], s[20:21], 2
	v_lshl_add_u64 v[6:7], v[6:7], 2, s[6:7]
	v_lshlrev_b32_e32 v0, 2, v12
	v_lshl_add_u64 v[6:7], v[6:7], 0, v[0:1]
	v_lshlrev_b32_e32 v16, 2, v4
	s_lshl_b64 s[4:5], s[4:5], 5
	s_waitcnt lgkmcnt(0)
	v_lshl_add_u64 v[10:11], s[16:17], 0, v[6:7]
	s_mov_b64 s[6:7], 0
	v_mov_b64_e32 v[12:13], s[30:31]
	v_mov_b32_e32 v0, v1
	v_mov_b32_e32 v6, v1
	;; [unrolled: 1-line block ×3, first 2 shown]
.LBB189_2:                              ; =>This Inner Loop Header: Depth=1
	flat_load_dword v18, v[10:11]
	s_add_u32 s6, s6, 8
	s_addc_u32 s7, s7, 0
	v_cmp_lt_i64_e32 vcc, s[6:7], v[12:13]
	v_lshl_add_u64 v[10:11], v[10:11], 0, 32
	s_and_b64 vcc, exec, vcc
	s_waitcnt vmcnt(0) lgkmcnt(0)
	ds_write_b32 v14, v18
	flat_load_dword v18, v[8:9]
	v_lshl_add_u64 v[8:9], v[8:9], 0, s[4:5]
	s_waitcnt vmcnt(0) lgkmcnt(0)
	ds_write_b32 v15, v18
	s_waitcnt lgkmcnt(0)
	s_barrier
	ds_read_b128 v[18:21], v17
	ds_read_b128 v[22:25], v17 offset:16
	ds_read2_b32 v[36:37], v16 offset1:16
	ds_read2_b32 v[38:39], v16 offset0:32 offset1:48
	ds_read2_b32 v[40:41], v16 offset0:64 offset1:80
	;; [unrolled: 1-line block ×4, first 2 shown]
	ds_read_b128 v[26:29], v17 offset:512
	ds_read_b128 v[30:33], v17 offset:528
	ds_read2_b32 v[48:49], v16 offset0:160 offset1:176
	ds_read2_b32 v[50:51], v16 offset0:192 offset1:208
	;; [unrolled: 1-line block ×3, first 2 shown]
	s_waitcnt lgkmcnt(9)
	v_mov_b32_e32 v34, v37
	v_mov_b32_e32 v35, v36
	s_waitcnt lgkmcnt(8)
	v_mov_b32_e32 v36, v39
	v_mov_b32_e32 v37, v38
	v_pk_fma_f32 v[6:7], v[34:35], v[18:19], v[6:7] op_sel_hi:[1,0,1]
	s_waitcnt lgkmcnt(4)
	v_pk_fma_f32 v[0:1], v[34:35], v[26:27], v[0:1] op_sel_hi:[1,0,1]
	v_mov_b32_e32 v38, v41
	v_mov_b32_e32 v39, v40
	v_pk_fma_f32 v[6:7], v[36:37], v[18:19], v[6:7] op_sel:[0,1,0]
	v_pk_fma_f32 v[0:1], v[36:37], v[26:27], v[0:1] op_sel:[0,1,0]
	v_mov_b32_e32 v40, v43
	v_mov_b32_e32 v41, v42
	;; [unrolled: 1-line block ×4, first 2 shown]
	v_pk_fma_f32 v[6:7], v[38:39], v[20:21], v[6:7] op_sel_hi:[1,0,1]
	v_pk_fma_f32 v[0:1], v[38:39], v[28:29], v[0:1] op_sel_hi:[1,0,1]
	v_mov_b32_e32 v44, v47
	v_mov_b32_e32 v45, v46
	v_pk_fma_f32 v[6:7], v[40:41], v[42:43], v[6:7] op_sel_hi:[1,0,1]
	v_pk_fma_f32 v[0:1], v[40:41], v[54:55], v[0:1] op_sel_hi:[1,0,1]
	s_waitcnt lgkmcnt(2)
	v_mov_b32_e32 v46, v49
	v_mov_b32_e32 v47, v48
	v_pk_fma_f32 v[6:7], v[44:45], v[22:23], v[6:7] op_sel_hi:[1,0,1]
	v_pk_fma_f32 v[0:1], v[44:45], v[30:31], v[0:1] op_sel_hi:[1,0,1]
	s_waitcnt lgkmcnt(1)
	v_mov_b32_e32 v48, v51
	v_mov_b32_e32 v49, v50
	v_pk_fma_f32 v[6:7], v[46:47], v[22:23], v[6:7] op_sel:[0,1,0]
	v_pk_fma_f32 v[0:1], v[46:47], v[30:31], v[0:1] op_sel:[0,1,0]
	s_waitcnt lgkmcnt(0)
	v_mov_b32_e32 v50, v53
	v_mov_b32_e32 v51, v52
	;; [unrolled: 1-line block ×4, first 2 shown]
	v_pk_fma_f32 v[6:7], v[48:49], v[24:25], v[6:7] op_sel_hi:[1,0,1]
	v_pk_fma_f32 v[0:1], v[48:49], v[32:33], v[0:1] op_sel_hi:[1,0,1]
	;; [unrolled: 1-line block ×4, first 2 shown]
	s_barrier
	s_cbranch_vccnz .LBB189_2
.LBB189_3:
	s_load_dword s4, s[0:1], 0x18
	s_load_dword s5, s[0:1], 0x50
	s_lshl_b64 s[0:1], s[26:27], 2
	s_waitcnt lgkmcnt(0)
	s_add_u32 s0, s14, s0
	v_lshl_add_u64 v[8:9], s[28:29], 0, v[2:3]
	v_lshl_add_u64 v[2:3], s[2:3], 0, v[4:5]
	v_cmp_neq_f32_e64 s[6:7], s5, 0
	s_addc_u32 s1, s15, s1
	s_and_b64 vcc, exec, s[6:7]
	v_mul_lo_u32 v4, v9, s24
	v_mul_lo_u32 v5, v8, s25
	v_lshlrev_b64 v[2:3], 2, v[2:3]
	s_cbranch_vccnz .LBB189_7
; %bb.4:
	v_mad_u64_u32 v[10:11], s[2:3], v8, s24, 0
	v_add3_u32 v11, v11, v5, v4
	v_lshl_add_u64 v[10:11], v[10:11], 2, s[0:1]
	v_mul_f32_e32 v14, s4, v7
	v_lshl_add_u64 v[12:13], v[10:11], 0, v[2:3]
	s_lshl_b64 s[2:3], s[24:25], 6
	flat_store_dword v[12:13], v14
	v_mul_f32_e32 v14, s4, v6
	v_lshl_add_u64 v[10:11], v[10:11], 0, s[2:3]
	flat_store_dword v[12:13], v14 offset:64
	v_mul_f32_e32 v12, s4, v1
	v_lshl_add_u64 v[10:11], v[10:11], 0, v[2:3]
	flat_store_dword v[10:11], v12
	v_mul_f32_e32 v12, s4, v0
	flat_store_dword v[10:11], v12 offset:64
	s_cbranch_execnz .LBB189_6
.LBB189_5:
	s_lshl_b64 s[2:3], s[12:13], 2
	s_add_u32 s2, s8, s2
	v_mul_lo_u32 v9, v9, s10
	v_mul_lo_u32 v12, v8, s11
	v_mad_u64_u32 v[10:11], s[6:7], v8, s10, 0
	s_addc_u32 s3, s9, s3
	v_add3_u32 v11, v11, v12, v9
	v_lshl_add_u64 v[10:11], v[10:11], 2, s[2:3]
	v_lshl_add_u64 v[12:13], v[10:11], 0, v[2:3]
	flat_load_dword v14, v[12:13]
	v_mad_u64_u32 v[8:9], s[2:3], v8, s24, 0
	v_add3_u32 v9, v9, v5, v4
	v_lshl_add_u64 v[4:5], v[8:9], 2, s[0:1]
	v_lshl_add_u64 v[8:9], v[4:5], 0, v[2:3]
	s_lshl_b64 s[0:1], s[10:11], 6
	v_lshl_add_u64 v[10:11], v[10:11], 0, s[0:1]
	v_lshl_add_u64 v[10:11], v[10:11], 0, v[2:3]
	s_lshl_b64 s[0:1], s[24:25], 6
	v_lshl_add_u64 v[4:5], v[4:5], 0, s[0:1]
	v_lshl_add_u64 v[2:3], v[4:5], 0, v[2:3]
	s_waitcnt vmcnt(0) lgkmcnt(0)
	v_mul_f32_e32 v14, s5, v14
	v_fmac_f32_e32 v14, s4, v7
	flat_store_dword v[8:9], v14
	flat_load_dword v7, v[12:13] offset:64
	s_waitcnt vmcnt(0) lgkmcnt(0)
	v_mul_f32_e32 v7, s5, v7
	v_fmac_f32_e32 v7, s4, v6
	flat_store_dword v[8:9], v7 offset:64
	flat_load_dword v6, v[10:11]
	s_waitcnt vmcnt(0) lgkmcnt(0)
	v_mul_f32_e32 v6, s5, v6
	v_fmac_f32_e32 v6, s4, v1
	flat_store_dword v[2:3], v6
	flat_load_dword v1, v[10:11] offset:64
	s_waitcnt vmcnt(0) lgkmcnt(0)
	v_mul_f32_e32 v1, s5, v1
	v_fmac_f32_e32 v1, s4, v0
	flat_store_dword v[2:3], v1 offset:64
.LBB189_6:
	s_endpgm
.LBB189_7:
	s_branch .LBB189_5
	.section	.rodata,"a",@progbits
	.p2align	6, 0x0
	.amdhsa_kernel _ZN12_GLOBAL__N_127rocblas_gemm_batched_kernelIfLi16ELi16ELi32ELi32ELi8ELi32ELi8ELi8ELi32ELc67ELc67EKPKfS3_KPfEEvlllT_PT11_llS8_llS6_PT12_llPT13_lli
		.amdhsa_group_segment_fixed_size 2048
		.amdhsa_private_segment_fixed_size 0
		.amdhsa_kernarg_size 140
		.amdhsa_user_sgpr_count 2
		.amdhsa_user_sgpr_dispatch_ptr 0
		.amdhsa_user_sgpr_queue_ptr 0
		.amdhsa_user_sgpr_kernarg_segment_ptr 1
		.amdhsa_user_sgpr_dispatch_id 0
		.amdhsa_user_sgpr_kernarg_preload_length 0
		.amdhsa_user_sgpr_kernarg_preload_offset 0
		.amdhsa_user_sgpr_private_segment_size 0
		.amdhsa_uses_dynamic_stack 0
		.amdhsa_enable_private_segment 0
		.amdhsa_system_sgpr_workgroup_id_x 1
		.amdhsa_system_sgpr_workgroup_id_y 1
		.amdhsa_system_sgpr_workgroup_id_z 1
		.amdhsa_system_sgpr_workgroup_info 0
		.amdhsa_system_vgpr_workitem_id 1
		.amdhsa_next_free_vgpr 58
		.amdhsa_next_free_sgpr 36
		.amdhsa_accum_offset 60
		.amdhsa_reserve_vcc 1
		.amdhsa_float_round_mode_32 0
		.amdhsa_float_round_mode_16_64 0
		.amdhsa_float_denorm_mode_32 3
		.amdhsa_float_denorm_mode_16_64 3
		.amdhsa_dx10_clamp 1
		.amdhsa_ieee_mode 1
		.amdhsa_fp16_overflow 0
		.amdhsa_tg_split 0
		.amdhsa_exception_fp_ieee_invalid_op 0
		.amdhsa_exception_fp_denorm_src 0
		.amdhsa_exception_fp_ieee_div_zero 0
		.amdhsa_exception_fp_ieee_overflow 0
		.amdhsa_exception_fp_ieee_underflow 0
		.amdhsa_exception_fp_ieee_inexact 0
		.amdhsa_exception_int_div_zero 0
	.end_amdhsa_kernel
	.section	.text._ZN12_GLOBAL__N_127rocblas_gemm_batched_kernelIfLi16ELi16ELi32ELi32ELi8ELi32ELi8ELi8ELi32ELc67ELc67EKPKfS3_KPfEEvlllT_PT11_llS8_llS6_PT12_llPT13_lli,"axG",@progbits,_ZN12_GLOBAL__N_127rocblas_gemm_batched_kernelIfLi16ELi16ELi32ELi32ELi8ELi32ELi8ELi8ELi32ELc67ELc67EKPKfS3_KPfEEvlllT_PT11_llS8_llS6_PT12_llPT13_lli,comdat
.Lfunc_end189:
	.size	_ZN12_GLOBAL__N_127rocblas_gemm_batched_kernelIfLi16ELi16ELi32ELi32ELi8ELi32ELi8ELi8ELi32ELc67ELc67EKPKfS3_KPfEEvlllT_PT11_llS8_llS6_PT12_llPT13_lli, .Lfunc_end189-_ZN12_GLOBAL__N_127rocblas_gemm_batched_kernelIfLi16ELi16ELi32ELi32ELi8ELi32ELi8ELi8ELi32ELc67ELc67EKPKfS3_KPfEEvlllT_PT11_llS8_llS6_PT12_llPT13_lli
                                        ; -- End function
	.set _ZN12_GLOBAL__N_127rocblas_gemm_batched_kernelIfLi16ELi16ELi32ELi32ELi8ELi32ELi8ELi8ELi32ELc67ELc67EKPKfS3_KPfEEvlllT_PT11_llS8_llS6_PT12_llPT13_lli.num_vgpr, 58
	.set _ZN12_GLOBAL__N_127rocblas_gemm_batched_kernelIfLi16ELi16ELi32ELi32ELi8ELi32ELi8ELi8ELi32ELc67ELc67EKPKfS3_KPfEEvlllT_PT11_llS8_llS6_PT12_llPT13_lli.num_agpr, 0
	.set _ZN12_GLOBAL__N_127rocblas_gemm_batched_kernelIfLi16ELi16ELi32ELi32ELi8ELi32ELi8ELi8ELi32ELc67ELc67EKPKfS3_KPfEEvlllT_PT11_llS8_llS6_PT12_llPT13_lli.numbered_sgpr, 36
	.set _ZN12_GLOBAL__N_127rocblas_gemm_batched_kernelIfLi16ELi16ELi32ELi32ELi8ELi32ELi8ELi8ELi32ELc67ELc67EKPKfS3_KPfEEvlllT_PT11_llS8_llS6_PT12_llPT13_lli.num_named_barrier, 0
	.set _ZN12_GLOBAL__N_127rocblas_gemm_batched_kernelIfLi16ELi16ELi32ELi32ELi8ELi32ELi8ELi8ELi32ELc67ELc67EKPKfS3_KPfEEvlllT_PT11_llS8_llS6_PT12_llPT13_lli.private_seg_size, 0
	.set _ZN12_GLOBAL__N_127rocblas_gemm_batched_kernelIfLi16ELi16ELi32ELi32ELi8ELi32ELi8ELi8ELi32ELc67ELc67EKPKfS3_KPfEEvlllT_PT11_llS8_llS6_PT12_llPT13_lli.uses_vcc, 1
	.set _ZN12_GLOBAL__N_127rocblas_gemm_batched_kernelIfLi16ELi16ELi32ELi32ELi8ELi32ELi8ELi8ELi32ELc67ELc67EKPKfS3_KPfEEvlllT_PT11_llS8_llS6_PT12_llPT13_lli.uses_flat_scratch, 0
	.set _ZN12_GLOBAL__N_127rocblas_gemm_batched_kernelIfLi16ELi16ELi32ELi32ELi8ELi32ELi8ELi8ELi32ELc67ELc67EKPKfS3_KPfEEvlllT_PT11_llS8_llS6_PT12_llPT13_lli.has_dyn_sized_stack, 0
	.set _ZN12_GLOBAL__N_127rocblas_gemm_batched_kernelIfLi16ELi16ELi32ELi32ELi8ELi32ELi8ELi8ELi32ELc67ELc67EKPKfS3_KPfEEvlllT_PT11_llS8_llS6_PT12_llPT13_lli.has_recursion, 0
	.set _ZN12_GLOBAL__N_127rocblas_gemm_batched_kernelIfLi16ELi16ELi32ELi32ELi8ELi32ELi8ELi8ELi32ELc67ELc67EKPKfS3_KPfEEvlllT_PT11_llS8_llS6_PT12_llPT13_lli.has_indirect_call, 0
	.section	.AMDGPU.csdata,"",@progbits
; Kernel info:
; codeLenInByte = 1296
; TotalNumSgprs: 42
; NumVgprs: 58
; NumAgprs: 0
; TotalNumVgprs: 58
; ScratchSize: 0
; MemoryBound: 0
; FloatMode: 240
; IeeeMode: 1
; LDSByteSize: 2048 bytes/workgroup (compile time only)
; SGPRBlocks: 5
; VGPRBlocks: 7
; NumSGPRsForWavesPerEU: 42
; NumVGPRsForWavesPerEU: 58
; AccumOffset: 60
; Occupancy: 8
; WaveLimiterHint : 1
; COMPUTE_PGM_RSRC2:SCRATCH_EN: 0
; COMPUTE_PGM_RSRC2:USER_SGPR: 2
; COMPUTE_PGM_RSRC2:TRAP_HANDLER: 0
; COMPUTE_PGM_RSRC2:TGID_X_EN: 1
; COMPUTE_PGM_RSRC2:TGID_Y_EN: 1
; COMPUTE_PGM_RSRC2:TGID_Z_EN: 1
; COMPUTE_PGM_RSRC2:TIDIG_COMP_CNT: 1
; COMPUTE_PGM_RSRC3_GFX90A:ACCUM_OFFSET: 14
; COMPUTE_PGM_RSRC3_GFX90A:TG_SPLIT: 0
	.section	.text._ZN12_GLOBAL__N_127rocblas_gemm_batched_kernelIfLi16ELi16ELi32ELi32ELi8ELi32ELi8ELi8ELi32ELc67ELc78EKPKfS3_KPfEEvlllT_PT11_llS8_llS6_PT12_llPT13_lli,"axG",@progbits,_ZN12_GLOBAL__N_127rocblas_gemm_batched_kernelIfLi16ELi16ELi32ELi32ELi8ELi32ELi8ELi8ELi32ELc67ELc78EKPKfS3_KPfEEvlllT_PT11_llS8_llS6_PT12_llPT13_lli,comdat
	.globl	_ZN12_GLOBAL__N_127rocblas_gemm_batched_kernelIfLi16ELi16ELi32ELi32ELi8ELi32ELi8ELi8ELi32ELc67ELc78EKPKfS3_KPfEEvlllT_PT11_llS8_llS6_PT12_llPT13_lli ; -- Begin function _ZN12_GLOBAL__N_127rocblas_gemm_batched_kernelIfLi16ELi16ELi32ELi32ELi8ELi32ELi8ELi8ELi32ELc67ELc78EKPKfS3_KPfEEvlllT_PT11_llS8_llS6_PT12_llPT13_lli
	.p2align	8
	.type	_ZN12_GLOBAL__N_127rocblas_gemm_batched_kernelIfLi16ELi16ELi32ELi32ELi8ELi32ELi8ELi8ELi32ELc67ELc78EKPKfS3_KPfEEvlllT_PT11_llS8_llS6_PT12_llPT13_lli,@function
_ZN12_GLOBAL__N_127rocblas_gemm_batched_kernelIfLi16ELi16ELi32ELi32ELi8ELi32ELi8ELi8ELi32ELc67ELc78EKPKfS3_KPfEEvlllT_PT11_llS8_llS6_PT12_llPT13_lli: ; @_ZN12_GLOBAL__N_127rocblas_gemm_batched_kernelIfLi16ELi16ELi32ELi32ELi8ELi32ELi8ELi8ELi32ELc67ELc78EKPKfS3_KPfEEvlllT_PT11_llS8_llS6_PT12_llPT13_lli
; %bb.0:
	s_load_dwordx2 s[28:29], s[0:1], 0x10
	s_load_dwordx4 s[24:27], s[0:1], 0x78
	s_load_dwordx8 s[8:15], s[0:1], 0x58
	s_mov_b32 s5, 0
	s_lshl_b64 s[30:31], s[4:5], 3
	s_mov_b32 s16, s3
	v_mov_b32_e32 v3, 0
	s_waitcnt lgkmcnt(0)
	s_add_u32 s4, s8, s30
	s_addc_u32 s5, s9, s31
	s_add_u32 s6, s14, s30
	s_addc_u32 s7, s15, s31
	s_load_dwordx2 s[4:5], s[4:5], 0x0
	s_ashr_i32 s3, s2, 31
	s_load_dwordx2 s[6:7], s[6:7], 0x0
	s_ashr_i32 s17, s16, 31
	v_cmp_lt_i64_e64 s[14:15], s[28:29], 1
	v_bfe_u32 v2, v0, 10, 10
	v_and_b32_e32 v4, 0x3ff, v0
	v_mov_b32_e32 v5, v3
	s_lshl_b64 s[2:3], s[2:3], 5
	s_lshl_b64 s[8:9], s[16:17], 5
	s_and_b64 vcc, exec, s[14:15]
	v_mov_b32_e32 v7, v3
	v_mov_b32_e32 v6, v3
	;; [unrolled: 1-line block ×4, first 2 shown]
	s_cbranch_vccnz .LBB190_3
; %bb.1:
	s_load_dwordx8 s[16:23], s[0:1], 0x20
	s_load_dwordx4 s[36:39], s[0:1], 0x40
	v_lshl_add_u32 v8, v2, 4, v4
	v_and_b32_e32 v10, 31, v8
	v_lshrrev_b32_e32 v0, 3, v8
	s_waitcnt lgkmcnt(0)
	s_add_u32 s14, s16, s30
	s_addc_u32 s15, s17, s31
	v_and_b32_e32 v9, 7, v4
	v_lshrrev_b32_e32 v12, 5, v8
	v_lshlrev_b32_e32 v8, 2, v10
	s_add_u32 s16, s22, s30
	v_mov_b32_e32 v1, 0
	v_lshl_or_b32 v14, v12, 7, v8
	v_lshlrev_b32_e32 v8, 2, v9
	s_addc_u32 s17, s23, s31
	v_lshl_add_u64 v[6:7], v[0:1], 0, s[8:9]
	v_lshl_or_b32 v0, v0, 5, v8
	s_load_dwordx2 s[16:17], s[16:17], 0x0
	v_add_u32_e32 v15, 0x400, v0
	v_mov_b32_e32 v0, 0x400
	v_lshl_add_u32 v17, v2, 5, v0
	v_mul_lo_u32 v0, s37, v6
	v_mul_lo_u32 v9, s36, v7
	v_mad_u64_u32 v[6:7], s[22:23], s36, v6, 0
	v_add3_u32 v7, v7, v9, v0
	s_lshl_b64 s[22:23], s[38:39], 2
	v_lshl_add_u64 v[6:7], v[6:7], 2, s[22:23]
	v_mov_b32_e32 v9, v1
	v_mov_b32_e32 v11, v1
	v_lshl_add_u64 v[6:7], v[6:7], 0, v[8:9]
	s_load_dwordx2 s[14:15], s[14:15], 0x0
	s_waitcnt lgkmcnt(0)
	v_lshl_add_u64 v[8:9], s[16:17], 0, v[6:7]
	v_lshl_add_u64 v[6:7], s[2:3], 0, v[10:11]
	v_mul_lo_u32 v0, s19, v6
	v_mul_lo_u32 v10, s18, v7
	v_mad_u64_u32 v[6:7], s[16:17], s18, v6, 0
	v_add3_u32 v7, v7, v10, v0
	s_lshl_b64 s[16:17], s[20:21], 2
	v_lshl_add_u64 v[6:7], v[6:7], 2, s[16:17]
	v_lshlrev_b32_e32 v0, 2, v12
	v_lshl_add_u64 v[6:7], v[6:7], 0, v[0:1]
	v_lshlrev_b32_e32 v16, 2, v4
	v_lshl_add_u64 v[10:11], s[14:15], 0, v[6:7]
	s_mov_b64 s[14:15], 0
	v_mov_b64_e32 v[12:13], s[28:29]
	v_mov_b32_e32 v0, v1
	v_mov_b32_e32 v6, v1
	;; [unrolled: 1-line block ×3, first 2 shown]
.LBB190_2:                              ; =>This Inner Loop Header: Depth=1
	flat_load_dword v18, v[10:11]
	s_add_u32 s14, s14, 8
	s_addc_u32 s15, s15, 0
	v_cmp_lt_i64_e32 vcc, s[14:15], v[12:13]
	v_lshl_add_u64 v[10:11], v[10:11], 0, 32
	s_and_b64 vcc, exec, vcc
	s_waitcnt vmcnt(0) lgkmcnt(0)
	ds_write_b32 v14, v18
	flat_load_dword v18, v[8:9]
	v_lshl_add_u64 v[8:9], v[8:9], 0, 32
	s_waitcnt vmcnt(0) lgkmcnt(0)
	ds_write_b32 v15, v18
	s_waitcnt lgkmcnt(0)
	s_barrier
	ds_read_b128 v[18:21], v17
	ds_read_b128 v[22:25], v17 offset:16
	ds_read2_b32 v[36:37], v16 offset1:16
	ds_read2_b32 v[38:39], v16 offset0:32 offset1:48
	ds_read2_b32 v[40:41], v16 offset0:64 offset1:80
	;; [unrolled: 1-line block ×4, first 2 shown]
	ds_read_b128 v[26:29], v17 offset:512
	ds_read_b128 v[30:33], v17 offset:528
	ds_read2_b32 v[48:49], v16 offset0:160 offset1:176
	ds_read2_b32 v[50:51], v16 offset0:192 offset1:208
	;; [unrolled: 1-line block ×3, first 2 shown]
	s_waitcnt lgkmcnt(9)
	v_mov_b32_e32 v34, v37
	v_mov_b32_e32 v35, v36
	s_waitcnt lgkmcnt(8)
	v_mov_b32_e32 v36, v39
	v_mov_b32_e32 v37, v38
	v_pk_fma_f32 v[6:7], v[34:35], v[18:19], v[6:7] op_sel_hi:[1,0,1]
	s_waitcnt lgkmcnt(4)
	v_pk_fma_f32 v[0:1], v[34:35], v[26:27], v[0:1] op_sel_hi:[1,0,1]
	v_mov_b32_e32 v38, v41
	v_mov_b32_e32 v39, v40
	v_pk_fma_f32 v[6:7], v[36:37], v[18:19], v[6:7] op_sel:[0,1,0]
	v_pk_fma_f32 v[0:1], v[36:37], v[26:27], v[0:1] op_sel:[0,1,0]
	v_mov_b32_e32 v40, v43
	v_mov_b32_e32 v41, v42
	;; [unrolled: 1-line block ×4, first 2 shown]
	v_pk_fma_f32 v[6:7], v[38:39], v[20:21], v[6:7] op_sel_hi:[1,0,1]
	v_pk_fma_f32 v[0:1], v[38:39], v[28:29], v[0:1] op_sel_hi:[1,0,1]
	v_mov_b32_e32 v44, v47
	v_mov_b32_e32 v45, v46
	v_pk_fma_f32 v[6:7], v[40:41], v[42:43], v[6:7] op_sel_hi:[1,0,1]
	v_pk_fma_f32 v[0:1], v[40:41], v[54:55], v[0:1] op_sel_hi:[1,0,1]
	s_waitcnt lgkmcnt(2)
	v_mov_b32_e32 v46, v49
	v_mov_b32_e32 v47, v48
	v_pk_fma_f32 v[6:7], v[44:45], v[22:23], v[6:7] op_sel_hi:[1,0,1]
	v_pk_fma_f32 v[0:1], v[44:45], v[30:31], v[0:1] op_sel_hi:[1,0,1]
	s_waitcnt lgkmcnt(1)
	v_mov_b32_e32 v48, v51
	v_mov_b32_e32 v49, v50
	v_pk_fma_f32 v[6:7], v[46:47], v[22:23], v[6:7] op_sel:[0,1,0]
	v_pk_fma_f32 v[0:1], v[46:47], v[30:31], v[0:1] op_sel:[0,1,0]
	s_waitcnt lgkmcnt(0)
	v_mov_b32_e32 v50, v53
	v_mov_b32_e32 v51, v52
	;; [unrolled: 1-line block ×4, first 2 shown]
	v_pk_fma_f32 v[6:7], v[48:49], v[24:25], v[6:7] op_sel_hi:[1,0,1]
	v_pk_fma_f32 v[0:1], v[48:49], v[32:33], v[0:1] op_sel_hi:[1,0,1]
	;; [unrolled: 1-line block ×4, first 2 shown]
	s_barrier
	s_cbranch_vccnz .LBB190_2
.LBB190_3:
	s_load_dword s14, s[0:1], 0x18
	s_load_dword s15, s[0:1], 0x50
	s_lshl_b64 s[0:1], s[26:27], 2
	s_waitcnt lgkmcnt(0)
	s_add_u32 s0, s6, s0
	s_addc_u32 s1, s7, s1
	v_lshl_add_u64 v[8:9], s[8:9], 0, v[2:3]
	v_cmp_neq_f32_e64 s[6:7], s15, 0
	v_lshl_add_u64 v[2:3], s[2:3], 0, v[4:5]
	s_and_b64 vcc, exec, s[6:7]
	v_mul_lo_u32 v4, v9, s24
	v_mul_lo_u32 v5, v8, s25
	v_lshlrev_b64 v[2:3], 2, v[2:3]
	s_cbranch_vccnz .LBB190_7
; %bb.4:
	v_mad_u64_u32 v[10:11], s[2:3], v8, s24, 0
	v_add3_u32 v11, v11, v5, v4
	v_lshl_add_u64 v[10:11], v[10:11], 2, s[0:1]
	v_mul_f32_e32 v14, s14, v7
	v_lshl_add_u64 v[12:13], v[10:11], 0, v[2:3]
	s_lshl_b64 s[2:3], s[24:25], 6
	flat_store_dword v[12:13], v14
	v_mul_f32_e32 v14, s14, v6
	v_lshl_add_u64 v[10:11], v[10:11], 0, s[2:3]
	flat_store_dword v[12:13], v14 offset:64
	v_mul_f32_e32 v12, s14, v1
	v_lshl_add_u64 v[10:11], v[10:11], 0, v[2:3]
	flat_store_dword v[10:11], v12
	v_mul_f32_e32 v12, s14, v0
	flat_store_dword v[10:11], v12 offset:64
	s_cbranch_execnz .LBB190_6
.LBB190_5:
	s_lshl_b64 s[2:3], s[12:13], 2
	s_add_u32 s2, s4, s2
	s_addc_u32 s3, s5, s3
	v_mul_lo_u32 v9, v9, s10
	v_mul_lo_u32 v12, v8, s11
	v_mad_u64_u32 v[10:11], s[4:5], v8, s10, 0
	v_add3_u32 v11, v11, v12, v9
	v_lshl_add_u64 v[10:11], v[10:11], 2, s[2:3]
	v_lshl_add_u64 v[12:13], v[10:11], 0, v[2:3]
	flat_load_dword v14, v[12:13]
	v_mad_u64_u32 v[8:9], s[2:3], v8, s24, 0
	v_add3_u32 v9, v9, v5, v4
	v_lshl_add_u64 v[4:5], v[8:9], 2, s[0:1]
	v_lshl_add_u64 v[8:9], v[4:5], 0, v[2:3]
	s_lshl_b64 s[0:1], s[10:11], 6
	v_lshl_add_u64 v[10:11], v[10:11], 0, s[0:1]
	v_lshl_add_u64 v[10:11], v[10:11], 0, v[2:3]
	s_lshl_b64 s[0:1], s[24:25], 6
	v_lshl_add_u64 v[4:5], v[4:5], 0, s[0:1]
	v_lshl_add_u64 v[2:3], v[4:5], 0, v[2:3]
	s_waitcnt vmcnt(0) lgkmcnt(0)
	v_mul_f32_e32 v14, s15, v14
	v_fmac_f32_e32 v14, s14, v7
	flat_store_dword v[8:9], v14
	flat_load_dword v7, v[12:13] offset:64
	s_waitcnt vmcnt(0) lgkmcnt(0)
	v_mul_f32_e32 v7, s15, v7
	v_fmac_f32_e32 v7, s14, v6
	flat_store_dword v[8:9], v7 offset:64
	flat_load_dword v6, v[10:11]
	s_waitcnt vmcnt(0) lgkmcnt(0)
	v_mul_f32_e32 v6, s15, v6
	v_fmac_f32_e32 v6, s14, v1
	flat_store_dword v[2:3], v6
	flat_load_dword v1, v[10:11] offset:64
	s_waitcnt vmcnt(0) lgkmcnt(0)
	v_mul_f32_e32 v1, s15, v1
	v_fmac_f32_e32 v1, s14, v0
	flat_store_dword v[2:3], v1 offset:64
.LBB190_6:
	s_endpgm
.LBB190_7:
	s_branch .LBB190_5
	.section	.rodata,"a",@progbits
	.p2align	6, 0x0
	.amdhsa_kernel _ZN12_GLOBAL__N_127rocblas_gemm_batched_kernelIfLi16ELi16ELi32ELi32ELi8ELi32ELi8ELi8ELi32ELc67ELc78EKPKfS3_KPfEEvlllT_PT11_llS8_llS6_PT12_llPT13_lli
		.amdhsa_group_segment_fixed_size 2048
		.amdhsa_private_segment_fixed_size 0
		.amdhsa_kernarg_size 140
		.amdhsa_user_sgpr_count 2
		.amdhsa_user_sgpr_dispatch_ptr 0
		.amdhsa_user_sgpr_queue_ptr 0
		.amdhsa_user_sgpr_kernarg_segment_ptr 1
		.amdhsa_user_sgpr_dispatch_id 0
		.amdhsa_user_sgpr_kernarg_preload_length 0
		.amdhsa_user_sgpr_kernarg_preload_offset 0
		.amdhsa_user_sgpr_private_segment_size 0
		.amdhsa_uses_dynamic_stack 0
		.amdhsa_enable_private_segment 0
		.amdhsa_system_sgpr_workgroup_id_x 1
		.amdhsa_system_sgpr_workgroup_id_y 1
		.amdhsa_system_sgpr_workgroup_id_z 1
		.amdhsa_system_sgpr_workgroup_info 0
		.amdhsa_system_vgpr_workitem_id 1
		.amdhsa_next_free_vgpr 58
		.amdhsa_next_free_sgpr 40
		.amdhsa_accum_offset 60
		.amdhsa_reserve_vcc 1
		.amdhsa_float_round_mode_32 0
		.amdhsa_float_round_mode_16_64 0
		.amdhsa_float_denorm_mode_32 3
		.amdhsa_float_denorm_mode_16_64 3
		.amdhsa_dx10_clamp 1
		.amdhsa_ieee_mode 1
		.amdhsa_fp16_overflow 0
		.amdhsa_tg_split 0
		.amdhsa_exception_fp_ieee_invalid_op 0
		.amdhsa_exception_fp_denorm_src 0
		.amdhsa_exception_fp_ieee_div_zero 0
		.amdhsa_exception_fp_ieee_overflow 0
		.amdhsa_exception_fp_ieee_underflow 0
		.amdhsa_exception_fp_ieee_inexact 0
		.amdhsa_exception_int_div_zero 0
	.end_amdhsa_kernel
	.section	.text._ZN12_GLOBAL__N_127rocblas_gemm_batched_kernelIfLi16ELi16ELi32ELi32ELi8ELi32ELi8ELi8ELi32ELc67ELc78EKPKfS3_KPfEEvlllT_PT11_llS8_llS6_PT12_llPT13_lli,"axG",@progbits,_ZN12_GLOBAL__N_127rocblas_gemm_batched_kernelIfLi16ELi16ELi32ELi32ELi8ELi32ELi8ELi8ELi32ELc67ELc78EKPKfS3_KPfEEvlllT_PT11_llS8_llS6_PT12_llPT13_lli,comdat
.Lfunc_end190:
	.size	_ZN12_GLOBAL__N_127rocblas_gemm_batched_kernelIfLi16ELi16ELi32ELi32ELi8ELi32ELi8ELi8ELi32ELc67ELc78EKPKfS3_KPfEEvlllT_PT11_llS8_llS6_PT12_llPT13_lli, .Lfunc_end190-_ZN12_GLOBAL__N_127rocblas_gemm_batched_kernelIfLi16ELi16ELi32ELi32ELi8ELi32ELi8ELi8ELi32ELc67ELc78EKPKfS3_KPfEEvlllT_PT11_llS8_llS6_PT12_llPT13_lli
                                        ; -- End function
	.set _ZN12_GLOBAL__N_127rocblas_gemm_batched_kernelIfLi16ELi16ELi32ELi32ELi8ELi32ELi8ELi8ELi32ELc67ELc78EKPKfS3_KPfEEvlllT_PT11_llS8_llS6_PT12_llPT13_lli.num_vgpr, 58
	.set _ZN12_GLOBAL__N_127rocblas_gemm_batched_kernelIfLi16ELi16ELi32ELi32ELi8ELi32ELi8ELi8ELi32ELc67ELc78EKPKfS3_KPfEEvlllT_PT11_llS8_llS6_PT12_llPT13_lli.num_agpr, 0
	.set _ZN12_GLOBAL__N_127rocblas_gemm_batched_kernelIfLi16ELi16ELi32ELi32ELi8ELi32ELi8ELi8ELi32ELc67ELc78EKPKfS3_KPfEEvlllT_PT11_llS8_llS6_PT12_llPT13_lli.numbered_sgpr, 40
	.set _ZN12_GLOBAL__N_127rocblas_gemm_batched_kernelIfLi16ELi16ELi32ELi32ELi8ELi32ELi8ELi8ELi32ELc67ELc78EKPKfS3_KPfEEvlllT_PT11_llS8_llS6_PT12_llPT13_lli.num_named_barrier, 0
	.set _ZN12_GLOBAL__N_127rocblas_gemm_batched_kernelIfLi16ELi16ELi32ELi32ELi8ELi32ELi8ELi8ELi32ELc67ELc78EKPKfS3_KPfEEvlllT_PT11_llS8_llS6_PT12_llPT13_lli.private_seg_size, 0
	.set _ZN12_GLOBAL__N_127rocblas_gemm_batched_kernelIfLi16ELi16ELi32ELi32ELi8ELi32ELi8ELi8ELi32ELc67ELc78EKPKfS3_KPfEEvlllT_PT11_llS8_llS6_PT12_llPT13_lli.uses_vcc, 1
	.set _ZN12_GLOBAL__N_127rocblas_gemm_batched_kernelIfLi16ELi16ELi32ELi32ELi8ELi32ELi8ELi8ELi32ELc67ELc78EKPKfS3_KPfEEvlllT_PT11_llS8_llS6_PT12_llPT13_lli.uses_flat_scratch, 0
	.set _ZN12_GLOBAL__N_127rocblas_gemm_batched_kernelIfLi16ELi16ELi32ELi32ELi8ELi32ELi8ELi8ELi32ELc67ELc78EKPKfS3_KPfEEvlllT_PT11_llS8_llS6_PT12_llPT13_lli.has_dyn_sized_stack, 0
	.set _ZN12_GLOBAL__N_127rocblas_gemm_batched_kernelIfLi16ELi16ELi32ELi32ELi8ELi32ELi8ELi8ELi32ELc67ELc78EKPKfS3_KPfEEvlllT_PT11_llS8_llS6_PT12_llPT13_lli.has_recursion, 0
	.set _ZN12_GLOBAL__N_127rocblas_gemm_batched_kernelIfLi16ELi16ELi32ELi32ELi8ELi32ELi8ELi8ELi32ELc67ELc78EKPKfS3_KPfEEvlllT_PT11_llS8_llS6_PT12_llPT13_lli.has_indirect_call, 0
	.section	.AMDGPU.csdata,"",@progbits
; Kernel info:
; codeLenInByte = 1308
; TotalNumSgprs: 46
; NumVgprs: 58
; NumAgprs: 0
; TotalNumVgprs: 58
; ScratchSize: 0
; MemoryBound: 0
; FloatMode: 240
; IeeeMode: 1
; LDSByteSize: 2048 bytes/workgroup (compile time only)
; SGPRBlocks: 5
; VGPRBlocks: 7
; NumSGPRsForWavesPerEU: 46
; NumVGPRsForWavesPerEU: 58
; AccumOffset: 60
; Occupancy: 8
; WaveLimiterHint : 1
; COMPUTE_PGM_RSRC2:SCRATCH_EN: 0
; COMPUTE_PGM_RSRC2:USER_SGPR: 2
; COMPUTE_PGM_RSRC2:TRAP_HANDLER: 0
; COMPUTE_PGM_RSRC2:TGID_X_EN: 1
; COMPUTE_PGM_RSRC2:TGID_Y_EN: 1
; COMPUTE_PGM_RSRC2:TGID_Z_EN: 1
; COMPUTE_PGM_RSRC2:TIDIG_COMP_CNT: 1
; COMPUTE_PGM_RSRC3_GFX90A:ACCUM_OFFSET: 14
; COMPUTE_PGM_RSRC3_GFX90A:TG_SPLIT: 0
	.section	.text._ZN12_GLOBAL__N_127rocblas_gemm_batched_kernelIfLi16ELi16ELi32ELi32ELi8ELi32ELi8ELi8ELi32ELc67ELc84EKPKfS3_KPfEEvlllT_PT11_llS8_llS6_PT12_llPT13_lli,"axG",@progbits,_ZN12_GLOBAL__N_127rocblas_gemm_batched_kernelIfLi16ELi16ELi32ELi32ELi8ELi32ELi8ELi8ELi32ELc67ELc84EKPKfS3_KPfEEvlllT_PT11_llS8_llS6_PT12_llPT13_lli,comdat
	.globl	_ZN12_GLOBAL__N_127rocblas_gemm_batched_kernelIfLi16ELi16ELi32ELi32ELi8ELi32ELi8ELi8ELi32ELc67ELc84EKPKfS3_KPfEEvlllT_PT11_llS8_llS6_PT12_llPT13_lli ; -- Begin function _ZN12_GLOBAL__N_127rocblas_gemm_batched_kernelIfLi16ELi16ELi32ELi32ELi8ELi32ELi8ELi8ELi32ELc67ELc84EKPKfS3_KPfEEvlllT_PT11_llS8_llS6_PT12_llPT13_lli
	.p2align	8
	.type	_ZN12_GLOBAL__N_127rocblas_gemm_batched_kernelIfLi16ELi16ELi32ELi32ELi8ELi32ELi8ELi8ELi32ELc67ELc84EKPKfS3_KPfEEvlllT_PT11_llS8_llS6_PT12_llPT13_lli,@function
_ZN12_GLOBAL__N_127rocblas_gemm_batched_kernelIfLi16ELi16ELi32ELi32ELi8ELi32ELi8ELi8ELi32ELc67ELc84EKPKfS3_KPfEEvlllT_PT11_llS8_llS6_PT12_llPT13_lli: ; @_ZN12_GLOBAL__N_127rocblas_gemm_batched_kernelIfLi16ELi16ELi32ELi32ELi8ELi32ELi8ELi8ELi32ELc67ELc84EKPKfS3_KPfEEvlllT_PT11_llS8_llS6_PT12_llPT13_lli
; %bb.0:
	s_load_dwordx2 s[30:31], s[0:1], 0x10
	s_load_dwordx4 s[24:27], s[0:1], 0x78
	s_load_dwordx8 s[8:15], s[0:1], 0x58
	s_mov_b32 s5, 0
	s_lshl_b64 s[34:35], s[4:5], 3
	s_mov_b32 s6, s3
	v_mov_b32_e32 v3, 0
	s_waitcnt lgkmcnt(0)
	s_add_u32 s4, s8, s34
	s_addc_u32 s5, s9, s35
	s_load_dwordx2 s[8:9], s[4:5], 0x0
	s_add_u32 s4, s14, s34
	s_addc_u32 s5, s15, s35
	s_load_dwordx2 s[14:15], s[4:5], 0x0
	s_ashr_i32 s3, s2, 31
	s_ashr_i32 s7, s6, 31
	v_cmp_lt_i64_e64 s[4:5], s[30:31], 1
	v_bfe_u32 v2, v0, 10, 10
	v_and_b32_e32 v4, 0x3ff, v0
	v_mov_b32_e32 v5, v3
	s_lshl_b64 s[2:3], s[2:3], 5
	s_lshl_b64 s[28:29], s[6:7], 5
	s_and_b64 vcc, exec, s[4:5]
	v_mov_b32_e32 v7, v3
	v_mov_b32_e32 v6, v3
	;; [unrolled: 1-line block ×4, first 2 shown]
	s_cbranch_vccnz .LBB191_3
; %bb.1:
	s_load_dwordx8 s[16:23], s[0:1], 0x20
	s_load_dwordx4 s[4:7], s[0:1], 0x40
	v_lshl_add_u32 v8, v2, 4, v4
	v_and_b32_e32 v6, 31, v8
	v_lshrrev_b32_e32 v0, 3, v8
	s_waitcnt lgkmcnt(0)
	s_add_u32 s16, s16, s34
	s_addc_u32 s17, s17, s35
	s_add_u32 s22, s22, s34
	v_and_b32_e32 v10, 7, v4
	v_lshrrev_b32_e32 v12, 5, v8
	v_lshlrev_b32_e32 v8, 2, v6
	s_addc_u32 s23, s23, s35
	v_lshl_or_b32 v14, v12, 7, v8
	v_lshlrev_b32_e32 v8, 2, v10
	s_load_dwordx2 s[22:23], s[22:23], 0x0
	v_lshl_or_b32 v8, v0, 5, v8
	v_mov_b32_e32 v1, 0
	v_add_u32_e32 v15, 0x400, v8
	v_mov_b32_e32 v8, 0x400
	v_lshl_add_u32 v17, v2, 5, v8
	v_mad_u64_u32 v[8:9], s[34:35], s4, v10, v[0:1]
	v_mov_b32_e32 v0, v9
	s_lshl_b64 s[6:7], s[6:7], 2
	v_mad_u64_u32 v[10:11], s[34:35], s5, v10, v[0:1]
	v_mov_b32_e32 v7, v1
	v_mov_b32_e32 v9, v10
	s_waitcnt lgkmcnt(0)
	s_add_u32 s6, s22, s6
	s_load_dwordx2 s[16:17], s[16:17], 0x0
	v_lshl_add_u64 v[8:9], v[8:9], 0, s[28:29]
	s_addc_u32 s7, s23, s7
	v_lshl_add_u64 v[6:7], s[2:3], 0, v[6:7]
	v_lshl_add_u64 v[8:9], v[8:9], 2, s[6:7]
	v_mul_lo_u32 v0, s19, v6
	v_mul_lo_u32 v10, s18, v7
	v_mad_u64_u32 v[6:7], s[6:7], s18, v6, 0
	v_add3_u32 v7, v7, v10, v0
	s_lshl_b64 s[6:7], s[20:21], 2
	v_lshl_add_u64 v[6:7], v[6:7], 2, s[6:7]
	v_lshlrev_b32_e32 v0, 2, v12
	v_lshl_add_u64 v[6:7], v[6:7], 0, v[0:1]
	v_lshlrev_b32_e32 v16, 2, v4
	s_lshl_b64 s[4:5], s[4:5], 5
	s_waitcnt lgkmcnt(0)
	v_lshl_add_u64 v[10:11], s[16:17], 0, v[6:7]
	s_mov_b64 s[6:7], 0
	v_mov_b64_e32 v[12:13], s[30:31]
	v_mov_b32_e32 v0, v1
	v_mov_b32_e32 v6, v1
	v_mov_b32_e32 v7, v1
.LBB191_2:                              ; =>This Inner Loop Header: Depth=1
	flat_load_dword v18, v[10:11]
	s_add_u32 s6, s6, 8
	s_addc_u32 s7, s7, 0
	v_cmp_lt_i64_e32 vcc, s[6:7], v[12:13]
	v_lshl_add_u64 v[10:11], v[10:11], 0, 32
	s_and_b64 vcc, exec, vcc
	s_waitcnt vmcnt(0) lgkmcnt(0)
	ds_write_b32 v14, v18
	flat_load_dword v18, v[8:9]
	v_lshl_add_u64 v[8:9], v[8:9], 0, s[4:5]
	s_waitcnt vmcnt(0) lgkmcnt(0)
	ds_write_b32 v15, v18
	s_waitcnt lgkmcnt(0)
	s_barrier
	ds_read_b128 v[18:21], v17
	ds_read_b128 v[22:25], v17 offset:16
	ds_read2_b32 v[36:37], v16 offset1:16
	ds_read2_b32 v[38:39], v16 offset0:32 offset1:48
	ds_read2_b32 v[40:41], v16 offset0:64 offset1:80
	;; [unrolled: 1-line block ×4, first 2 shown]
	ds_read_b128 v[26:29], v17 offset:512
	ds_read_b128 v[30:33], v17 offset:528
	ds_read2_b32 v[48:49], v16 offset0:160 offset1:176
	ds_read2_b32 v[50:51], v16 offset0:192 offset1:208
	;; [unrolled: 1-line block ×3, first 2 shown]
	s_waitcnt lgkmcnt(9)
	v_mov_b32_e32 v34, v37
	v_mov_b32_e32 v35, v36
	s_waitcnt lgkmcnt(8)
	v_mov_b32_e32 v36, v39
	v_mov_b32_e32 v37, v38
	v_pk_fma_f32 v[6:7], v[34:35], v[18:19], v[6:7] op_sel_hi:[1,0,1]
	s_waitcnt lgkmcnt(4)
	v_pk_fma_f32 v[0:1], v[34:35], v[26:27], v[0:1] op_sel_hi:[1,0,1]
	v_mov_b32_e32 v38, v41
	v_mov_b32_e32 v39, v40
	v_pk_fma_f32 v[6:7], v[36:37], v[18:19], v[6:7] op_sel:[0,1,0]
	v_pk_fma_f32 v[0:1], v[36:37], v[26:27], v[0:1] op_sel:[0,1,0]
	v_mov_b32_e32 v40, v43
	v_mov_b32_e32 v41, v42
	v_mov_b32_e32 v42, v21
	v_mov_b32_e32 v54, v29
	v_pk_fma_f32 v[6:7], v[38:39], v[20:21], v[6:7] op_sel_hi:[1,0,1]
	v_pk_fma_f32 v[0:1], v[38:39], v[28:29], v[0:1] op_sel_hi:[1,0,1]
	v_mov_b32_e32 v44, v47
	v_mov_b32_e32 v45, v46
	v_pk_fma_f32 v[6:7], v[40:41], v[42:43], v[6:7] op_sel_hi:[1,0,1]
	v_pk_fma_f32 v[0:1], v[40:41], v[54:55], v[0:1] op_sel_hi:[1,0,1]
	s_waitcnt lgkmcnt(2)
	v_mov_b32_e32 v46, v49
	v_mov_b32_e32 v47, v48
	v_pk_fma_f32 v[6:7], v[44:45], v[22:23], v[6:7] op_sel_hi:[1,0,1]
	v_pk_fma_f32 v[0:1], v[44:45], v[30:31], v[0:1] op_sel_hi:[1,0,1]
	s_waitcnt lgkmcnt(1)
	v_mov_b32_e32 v48, v51
	v_mov_b32_e32 v49, v50
	v_pk_fma_f32 v[6:7], v[46:47], v[22:23], v[6:7] op_sel:[0,1,0]
	v_pk_fma_f32 v[0:1], v[46:47], v[30:31], v[0:1] op_sel:[0,1,0]
	s_waitcnt lgkmcnt(0)
	v_mov_b32_e32 v50, v53
	v_mov_b32_e32 v51, v52
	;; [unrolled: 1-line block ×4, first 2 shown]
	v_pk_fma_f32 v[6:7], v[48:49], v[24:25], v[6:7] op_sel_hi:[1,0,1]
	v_pk_fma_f32 v[0:1], v[48:49], v[32:33], v[0:1] op_sel_hi:[1,0,1]
	;; [unrolled: 1-line block ×4, first 2 shown]
	s_barrier
	s_cbranch_vccnz .LBB191_2
.LBB191_3:
	s_load_dword s4, s[0:1], 0x18
	s_load_dword s5, s[0:1], 0x50
	s_lshl_b64 s[0:1], s[26:27], 2
	s_waitcnt lgkmcnt(0)
	s_add_u32 s0, s14, s0
	v_lshl_add_u64 v[8:9], s[28:29], 0, v[2:3]
	v_lshl_add_u64 v[2:3], s[2:3], 0, v[4:5]
	v_cmp_neq_f32_e64 s[6:7], s5, 0
	s_addc_u32 s1, s15, s1
	s_and_b64 vcc, exec, s[6:7]
	v_mul_lo_u32 v4, v9, s24
	v_mul_lo_u32 v5, v8, s25
	v_lshlrev_b64 v[2:3], 2, v[2:3]
	s_cbranch_vccnz .LBB191_7
; %bb.4:
	v_mad_u64_u32 v[10:11], s[2:3], v8, s24, 0
	v_add3_u32 v11, v11, v5, v4
	v_lshl_add_u64 v[10:11], v[10:11], 2, s[0:1]
	v_mul_f32_e32 v14, s4, v7
	v_lshl_add_u64 v[12:13], v[10:11], 0, v[2:3]
	s_lshl_b64 s[2:3], s[24:25], 6
	flat_store_dword v[12:13], v14
	v_mul_f32_e32 v14, s4, v6
	v_lshl_add_u64 v[10:11], v[10:11], 0, s[2:3]
	flat_store_dword v[12:13], v14 offset:64
	v_mul_f32_e32 v12, s4, v1
	v_lshl_add_u64 v[10:11], v[10:11], 0, v[2:3]
	flat_store_dword v[10:11], v12
	v_mul_f32_e32 v12, s4, v0
	flat_store_dword v[10:11], v12 offset:64
	s_cbranch_execnz .LBB191_6
.LBB191_5:
	s_lshl_b64 s[2:3], s[12:13], 2
	s_add_u32 s2, s8, s2
	v_mul_lo_u32 v9, v9, s10
	v_mul_lo_u32 v12, v8, s11
	v_mad_u64_u32 v[10:11], s[6:7], v8, s10, 0
	s_addc_u32 s3, s9, s3
	v_add3_u32 v11, v11, v12, v9
	v_lshl_add_u64 v[10:11], v[10:11], 2, s[2:3]
	v_lshl_add_u64 v[12:13], v[10:11], 0, v[2:3]
	flat_load_dword v14, v[12:13]
	v_mad_u64_u32 v[8:9], s[2:3], v8, s24, 0
	v_add3_u32 v9, v9, v5, v4
	v_lshl_add_u64 v[4:5], v[8:9], 2, s[0:1]
	v_lshl_add_u64 v[8:9], v[4:5], 0, v[2:3]
	s_lshl_b64 s[0:1], s[10:11], 6
	v_lshl_add_u64 v[10:11], v[10:11], 0, s[0:1]
	v_lshl_add_u64 v[10:11], v[10:11], 0, v[2:3]
	s_lshl_b64 s[0:1], s[24:25], 6
	v_lshl_add_u64 v[4:5], v[4:5], 0, s[0:1]
	v_lshl_add_u64 v[2:3], v[4:5], 0, v[2:3]
	s_waitcnt vmcnt(0) lgkmcnt(0)
	v_mul_f32_e32 v14, s5, v14
	v_fmac_f32_e32 v14, s4, v7
	flat_store_dword v[8:9], v14
	flat_load_dword v7, v[12:13] offset:64
	s_waitcnt vmcnt(0) lgkmcnt(0)
	v_mul_f32_e32 v7, s5, v7
	v_fmac_f32_e32 v7, s4, v6
	flat_store_dword v[8:9], v7 offset:64
	flat_load_dword v6, v[10:11]
	s_waitcnt vmcnt(0) lgkmcnt(0)
	v_mul_f32_e32 v6, s5, v6
	v_fmac_f32_e32 v6, s4, v1
	flat_store_dword v[2:3], v6
	flat_load_dword v1, v[10:11] offset:64
	s_waitcnt vmcnt(0) lgkmcnt(0)
	v_mul_f32_e32 v1, s5, v1
	v_fmac_f32_e32 v1, s4, v0
	flat_store_dword v[2:3], v1 offset:64
.LBB191_6:
	s_endpgm
.LBB191_7:
	s_branch .LBB191_5
	.section	.rodata,"a",@progbits
	.p2align	6, 0x0
	.amdhsa_kernel _ZN12_GLOBAL__N_127rocblas_gemm_batched_kernelIfLi16ELi16ELi32ELi32ELi8ELi32ELi8ELi8ELi32ELc67ELc84EKPKfS3_KPfEEvlllT_PT11_llS8_llS6_PT12_llPT13_lli
		.amdhsa_group_segment_fixed_size 2048
		.amdhsa_private_segment_fixed_size 0
		.amdhsa_kernarg_size 140
		.amdhsa_user_sgpr_count 2
		.amdhsa_user_sgpr_dispatch_ptr 0
		.amdhsa_user_sgpr_queue_ptr 0
		.amdhsa_user_sgpr_kernarg_segment_ptr 1
		.amdhsa_user_sgpr_dispatch_id 0
		.amdhsa_user_sgpr_kernarg_preload_length 0
		.amdhsa_user_sgpr_kernarg_preload_offset 0
		.amdhsa_user_sgpr_private_segment_size 0
		.amdhsa_uses_dynamic_stack 0
		.amdhsa_enable_private_segment 0
		.amdhsa_system_sgpr_workgroup_id_x 1
		.amdhsa_system_sgpr_workgroup_id_y 1
		.amdhsa_system_sgpr_workgroup_id_z 1
		.amdhsa_system_sgpr_workgroup_info 0
		.amdhsa_system_vgpr_workitem_id 1
		.amdhsa_next_free_vgpr 58
		.amdhsa_next_free_sgpr 36
		.amdhsa_accum_offset 60
		.amdhsa_reserve_vcc 1
		.amdhsa_float_round_mode_32 0
		.amdhsa_float_round_mode_16_64 0
		.amdhsa_float_denorm_mode_32 3
		.amdhsa_float_denorm_mode_16_64 3
		.amdhsa_dx10_clamp 1
		.amdhsa_ieee_mode 1
		.amdhsa_fp16_overflow 0
		.amdhsa_tg_split 0
		.amdhsa_exception_fp_ieee_invalid_op 0
		.amdhsa_exception_fp_denorm_src 0
		.amdhsa_exception_fp_ieee_div_zero 0
		.amdhsa_exception_fp_ieee_overflow 0
		.amdhsa_exception_fp_ieee_underflow 0
		.amdhsa_exception_fp_ieee_inexact 0
		.amdhsa_exception_int_div_zero 0
	.end_amdhsa_kernel
	.section	.text._ZN12_GLOBAL__N_127rocblas_gemm_batched_kernelIfLi16ELi16ELi32ELi32ELi8ELi32ELi8ELi8ELi32ELc67ELc84EKPKfS3_KPfEEvlllT_PT11_llS8_llS6_PT12_llPT13_lli,"axG",@progbits,_ZN12_GLOBAL__N_127rocblas_gemm_batched_kernelIfLi16ELi16ELi32ELi32ELi8ELi32ELi8ELi8ELi32ELc67ELc84EKPKfS3_KPfEEvlllT_PT11_llS8_llS6_PT12_llPT13_lli,comdat
.Lfunc_end191:
	.size	_ZN12_GLOBAL__N_127rocblas_gemm_batched_kernelIfLi16ELi16ELi32ELi32ELi8ELi32ELi8ELi8ELi32ELc67ELc84EKPKfS3_KPfEEvlllT_PT11_llS8_llS6_PT12_llPT13_lli, .Lfunc_end191-_ZN12_GLOBAL__N_127rocblas_gemm_batched_kernelIfLi16ELi16ELi32ELi32ELi8ELi32ELi8ELi8ELi32ELc67ELc84EKPKfS3_KPfEEvlllT_PT11_llS8_llS6_PT12_llPT13_lli
                                        ; -- End function
	.set _ZN12_GLOBAL__N_127rocblas_gemm_batched_kernelIfLi16ELi16ELi32ELi32ELi8ELi32ELi8ELi8ELi32ELc67ELc84EKPKfS3_KPfEEvlllT_PT11_llS8_llS6_PT12_llPT13_lli.num_vgpr, 58
	.set _ZN12_GLOBAL__N_127rocblas_gemm_batched_kernelIfLi16ELi16ELi32ELi32ELi8ELi32ELi8ELi8ELi32ELc67ELc84EKPKfS3_KPfEEvlllT_PT11_llS8_llS6_PT12_llPT13_lli.num_agpr, 0
	.set _ZN12_GLOBAL__N_127rocblas_gemm_batched_kernelIfLi16ELi16ELi32ELi32ELi8ELi32ELi8ELi8ELi32ELc67ELc84EKPKfS3_KPfEEvlllT_PT11_llS8_llS6_PT12_llPT13_lli.numbered_sgpr, 36
	.set _ZN12_GLOBAL__N_127rocblas_gemm_batched_kernelIfLi16ELi16ELi32ELi32ELi8ELi32ELi8ELi8ELi32ELc67ELc84EKPKfS3_KPfEEvlllT_PT11_llS8_llS6_PT12_llPT13_lli.num_named_barrier, 0
	.set _ZN12_GLOBAL__N_127rocblas_gemm_batched_kernelIfLi16ELi16ELi32ELi32ELi8ELi32ELi8ELi8ELi32ELc67ELc84EKPKfS3_KPfEEvlllT_PT11_llS8_llS6_PT12_llPT13_lli.private_seg_size, 0
	.set _ZN12_GLOBAL__N_127rocblas_gemm_batched_kernelIfLi16ELi16ELi32ELi32ELi8ELi32ELi8ELi8ELi32ELc67ELc84EKPKfS3_KPfEEvlllT_PT11_llS8_llS6_PT12_llPT13_lli.uses_vcc, 1
	.set _ZN12_GLOBAL__N_127rocblas_gemm_batched_kernelIfLi16ELi16ELi32ELi32ELi8ELi32ELi8ELi8ELi32ELc67ELc84EKPKfS3_KPfEEvlllT_PT11_llS8_llS6_PT12_llPT13_lli.uses_flat_scratch, 0
	.set _ZN12_GLOBAL__N_127rocblas_gemm_batched_kernelIfLi16ELi16ELi32ELi32ELi8ELi32ELi8ELi8ELi32ELc67ELc84EKPKfS3_KPfEEvlllT_PT11_llS8_llS6_PT12_llPT13_lli.has_dyn_sized_stack, 0
	.set _ZN12_GLOBAL__N_127rocblas_gemm_batched_kernelIfLi16ELi16ELi32ELi32ELi8ELi32ELi8ELi8ELi32ELc67ELc84EKPKfS3_KPfEEvlllT_PT11_llS8_llS6_PT12_llPT13_lli.has_recursion, 0
	.set _ZN12_GLOBAL__N_127rocblas_gemm_batched_kernelIfLi16ELi16ELi32ELi32ELi8ELi32ELi8ELi8ELi32ELc67ELc84EKPKfS3_KPfEEvlllT_PT11_llS8_llS6_PT12_llPT13_lli.has_indirect_call, 0
	.section	.AMDGPU.csdata,"",@progbits
; Kernel info:
; codeLenInByte = 1296
; TotalNumSgprs: 42
; NumVgprs: 58
; NumAgprs: 0
; TotalNumVgprs: 58
; ScratchSize: 0
; MemoryBound: 0
; FloatMode: 240
; IeeeMode: 1
; LDSByteSize: 2048 bytes/workgroup (compile time only)
; SGPRBlocks: 5
; VGPRBlocks: 7
; NumSGPRsForWavesPerEU: 42
; NumVGPRsForWavesPerEU: 58
; AccumOffset: 60
; Occupancy: 8
; WaveLimiterHint : 1
; COMPUTE_PGM_RSRC2:SCRATCH_EN: 0
; COMPUTE_PGM_RSRC2:USER_SGPR: 2
; COMPUTE_PGM_RSRC2:TRAP_HANDLER: 0
; COMPUTE_PGM_RSRC2:TGID_X_EN: 1
; COMPUTE_PGM_RSRC2:TGID_Y_EN: 1
; COMPUTE_PGM_RSRC2:TGID_Z_EN: 1
; COMPUTE_PGM_RSRC2:TIDIG_COMP_CNT: 1
; COMPUTE_PGM_RSRC3_GFX90A:ACCUM_OFFSET: 14
; COMPUTE_PGM_RSRC3_GFX90A:TG_SPLIT: 0
	.section	.text._ZN12_GLOBAL__N_127rocblas_gemm_batched_kernelIfLi16ELi16ELi32ELi32ELi8ELi32ELi8ELi8ELi32ELc78ELc67EKPKfS3_KPfEEvlllT_PT11_llS8_llS6_PT12_llPT13_lli,"axG",@progbits,_ZN12_GLOBAL__N_127rocblas_gemm_batched_kernelIfLi16ELi16ELi32ELi32ELi8ELi32ELi8ELi8ELi32ELc78ELc67EKPKfS3_KPfEEvlllT_PT11_llS8_llS6_PT12_llPT13_lli,comdat
	.globl	_ZN12_GLOBAL__N_127rocblas_gemm_batched_kernelIfLi16ELi16ELi32ELi32ELi8ELi32ELi8ELi8ELi32ELc78ELc67EKPKfS3_KPfEEvlllT_PT11_llS8_llS6_PT12_llPT13_lli ; -- Begin function _ZN12_GLOBAL__N_127rocblas_gemm_batched_kernelIfLi16ELi16ELi32ELi32ELi8ELi32ELi8ELi8ELi32ELc78ELc67EKPKfS3_KPfEEvlllT_PT11_llS8_llS6_PT12_llPT13_lli
	.p2align	8
	.type	_ZN12_GLOBAL__N_127rocblas_gemm_batched_kernelIfLi16ELi16ELi32ELi32ELi8ELi32ELi8ELi8ELi32ELc78ELc67EKPKfS3_KPfEEvlllT_PT11_llS8_llS6_PT12_llPT13_lli,@function
_ZN12_GLOBAL__N_127rocblas_gemm_batched_kernelIfLi16ELi16ELi32ELi32ELi8ELi32ELi8ELi8ELi32ELc78ELc67EKPKfS3_KPfEEvlllT_PT11_llS8_llS6_PT12_llPT13_lli: ; @_ZN12_GLOBAL__N_127rocblas_gemm_batched_kernelIfLi16ELi16ELi32ELi32ELi8ELi32ELi8ELi8ELi32ELc78ELc67EKPKfS3_KPfEEvlllT_PT11_llS8_llS6_PT12_llPT13_lli
; %bb.0:
	s_load_dwordx2 s[30:31], s[0:1], 0x10
	s_load_dwordx4 s[24:27], s[0:1], 0x78
	s_load_dwordx8 s[8:15], s[0:1], 0x58
	s_mov_b32 s5, 0
	s_lshl_b64 s[34:35], s[4:5], 3
	s_mov_b32 s6, s3
	v_mov_b32_e32 v3, 0
	s_waitcnt lgkmcnt(0)
	s_add_u32 s4, s8, s34
	s_addc_u32 s5, s9, s35
	s_load_dwordx2 s[8:9], s[4:5], 0x0
	s_add_u32 s4, s14, s34
	s_addc_u32 s5, s15, s35
	s_load_dwordx2 s[14:15], s[4:5], 0x0
	s_ashr_i32 s3, s2, 31
	s_ashr_i32 s7, s6, 31
	v_cmp_lt_i64_e64 s[4:5], s[30:31], 1
	v_bfe_u32 v2, v0, 10, 10
	v_and_b32_e32 v4, 0x3ff, v0
	v_mov_b32_e32 v5, v3
	s_lshl_b64 s[2:3], s[2:3], 5
	s_lshl_b64 s[28:29], s[6:7], 5
	s_and_b64 vcc, exec, s[4:5]
	v_mov_b32_e32 v7, v3
	v_mov_b32_e32 v6, v3
	;; [unrolled: 1-line block ×4, first 2 shown]
	s_cbranch_vccnz .LBB192_3
; %bb.1:
	s_load_dwordx8 s[16:23], s[0:1], 0x20
	s_load_dwordx4 s[4:7], s[0:1], 0x40
	v_lshl_add_u32 v8, v2, 4, v4
	v_and_b32_e32 v6, 31, v8
	v_lshrrev_b32_e32 v0, 3, v8
	s_waitcnt lgkmcnt(0)
	s_add_u32 s16, s16, s34
	s_addc_u32 s17, s17, s35
	s_add_u32 s22, s22, s34
	v_and_b32_e32 v10, 7, v4
	v_lshrrev_b32_e32 v12, 5, v8
	v_lshlrev_b32_e32 v8, 2, v6
	s_addc_u32 s23, s23, s35
	v_lshl_or_b32 v14, v12, 7, v8
	v_lshlrev_b32_e32 v8, 2, v10
	s_load_dwordx2 s[22:23], s[22:23], 0x0
	v_lshl_or_b32 v8, v0, 5, v8
	v_mov_b32_e32 v1, 0
	v_add_u32_e32 v15, 0x400, v8
	v_mov_b32_e32 v8, 0x400
	v_lshl_add_u32 v17, v2, 5, v8
	v_mad_u64_u32 v[8:9], s[34:35], s4, v10, v[0:1]
	v_mov_b32_e32 v0, v9
	s_lshl_b64 s[6:7], s[6:7], 2
	v_mad_u64_u32 v[10:11], s[34:35], s5, v10, v[0:1]
	s_load_dwordx2 s[16:17], s[16:17], 0x0
	v_mov_b32_e32 v9, v10
	s_waitcnt lgkmcnt(0)
	s_add_u32 s6, s22, s6
	v_lshl_add_u64 v[8:9], v[8:9], 0, s[28:29]
	s_addc_u32 s7, s23, s7
	v_mov_b64_e32 v[10:11], s[2:3]
	v_lshl_add_u64 v[8:9], v[8:9], 2, s[6:7]
	s_lshl_b64 s[6:7], s[20:21], 2
	v_mad_u64_u32 v[10:11], s[20:21], s18, v12, v[10:11]
	v_mov_b32_e32 v0, v11
	s_lshl_b64 s[4:5], s[4:5], 5
	v_mad_u64_u32 v[12:13], s[20:21], s19, v12, v[0:1]
	v_mov_b32_e32 v7, v1
	v_mov_b32_e32 v11, v12
	s_add_u32 s6, s16, s6
	v_lshl_add_u64 v[6:7], v[10:11], 0, v[6:7]
	s_addc_u32 s7, s17, s7
	v_lshlrev_b32_e32 v16, 2, v4
	v_lshl_add_u64 v[10:11], v[6:7], 2, s[6:7]
	s_lshl_b64 s[6:7], s[18:19], 5
	s_mov_b64 s[16:17], 0
	v_mov_b64_e32 v[12:13], s[30:31]
	v_mov_b32_e32 v0, v1
	v_mov_b32_e32 v6, v1
	;; [unrolled: 1-line block ×3, first 2 shown]
.LBB192_2:                              ; =>This Inner Loop Header: Depth=1
	flat_load_dword v18, v[10:11]
	s_add_u32 s16, s16, 8
	s_addc_u32 s17, s17, 0
	v_cmp_lt_i64_e32 vcc, s[16:17], v[12:13]
	v_lshl_add_u64 v[10:11], v[10:11], 0, s[6:7]
	s_and_b64 vcc, exec, vcc
	s_waitcnt vmcnt(0) lgkmcnt(0)
	ds_write_b32 v14, v18
	flat_load_dword v18, v[8:9]
	v_lshl_add_u64 v[8:9], v[8:9], 0, s[4:5]
	s_waitcnt vmcnt(0) lgkmcnt(0)
	ds_write_b32 v15, v18
	s_waitcnt lgkmcnt(0)
	s_barrier
	ds_read_b128 v[18:21], v17
	ds_read_b128 v[22:25], v17 offset:16
	ds_read2_b32 v[36:37], v16 offset1:16
	ds_read2_b32 v[38:39], v16 offset0:32 offset1:48
	ds_read2_b32 v[40:41], v16 offset0:64 offset1:80
	;; [unrolled: 1-line block ×4, first 2 shown]
	ds_read_b128 v[26:29], v17 offset:512
	ds_read_b128 v[30:33], v17 offset:528
	ds_read2_b32 v[48:49], v16 offset0:160 offset1:176
	ds_read2_b32 v[50:51], v16 offset0:192 offset1:208
	;; [unrolled: 1-line block ×3, first 2 shown]
	s_waitcnt lgkmcnt(9)
	v_mov_b32_e32 v34, v37
	v_mov_b32_e32 v35, v36
	s_waitcnt lgkmcnt(8)
	v_mov_b32_e32 v36, v39
	v_mov_b32_e32 v37, v38
	v_pk_fma_f32 v[6:7], v[34:35], v[18:19], v[6:7] op_sel_hi:[1,0,1]
	s_waitcnt lgkmcnt(4)
	v_pk_fma_f32 v[0:1], v[34:35], v[26:27], v[0:1] op_sel_hi:[1,0,1]
	v_mov_b32_e32 v38, v41
	v_mov_b32_e32 v39, v40
	v_pk_fma_f32 v[6:7], v[36:37], v[18:19], v[6:7] op_sel:[0,1,0]
	v_pk_fma_f32 v[0:1], v[36:37], v[26:27], v[0:1] op_sel:[0,1,0]
	v_mov_b32_e32 v40, v43
	v_mov_b32_e32 v41, v42
	v_mov_b32_e32 v42, v21
	v_mov_b32_e32 v54, v29
	v_pk_fma_f32 v[6:7], v[38:39], v[20:21], v[6:7] op_sel_hi:[1,0,1]
	v_pk_fma_f32 v[0:1], v[38:39], v[28:29], v[0:1] op_sel_hi:[1,0,1]
	v_mov_b32_e32 v44, v47
	v_mov_b32_e32 v45, v46
	v_pk_fma_f32 v[6:7], v[40:41], v[42:43], v[6:7] op_sel_hi:[1,0,1]
	v_pk_fma_f32 v[0:1], v[40:41], v[54:55], v[0:1] op_sel_hi:[1,0,1]
	s_waitcnt lgkmcnt(2)
	v_mov_b32_e32 v46, v49
	v_mov_b32_e32 v47, v48
	v_pk_fma_f32 v[6:7], v[44:45], v[22:23], v[6:7] op_sel_hi:[1,0,1]
	v_pk_fma_f32 v[0:1], v[44:45], v[30:31], v[0:1] op_sel_hi:[1,0,1]
	s_waitcnt lgkmcnt(1)
	v_mov_b32_e32 v48, v51
	v_mov_b32_e32 v49, v50
	v_pk_fma_f32 v[6:7], v[46:47], v[22:23], v[6:7] op_sel:[0,1,0]
	v_pk_fma_f32 v[0:1], v[46:47], v[30:31], v[0:1] op_sel:[0,1,0]
	s_waitcnt lgkmcnt(0)
	v_mov_b32_e32 v50, v53
	v_mov_b32_e32 v51, v52
	;; [unrolled: 1-line block ×4, first 2 shown]
	v_pk_fma_f32 v[6:7], v[48:49], v[24:25], v[6:7] op_sel_hi:[1,0,1]
	v_pk_fma_f32 v[0:1], v[48:49], v[32:33], v[0:1] op_sel_hi:[1,0,1]
	;; [unrolled: 1-line block ×4, first 2 shown]
	s_barrier
	s_cbranch_vccnz .LBB192_2
.LBB192_3:
	s_load_dword s4, s[0:1], 0x18
	s_load_dword s5, s[0:1], 0x50
	s_lshl_b64 s[0:1], s[26:27], 2
	s_waitcnt lgkmcnt(0)
	s_add_u32 s0, s14, s0
	v_lshl_add_u64 v[8:9], s[28:29], 0, v[2:3]
	v_lshl_add_u64 v[2:3], s[2:3], 0, v[4:5]
	v_cmp_neq_f32_e64 s[6:7], s5, 0
	s_addc_u32 s1, s15, s1
	s_and_b64 vcc, exec, s[6:7]
	v_mul_lo_u32 v4, v9, s24
	v_mul_lo_u32 v5, v8, s25
	v_lshlrev_b64 v[2:3], 2, v[2:3]
	s_cbranch_vccnz .LBB192_7
; %bb.4:
	v_mad_u64_u32 v[10:11], s[2:3], v8, s24, 0
	v_add3_u32 v11, v11, v5, v4
	v_lshl_add_u64 v[10:11], v[10:11], 2, s[0:1]
	v_mul_f32_e32 v14, s4, v7
	v_lshl_add_u64 v[12:13], v[10:11], 0, v[2:3]
	s_lshl_b64 s[2:3], s[24:25], 6
	flat_store_dword v[12:13], v14
	v_mul_f32_e32 v14, s4, v6
	v_lshl_add_u64 v[10:11], v[10:11], 0, s[2:3]
	flat_store_dword v[12:13], v14 offset:64
	v_mul_f32_e32 v12, s4, v1
	v_lshl_add_u64 v[10:11], v[10:11], 0, v[2:3]
	flat_store_dword v[10:11], v12
	v_mul_f32_e32 v12, s4, v0
	flat_store_dword v[10:11], v12 offset:64
	s_cbranch_execnz .LBB192_6
.LBB192_5:
	s_lshl_b64 s[2:3], s[12:13], 2
	s_add_u32 s2, s8, s2
	v_mul_lo_u32 v9, v9, s10
	v_mul_lo_u32 v12, v8, s11
	v_mad_u64_u32 v[10:11], s[6:7], v8, s10, 0
	s_addc_u32 s3, s9, s3
	v_add3_u32 v11, v11, v12, v9
	v_lshl_add_u64 v[10:11], v[10:11], 2, s[2:3]
	v_lshl_add_u64 v[12:13], v[10:11], 0, v[2:3]
	flat_load_dword v14, v[12:13]
	v_mad_u64_u32 v[8:9], s[2:3], v8, s24, 0
	v_add3_u32 v9, v9, v5, v4
	v_lshl_add_u64 v[4:5], v[8:9], 2, s[0:1]
	v_lshl_add_u64 v[8:9], v[4:5], 0, v[2:3]
	s_lshl_b64 s[0:1], s[10:11], 6
	v_lshl_add_u64 v[10:11], v[10:11], 0, s[0:1]
	v_lshl_add_u64 v[10:11], v[10:11], 0, v[2:3]
	s_lshl_b64 s[0:1], s[24:25], 6
	v_lshl_add_u64 v[4:5], v[4:5], 0, s[0:1]
	v_lshl_add_u64 v[2:3], v[4:5], 0, v[2:3]
	s_waitcnt vmcnt(0) lgkmcnt(0)
	v_mul_f32_e32 v14, s5, v14
	v_fmac_f32_e32 v14, s4, v7
	flat_store_dword v[8:9], v14
	flat_load_dword v7, v[12:13] offset:64
	s_waitcnt vmcnt(0) lgkmcnt(0)
	v_mul_f32_e32 v7, s5, v7
	v_fmac_f32_e32 v7, s4, v6
	flat_store_dword v[8:9], v7 offset:64
	flat_load_dword v6, v[10:11]
	s_waitcnt vmcnt(0) lgkmcnt(0)
	v_mul_f32_e32 v6, s5, v6
	v_fmac_f32_e32 v6, s4, v1
	flat_store_dword v[2:3], v6
	flat_load_dword v1, v[10:11] offset:64
	s_waitcnt vmcnt(0) lgkmcnt(0)
	v_mul_f32_e32 v1, s5, v1
	v_fmac_f32_e32 v1, s4, v0
	flat_store_dword v[2:3], v1 offset:64
.LBB192_6:
	s_endpgm
.LBB192_7:
	s_branch .LBB192_5
	.section	.rodata,"a",@progbits
	.p2align	6, 0x0
	.amdhsa_kernel _ZN12_GLOBAL__N_127rocblas_gemm_batched_kernelIfLi16ELi16ELi32ELi32ELi8ELi32ELi8ELi8ELi32ELc78ELc67EKPKfS3_KPfEEvlllT_PT11_llS8_llS6_PT12_llPT13_lli
		.amdhsa_group_segment_fixed_size 2048
		.amdhsa_private_segment_fixed_size 0
		.amdhsa_kernarg_size 140
		.amdhsa_user_sgpr_count 2
		.amdhsa_user_sgpr_dispatch_ptr 0
		.amdhsa_user_sgpr_queue_ptr 0
		.amdhsa_user_sgpr_kernarg_segment_ptr 1
		.amdhsa_user_sgpr_dispatch_id 0
		.amdhsa_user_sgpr_kernarg_preload_length 0
		.amdhsa_user_sgpr_kernarg_preload_offset 0
		.amdhsa_user_sgpr_private_segment_size 0
		.amdhsa_uses_dynamic_stack 0
		.amdhsa_enable_private_segment 0
		.amdhsa_system_sgpr_workgroup_id_x 1
		.amdhsa_system_sgpr_workgroup_id_y 1
		.amdhsa_system_sgpr_workgroup_id_z 1
		.amdhsa_system_sgpr_workgroup_info 0
		.amdhsa_system_vgpr_workitem_id 1
		.amdhsa_next_free_vgpr 58
		.amdhsa_next_free_sgpr 36
		.amdhsa_accum_offset 60
		.amdhsa_reserve_vcc 1
		.amdhsa_float_round_mode_32 0
		.amdhsa_float_round_mode_16_64 0
		.amdhsa_float_denorm_mode_32 3
		.amdhsa_float_denorm_mode_16_64 3
		.amdhsa_dx10_clamp 1
		.amdhsa_ieee_mode 1
		.amdhsa_fp16_overflow 0
		.amdhsa_tg_split 0
		.amdhsa_exception_fp_ieee_invalid_op 0
		.amdhsa_exception_fp_denorm_src 0
		.amdhsa_exception_fp_ieee_div_zero 0
		.amdhsa_exception_fp_ieee_overflow 0
		.amdhsa_exception_fp_ieee_underflow 0
		.amdhsa_exception_fp_ieee_inexact 0
		.amdhsa_exception_int_div_zero 0
	.end_amdhsa_kernel
	.section	.text._ZN12_GLOBAL__N_127rocblas_gemm_batched_kernelIfLi16ELi16ELi32ELi32ELi8ELi32ELi8ELi8ELi32ELc78ELc67EKPKfS3_KPfEEvlllT_PT11_llS8_llS6_PT12_llPT13_lli,"axG",@progbits,_ZN12_GLOBAL__N_127rocblas_gemm_batched_kernelIfLi16ELi16ELi32ELi32ELi8ELi32ELi8ELi8ELi32ELc78ELc67EKPKfS3_KPfEEvlllT_PT11_llS8_llS6_PT12_llPT13_lli,comdat
.Lfunc_end192:
	.size	_ZN12_GLOBAL__N_127rocblas_gemm_batched_kernelIfLi16ELi16ELi32ELi32ELi8ELi32ELi8ELi8ELi32ELc78ELc67EKPKfS3_KPfEEvlllT_PT11_llS8_llS6_PT12_llPT13_lli, .Lfunc_end192-_ZN12_GLOBAL__N_127rocblas_gemm_batched_kernelIfLi16ELi16ELi32ELi32ELi8ELi32ELi8ELi8ELi32ELc78ELc67EKPKfS3_KPfEEvlllT_PT11_llS8_llS6_PT12_llPT13_lli
                                        ; -- End function
	.set _ZN12_GLOBAL__N_127rocblas_gemm_batched_kernelIfLi16ELi16ELi32ELi32ELi8ELi32ELi8ELi8ELi32ELc78ELc67EKPKfS3_KPfEEvlllT_PT11_llS8_llS6_PT12_llPT13_lli.num_vgpr, 58
	.set _ZN12_GLOBAL__N_127rocblas_gemm_batched_kernelIfLi16ELi16ELi32ELi32ELi8ELi32ELi8ELi8ELi32ELc78ELc67EKPKfS3_KPfEEvlllT_PT11_llS8_llS6_PT12_llPT13_lli.num_agpr, 0
	.set _ZN12_GLOBAL__N_127rocblas_gemm_batched_kernelIfLi16ELi16ELi32ELi32ELi8ELi32ELi8ELi8ELi32ELc78ELc67EKPKfS3_KPfEEvlllT_PT11_llS8_llS6_PT12_llPT13_lli.numbered_sgpr, 36
	.set _ZN12_GLOBAL__N_127rocblas_gemm_batched_kernelIfLi16ELi16ELi32ELi32ELi8ELi32ELi8ELi8ELi32ELc78ELc67EKPKfS3_KPfEEvlllT_PT11_llS8_llS6_PT12_llPT13_lli.num_named_barrier, 0
	.set _ZN12_GLOBAL__N_127rocblas_gemm_batched_kernelIfLi16ELi16ELi32ELi32ELi8ELi32ELi8ELi8ELi32ELc78ELc67EKPKfS3_KPfEEvlllT_PT11_llS8_llS6_PT12_llPT13_lli.private_seg_size, 0
	.set _ZN12_GLOBAL__N_127rocblas_gemm_batched_kernelIfLi16ELi16ELi32ELi32ELi8ELi32ELi8ELi8ELi32ELc78ELc67EKPKfS3_KPfEEvlllT_PT11_llS8_llS6_PT12_llPT13_lli.uses_vcc, 1
	.set _ZN12_GLOBAL__N_127rocblas_gemm_batched_kernelIfLi16ELi16ELi32ELi32ELi8ELi32ELi8ELi8ELi32ELc78ELc67EKPKfS3_KPfEEvlllT_PT11_llS8_llS6_PT12_llPT13_lli.uses_flat_scratch, 0
	.set _ZN12_GLOBAL__N_127rocblas_gemm_batched_kernelIfLi16ELi16ELi32ELi32ELi8ELi32ELi8ELi8ELi32ELc78ELc67EKPKfS3_KPfEEvlllT_PT11_llS8_llS6_PT12_llPT13_lli.has_dyn_sized_stack, 0
	.set _ZN12_GLOBAL__N_127rocblas_gemm_batched_kernelIfLi16ELi16ELi32ELi32ELi8ELi32ELi8ELi8ELi32ELc78ELc67EKPKfS3_KPfEEvlllT_PT11_llS8_llS6_PT12_llPT13_lli.has_recursion, 0
	.set _ZN12_GLOBAL__N_127rocblas_gemm_batched_kernelIfLi16ELi16ELi32ELi32ELi8ELi32ELi8ELi8ELi32ELc78ELc67EKPKfS3_KPfEEvlllT_PT11_llS8_llS6_PT12_llPT13_lli.has_indirect_call, 0
	.section	.AMDGPU.csdata,"",@progbits
; Kernel info:
; codeLenInByte = 1280
; TotalNumSgprs: 42
; NumVgprs: 58
; NumAgprs: 0
; TotalNumVgprs: 58
; ScratchSize: 0
; MemoryBound: 0
; FloatMode: 240
; IeeeMode: 1
; LDSByteSize: 2048 bytes/workgroup (compile time only)
; SGPRBlocks: 5
; VGPRBlocks: 7
; NumSGPRsForWavesPerEU: 42
; NumVGPRsForWavesPerEU: 58
; AccumOffset: 60
; Occupancy: 8
; WaveLimiterHint : 1
; COMPUTE_PGM_RSRC2:SCRATCH_EN: 0
; COMPUTE_PGM_RSRC2:USER_SGPR: 2
; COMPUTE_PGM_RSRC2:TRAP_HANDLER: 0
; COMPUTE_PGM_RSRC2:TGID_X_EN: 1
; COMPUTE_PGM_RSRC2:TGID_Y_EN: 1
; COMPUTE_PGM_RSRC2:TGID_Z_EN: 1
; COMPUTE_PGM_RSRC2:TIDIG_COMP_CNT: 1
; COMPUTE_PGM_RSRC3_GFX90A:ACCUM_OFFSET: 14
; COMPUTE_PGM_RSRC3_GFX90A:TG_SPLIT: 0
	.section	.text._ZN12_GLOBAL__N_127rocblas_gemm_batched_kernelIfLi16ELi16ELi32ELi32ELi8ELi32ELi8ELi8ELi32ELc84ELc67EKPKfS3_KPfEEvlllT_PT11_llS8_llS6_PT12_llPT13_lli,"axG",@progbits,_ZN12_GLOBAL__N_127rocblas_gemm_batched_kernelIfLi16ELi16ELi32ELi32ELi8ELi32ELi8ELi8ELi32ELc84ELc67EKPKfS3_KPfEEvlllT_PT11_llS8_llS6_PT12_llPT13_lli,comdat
	.globl	_ZN12_GLOBAL__N_127rocblas_gemm_batched_kernelIfLi16ELi16ELi32ELi32ELi8ELi32ELi8ELi8ELi32ELc84ELc67EKPKfS3_KPfEEvlllT_PT11_llS8_llS6_PT12_llPT13_lli ; -- Begin function _ZN12_GLOBAL__N_127rocblas_gemm_batched_kernelIfLi16ELi16ELi32ELi32ELi8ELi32ELi8ELi8ELi32ELc84ELc67EKPKfS3_KPfEEvlllT_PT11_llS8_llS6_PT12_llPT13_lli
	.p2align	8
	.type	_ZN12_GLOBAL__N_127rocblas_gemm_batched_kernelIfLi16ELi16ELi32ELi32ELi8ELi32ELi8ELi8ELi32ELc84ELc67EKPKfS3_KPfEEvlllT_PT11_llS8_llS6_PT12_llPT13_lli,@function
_ZN12_GLOBAL__N_127rocblas_gemm_batched_kernelIfLi16ELi16ELi32ELi32ELi8ELi32ELi8ELi8ELi32ELc84ELc67EKPKfS3_KPfEEvlllT_PT11_llS8_llS6_PT12_llPT13_lli: ; @_ZN12_GLOBAL__N_127rocblas_gemm_batched_kernelIfLi16ELi16ELi32ELi32ELi8ELi32ELi8ELi8ELi32ELc84ELc67EKPKfS3_KPfEEvlllT_PT11_llS8_llS6_PT12_llPT13_lli
; %bb.0:
	s_load_dwordx2 s[30:31], s[0:1], 0x10
	s_load_dwordx4 s[24:27], s[0:1], 0x78
	s_load_dwordx8 s[8:15], s[0:1], 0x58
	s_mov_b32 s5, 0
	s_lshl_b64 s[34:35], s[4:5], 3
	s_mov_b32 s6, s3
	v_mov_b32_e32 v3, 0
	s_waitcnt lgkmcnt(0)
	s_add_u32 s4, s8, s34
	s_addc_u32 s5, s9, s35
	s_load_dwordx2 s[8:9], s[4:5], 0x0
	s_add_u32 s4, s14, s34
	s_addc_u32 s5, s15, s35
	s_load_dwordx2 s[14:15], s[4:5], 0x0
	s_ashr_i32 s3, s2, 31
	s_ashr_i32 s7, s6, 31
	v_cmp_lt_i64_e64 s[4:5], s[30:31], 1
	v_bfe_u32 v2, v0, 10, 10
	v_and_b32_e32 v4, 0x3ff, v0
	v_mov_b32_e32 v5, v3
	s_lshl_b64 s[2:3], s[2:3], 5
	s_lshl_b64 s[28:29], s[6:7], 5
	s_and_b64 vcc, exec, s[4:5]
	v_mov_b32_e32 v7, v3
	v_mov_b32_e32 v6, v3
	;; [unrolled: 1-line block ×4, first 2 shown]
	s_cbranch_vccnz .LBB193_3
; %bb.1:
	s_load_dwordx8 s[16:23], s[0:1], 0x20
	s_load_dwordx4 s[4:7], s[0:1], 0x40
	v_lshl_add_u32 v8, v2, 4, v4
	v_and_b32_e32 v6, 31, v8
	v_lshrrev_b32_e32 v0, 3, v8
	s_waitcnt lgkmcnt(0)
	s_add_u32 s16, s16, s34
	s_addc_u32 s17, s17, s35
	s_add_u32 s22, s22, s34
	v_and_b32_e32 v10, 7, v4
	v_lshrrev_b32_e32 v12, 5, v8
	v_lshlrev_b32_e32 v8, 2, v6
	s_addc_u32 s23, s23, s35
	v_lshl_or_b32 v14, v12, 7, v8
	v_lshlrev_b32_e32 v8, 2, v10
	s_load_dwordx2 s[22:23], s[22:23], 0x0
	v_lshl_or_b32 v8, v0, 5, v8
	v_mov_b32_e32 v1, 0
	v_add_u32_e32 v15, 0x400, v8
	v_mov_b32_e32 v8, 0x400
	v_lshl_add_u32 v17, v2, 5, v8
	v_mad_u64_u32 v[8:9], s[34:35], s4, v10, v[0:1]
	v_mov_b32_e32 v0, v9
	s_lshl_b64 s[6:7], s[6:7], 2
	v_mad_u64_u32 v[10:11], s[34:35], s5, v10, v[0:1]
	v_mov_b32_e32 v7, v1
	v_mov_b32_e32 v9, v10
	s_waitcnt lgkmcnt(0)
	s_add_u32 s6, s22, s6
	s_load_dwordx2 s[16:17], s[16:17], 0x0
	v_lshl_add_u64 v[8:9], v[8:9], 0, s[28:29]
	s_addc_u32 s7, s23, s7
	v_lshl_add_u64 v[6:7], s[2:3], 0, v[6:7]
	v_lshl_add_u64 v[8:9], v[8:9], 2, s[6:7]
	v_mul_lo_u32 v0, s19, v6
	v_mul_lo_u32 v10, s18, v7
	v_mad_u64_u32 v[6:7], s[6:7], s18, v6, 0
	v_add3_u32 v7, v7, v10, v0
	s_lshl_b64 s[6:7], s[20:21], 2
	v_lshl_add_u64 v[6:7], v[6:7], 2, s[6:7]
	v_lshlrev_b32_e32 v0, 2, v12
	v_lshl_add_u64 v[6:7], v[6:7], 0, v[0:1]
	v_lshlrev_b32_e32 v16, 2, v4
	s_lshl_b64 s[4:5], s[4:5], 5
	s_waitcnt lgkmcnt(0)
	v_lshl_add_u64 v[10:11], s[16:17], 0, v[6:7]
	s_mov_b64 s[6:7], 0
	v_mov_b64_e32 v[12:13], s[30:31]
	v_mov_b32_e32 v0, v1
	v_mov_b32_e32 v6, v1
	;; [unrolled: 1-line block ×3, first 2 shown]
.LBB193_2:                              ; =>This Inner Loop Header: Depth=1
	flat_load_dword v18, v[10:11]
	s_add_u32 s6, s6, 8
	s_addc_u32 s7, s7, 0
	v_cmp_lt_i64_e32 vcc, s[6:7], v[12:13]
	v_lshl_add_u64 v[10:11], v[10:11], 0, 32
	s_and_b64 vcc, exec, vcc
	s_waitcnt vmcnt(0) lgkmcnt(0)
	ds_write_b32 v14, v18
	flat_load_dword v18, v[8:9]
	v_lshl_add_u64 v[8:9], v[8:9], 0, s[4:5]
	s_waitcnt vmcnt(0) lgkmcnt(0)
	ds_write_b32 v15, v18
	s_waitcnt lgkmcnt(0)
	s_barrier
	ds_read_b128 v[18:21], v17
	ds_read_b128 v[22:25], v17 offset:16
	ds_read2_b32 v[36:37], v16 offset1:16
	ds_read2_b32 v[38:39], v16 offset0:32 offset1:48
	ds_read2_b32 v[40:41], v16 offset0:64 offset1:80
	;; [unrolled: 1-line block ×4, first 2 shown]
	ds_read_b128 v[26:29], v17 offset:512
	ds_read_b128 v[30:33], v17 offset:528
	ds_read2_b32 v[48:49], v16 offset0:160 offset1:176
	ds_read2_b32 v[50:51], v16 offset0:192 offset1:208
	;; [unrolled: 1-line block ×3, first 2 shown]
	s_waitcnt lgkmcnt(9)
	v_mov_b32_e32 v34, v37
	v_mov_b32_e32 v35, v36
	s_waitcnt lgkmcnt(8)
	v_mov_b32_e32 v36, v39
	v_mov_b32_e32 v37, v38
	v_pk_fma_f32 v[6:7], v[34:35], v[18:19], v[6:7] op_sel_hi:[1,0,1]
	s_waitcnt lgkmcnt(4)
	v_pk_fma_f32 v[0:1], v[34:35], v[26:27], v[0:1] op_sel_hi:[1,0,1]
	v_mov_b32_e32 v38, v41
	v_mov_b32_e32 v39, v40
	v_pk_fma_f32 v[6:7], v[36:37], v[18:19], v[6:7] op_sel:[0,1,0]
	v_pk_fma_f32 v[0:1], v[36:37], v[26:27], v[0:1] op_sel:[0,1,0]
	v_mov_b32_e32 v40, v43
	v_mov_b32_e32 v41, v42
	;; [unrolled: 1-line block ×4, first 2 shown]
	v_pk_fma_f32 v[6:7], v[38:39], v[20:21], v[6:7] op_sel_hi:[1,0,1]
	v_pk_fma_f32 v[0:1], v[38:39], v[28:29], v[0:1] op_sel_hi:[1,0,1]
	v_mov_b32_e32 v44, v47
	v_mov_b32_e32 v45, v46
	v_pk_fma_f32 v[6:7], v[40:41], v[42:43], v[6:7] op_sel_hi:[1,0,1]
	v_pk_fma_f32 v[0:1], v[40:41], v[54:55], v[0:1] op_sel_hi:[1,0,1]
	s_waitcnt lgkmcnt(2)
	v_mov_b32_e32 v46, v49
	v_mov_b32_e32 v47, v48
	v_pk_fma_f32 v[6:7], v[44:45], v[22:23], v[6:7] op_sel_hi:[1,0,1]
	v_pk_fma_f32 v[0:1], v[44:45], v[30:31], v[0:1] op_sel_hi:[1,0,1]
	s_waitcnt lgkmcnt(1)
	v_mov_b32_e32 v48, v51
	v_mov_b32_e32 v49, v50
	v_pk_fma_f32 v[6:7], v[46:47], v[22:23], v[6:7] op_sel:[0,1,0]
	v_pk_fma_f32 v[0:1], v[46:47], v[30:31], v[0:1] op_sel:[0,1,0]
	s_waitcnt lgkmcnt(0)
	v_mov_b32_e32 v50, v53
	v_mov_b32_e32 v51, v52
	v_mov_b32_e32 v52, v25
	v_mov_b32_e32 v56, v33
	v_pk_fma_f32 v[6:7], v[48:49], v[24:25], v[6:7] op_sel_hi:[1,0,1]
	v_pk_fma_f32 v[0:1], v[48:49], v[32:33], v[0:1] op_sel_hi:[1,0,1]
	;; [unrolled: 1-line block ×4, first 2 shown]
	s_barrier
	s_cbranch_vccnz .LBB193_2
.LBB193_3:
	s_load_dword s4, s[0:1], 0x18
	s_load_dword s5, s[0:1], 0x50
	s_lshl_b64 s[0:1], s[26:27], 2
	s_waitcnt lgkmcnt(0)
	s_add_u32 s0, s14, s0
	v_lshl_add_u64 v[8:9], s[28:29], 0, v[2:3]
	v_lshl_add_u64 v[2:3], s[2:3], 0, v[4:5]
	v_cmp_neq_f32_e64 s[6:7], s5, 0
	s_addc_u32 s1, s15, s1
	s_and_b64 vcc, exec, s[6:7]
	v_mul_lo_u32 v4, v9, s24
	v_mul_lo_u32 v5, v8, s25
	v_lshlrev_b64 v[2:3], 2, v[2:3]
	s_cbranch_vccnz .LBB193_7
; %bb.4:
	v_mad_u64_u32 v[10:11], s[2:3], v8, s24, 0
	v_add3_u32 v11, v11, v5, v4
	v_lshl_add_u64 v[10:11], v[10:11], 2, s[0:1]
	v_mul_f32_e32 v14, s4, v7
	v_lshl_add_u64 v[12:13], v[10:11], 0, v[2:3]
	s_lshl_b64 s[2:3], s[24:25], 6
	flat_store_dword v[12:13], v14
	v_mul_f32_e32 v14, s4, v6
	v_lshl_add_u64 v[10:11], v[10:11], 0, s[2:3]
	flat_store_dword v[12:13], v14 offset:64
	v_mul_f32_e32 v12, s4, v1
	v_lshl_add_u64 v[10:11], v[10:11], 0, v[2:3]
	flat_store_dword v[10:11], v12
	v_mul_f32_e32 v12, s4, v0
	flat_store_dword v[10:11], v12 offset:64
	s_cbranch_execnz .LBB193_6
.LBB193_5:
	s_lshl_b64 s[2:3], s[12:13], 2
	s_add_u32 s2, s8, s2
	v_mul_lo_u32 v9, v9, s10
	v_mul_lo_u32 v12, v8, s11
	v_mad_u64_u32 v[10:11], s[6:7], v8, s10, 0
	s_addc_u32 s3, s9, s3
	v_add3_u32 v11, v11, v12, v9
	v_lshl_add_u64 v[10:11], v[10:11], 2, s[2:3]
	v_lshl_add_u64 v[12:13], v[10:11], 0, v[2:3]
	flat_load_dword v14, v[12:13]
	v_mad_u64_u32 v[8:9], s[2:3], v8, s24, 0
	v_add3_u32 v9, v9, v5, v4
	v_lshl_add_u64 v[4:5], v[8:9], 2, s[0:1]
	v_lshl_add_u64 v[8:9], v[4:5], 0, v[2:3]
	s_lshl_b64 s[0:1], s[10:11], 6
	v_lshl_add_u64 v[10:11], v[10:11], 0, s[0:1]
	v_lshl_add_u64 v[10:11], v[10:11], 0, v[2:3]
	s_lshl_b64 s[0:1], s[24:25], 6
	v_lshl_add_u64 v[4:5], v[4:5], 0, s[0:1]
	v_lshl_add_u64 v[2:3], v[4:5], 0, v[2:3]
	s_waitcnt vmcnt(0) lgkmcnt(0)
	v_mul_f32_e32 v14, s5, v14
	v_fmac_f32_e32 v14, s4, v7
	flat_store_dword v[8:9], v14
	flat_load_dword v7, v[12:13] offset:64
	s_waitcnt vmcnt(0) lgkmcnt(0)
	v_mul_f32_e32 v7, s5, v7
	v_fmac_f32_e32 v7, s4, v6
	flat_store_dword v[8:9], v7 offset:64
	flat_load_dword v6, v[10:11]
	s_waitcnt vmcnt(0) lgkmcnt(0)
	v_mul_f32_e32 v6, s5, v6
	v_fmac_f32_e32 v6, s4, v1
	flat_store_dword v[2:3], v6
	flat_load_dword v1, v[10:11] offset:64
	s_waitcnt vmcnt(0) lgkmcnt(0)
	v_mul_f32_e32 v1, s5, v1
	v_fmac_f32_e32 v1, s4, v0
	flat_store_dword v[2:3], v1 offset:64
.LBB193_6:
	s_endpgm
.LBB193_7:
	s_branch .LBB193_5
	.section	.rodata,"a",@progbits
	.p2align	6, 0x0
	.amdhsa_kernel _ZN12_GLOBAL__N_127rocblas_gemm_batched_kernelIfLi16ELi16ELi32ELi32ELi8ELi32ELi8ELi8ELi32ELc84ELc67EKPKfS3_KPfEEvlllT_PT11_llS8_llS6_PT12_llPT13_lli
		.amdhsa_group_segment_fixed_size 2048
		.amdhsa_private_segment_fixed_size 0
		.amdhsa_kernarg_size 140
		.amdhsa_user_sgpr_count 2
		.amdhsa_user_sgpr_dispatch_ptr 0
		.amdhsa_user_sgpr_queue_ptr 0
		.amdhsa_user_sgpr_kernarg_segment_ptr 1
		.amdhsa_user_sgpr_dispatch_id 0
		.amdhsa_user_sgpr_kernarg_preload_length 0
		.amdhsa_user_sgpr_kernarg_preload_offset 0
		.amdhsa_user_sgpr_private_segment_size 0
		.amdhsa_uses_dynamic_stack 0
		.amdhsa_enable_private_segment 0
		.amdhsa_system_sgpr_workgroup_id_x 1
		.amdhsa_system_sgpr_workgroup_id_y 1
		.amdhsa_system_sgpr_workgroup_id_z 1
		.amdhsa_system_sgpr_workgroup_info 0
		.amdhsa_system_vgpr_workitem_id 1
		.amdhsa_next_free_vgpr 58
		.amdhsa_next_free_sgpr 36
		.amdhsa_accum_offset 60
		.amdhsa_reserve_vcc 1
		.amdhsa_float_round_mode_32 0
		.amdhsa_float_round_mode_16_64 0
		.amdhsa_float_denorm_mode_32 3
		.amdhsa_float_denorm_mode_16_64 3
		.amdhsa_dx10_clamp 1
		.amdhsa_ieee_mode 1
		.amdhsa_fp16_overflow 0
		.amdhsa_tg_split 0
		.amdhsa_exception_fp_ieee_invalid_op 0
		.amdhsa_exception_fp_denorm_src 0
		.amdhsa_exception_fp_ieee_div_zero 0
		.amdhsa_exception_fp_ieee_overflow 0
		.amdhsa_exception_fp_ieee_underflow 0
		.amdhsa_exception_fp_ieee_inexact 0
		.amdhsa_exception_int_div_zero 0
	.end_amdhsa_kernel
	.section	.text._ZN12_GLOBAL__N_127rocblas_gemm_batched_kernelIfLi16ELi16ELi32ELi32ELi8ELi32ELi8ELi8ELi32ELc84ELc67EKPKfS3_KPfEEvlllT_PT11_llS8_llS6_PT12_llPT13_lli,"axG",@progbits,_ZN12_GLOBAL__N_127rocblas_gemm_batched_kernelIfLi16ELi16ELi32ELi32ELi8ELi32ELi8ELi8ELi32ELc84ELc67EKPKfS3_KPfEEvlllT_PT11_llS8_llS6_PT12_llPT13_lli,comdat
.Lfunc_end193:
	.size	_ZN12_GLOBAL__N_127rocblas_gemm_batched_kernelIfLi16ELi16ELi32ELi32ELi8ELi32ELi8ELi8ELi32ELc84ELc67EKPKfS3_KPfEEvlllT_PT11_llS8_llS6_PT12_llPT13_lli, .Lfunc_end193-_ZN12_GLOBAL__N_127rocblas_gemm_batched_kernelIfLi16ELi16ELi32ELi32ELi8ELi32ELi8ELi8ELi32ELc84ELc67EKPKfS3_KPfEEvlllT_PT11_llS8_llS6_PT12_llPT13_lli
                                        ; -- End function
	.set _ZN12_GLOBAL__N_127rocblas_gemm_batched_kernelIfLi16ELi16ELi32ELi32ELi8ELi32ELi8ELi8ELi32ELc84ELc67EKPKfS3_KPfEEvlllT_PT11_llS8_llS6_PT12_llPT13_lli.num_vgpr, 58
	.set _ZN12_GLOBAL__N_127rocblas_gemm_batched_kernelIfLi16ELi16ELi32ELi32ELi8ELi32ELi8ELi8ELi32ELc84ELc67EKPKfS3_KPfEEvlllT_PT11_llS8_llS6_PT12_llPT13_lli.num_agpr, 0
	.set _ZN12_GLOBAL__N_127rocblas_gemm_batched_kernelIfLi16ELi16ELi32ELi32ELi8ELi32ELi8ELi8ELi32ELc84ELc67EKPKfS3_KPfEEvlllT_PT11_llS8_llS6_PT12_llPT13_lli.numbered_sgpr, 36
	.set _ZN12_GLOBAL__N_127rocblas_gemm_batched_kernelIfLi16ELi16ELi32ELi32ELi8ELi32ELi8ELi8ELi32ELc84ELc67EKPKfS3_KPfEEvlllT_PT11_llS8_llS6_PT12_llPT13_lli.num_named_barrier, 0
	.set _ZN12_GLOBAL__N_127rocblas_gemm_batched_kernelIfLi16ELi16ELi32ELi32ELi8ELi32ELi8ELi8ELi32ELc84ELc67EKPKfS3_KPfEEvlllT_PT11_llS8_llS6_PT12_llPT13_lli.private_seg_size, 0
	.set _ZN12_GLOBAL__N_127rocblas_gemm_batched_kernelIfLi16ELi16ELi32ELi32ELi8ELi32ELi8ELi8ELi32ELc84ELc67EKPKfS3_KPfEEvlllT_PT11_llS8_llS6_PT12_llPT13_lli.uses_vcc, 1
	.set _ZN12_GLOBAL__N_127rocblas_gemm_batched_kernelIfLi16ELi16ELi32ELi32ELi8ELi32ELi8ELi8ELi32ELc84ELc67EKPKfS3_KPfEEvlllT_PT11_llS8_llS6_PT12_llPT13_lli.uses_flat_scratch, 0
	.set _ZN12_GLOBAL__N_127rocblas_gemm_batched_kernelIfLi16ELi16ELi32ELi32ELi8ELi32ELi8ELi8ELi32ELc84ELc67EKPKfS3_KPfEEvlllT_PT11_llS8_llS6_PT12_llPT13_lli.has_dyn_sized_stack, 0
	.set _ZN12_GLOBAL__N_127rocblas_gemm_batched_kernelIfLi16ELi16ELi32ELi32ELi8ELi32ELi8ELi8ELi32ELc84ELc67EKPKfS3_KPfEEvlllT_PT11_llS8_llS6_PT12_llPT13_lli.has_recursion, 0
	.set _ZN12_GLOBAL__N_127rocblas_gemm_batched_kernelIfLi16ELi16ELi32ELi32ELi8ELi32ELi8ELi8ELi32ELc84ELc67EKPKfS3_KPfEEvlllT_PT11_llS8_llS6_PT12_llPT13_lli.has_indirect_call, 0
	.section	.AMDGPU.csdata,"",@progbits
; Kernel info:
; codeLenInByte = 1296
; TotalNumSgprs: 42
; NumVgprs: 58
; NumAgprs: 0
; TotalNumVgprs: 58
; ScratchSize: 0
; MemoryBound: 0
; FloatMode: 240
; IeeeMode: 1
; LDSByteSize: 2048 bytes/workgroup (compile time only)
; SGPRBlocks: 5
; VGPRBlocks: 7
; NumSGPRsForWavesPerEU: 42
; NumVGPRsForWavesPerEU: 58
; AccumOffset: 60
; Occupancy: 8
; WaveLimiterHint : 1
; COMPUTE_PGM_RSRC2:SCRATCH_EN: 0
; COMPUTE_PGM_RSRC2:USER_SGPR: 2
; COMPUTE_PGM_RSRC2:TRAP_HANDLER: 0
; COMPUTE_PGM_RSRC2:TGID_X_EN: 1
; COMPUTE_PGM_RSRC2:TGID_Y_EN: 1
; COMPUTE_PGM_RSRC2:TGID_Z_EN: 1
; COMPUTE_PGM_RSRC2:TIDIG_COMP_CNT: 1
; COMPUTE_PGM_RSRC3_GFX90A:ACCUM_OFFSET: 14
; COMPUTE_PGM_RSRC3_GFX90A:TG_SPLIT: 0
	.section	.text._ZN12_GLOBAL__N_135rocblas_gemm_batched_general_kernelIfLi16ELi16ELi32ELi32ELi8ELi32ELi8ELi8ELi32ELc78ELc78EKPKfS3_KPfEEvlllT_PT11_llS8_llS6_PT12_llPT13_lli,"axG",@progbits,_ZN12_GLOBAL__N_135rocblas_gemm_batched_general_kernelIfLi16ELi16ELi32ELi32ELi8ELi32ELi8ELi8ELi32ELc78ELc78EKPKfS3_KPfEEvlllT_PT11_llS8_llS6_PT12_llPT13_lli,comdat
	.globl	_ZN12_GLOBAL__N_135rocblas_gemm_batched_general_kernelIfLi16ELi16ELi32ELi32ELi8ELi32ELi8ELi8ELi32ELc78ELc78EKPKfS3_KPfEEvlllT_PT11_llS8_llS6_PT12_llPT13_lli ; -- Begin function _ZN12_GLOBAL__N_135rocblas_gemm_batched_general_kernelIfLi16ELi16ELi32ELi32ELi8ELi32ELi8ELi8ELi32ELc78ELc78EKPKfS3_KPfEEvlllT_PT11_llS8_llS6_PT12_llPT13_lli
	.p2align	8
	.type	_ZN12_GLOBAL__N_135rocblas_gemm_batched_general_kernelIfLi16ELi16ELi32ELi32ELi8ELi32ELi8ELi8ELi32ELc78ELc78EKPKfS3_KPfEEvlllT_PT11_llS8_llS6_PT12_llPT13_lli,@function
_ZN12_GLOBAL__N_135rocblas_gemm_batched_general_kernelIfLi16ELi16ELi32ELi32ELi8ELi32ELi8ELi8ELi32ELc78ELc78EKPKfS3_KPfEEvlllT_PT11_llS8_llS6_PT12_llPT13_lli: ; @_ZN12_GLOBAL__N_135rocblas_gemm_batched_general_kernelIfLi16ELi16ELi32ELi32ELi8ELi32ELi8ELi8ELi32ELc78ELc78EKPKfS3_KPfEEvlllT_PT11_llS8_llS6_PT12_llPT13_lli
; %bb.0:
	s_load_dwordx4 s[28:31], s[0:1], 0x0
	s_load_dwordx2 s[34:35], s[0:1], 0x10
	s_load_dwordx4 s[24:27], s[0:1], 0x78
	s_load_dwordx8 s[8:15], s[0:1], 0x58
	s_mov_b32 s5, 0
	s_lshl_b64 s[4:5], s[4:5], 3
	s_mov_b32 s6, s3
	v_mov_b32_e32 v7, 0
	s_waitcnt lgkmcnt(0)
	s_add_u32 s8, s8, s4
	s_addc_u32 s9, s9, s5
	s_add_u32 s14, s14, s4
	s_addc_u32 s15, s15, s5
	s_load_dwordx2 s[8:9], s[8:9], 0x0
	s_ashr_i32 s7, s6, 31
	s_load_dwordx2 s[40:41], s[14:15], 0x0
	s_ashr_i32 s3, s2, 31
	s_lshl_b64 s[42:43], s[6:7], 5
	v_cmp_lt_i64_e64 s[6:7], s[34:35], 1
	v_and_b32_e32 v2, 0x3ff, v0
	v_bfe_u32 v6, v0, 10, 10
	v_mov_b32_e32 v3, v7
	s_lshl_b64 s[14:15], s[2:3], 5
	s_and_b64 vcc, exec, s[6:7]
	v_mov_b32_e32 v5, v7
	v_mov_b32_e32 v4, v7
	;; [unrolled: 1-line block ×4, first 2 shown]
	s_cbranch_vccnz .LBB194_7
; %bb.1:
	s_load_dwordx8 s[16:23], s[0:1], 0x20
	s_load_dwordx4 s[36:39], s[0:1], 0x40
	v_lshl_add_u32 v12, v6, 4, v2
	v_mov_b32_e32 v9, 0
	v_lshrrev_b32_e32 v0, 3, v12
	v_mov_b32_e32 v1, v9
	s_waitcnt lgkmcnt(0)
	s_add_u32 s6, s22, s4
	v_lshl_add_u64 v[4:5], v[0:1], 0, s[42:43]
	v_and_b32_e32 v1, 31, v12
	v_lshrrev_b32_e32 v8, 5, v12
	v_and_b32_e32 v10, 7, v2
	s_addc_u32 s7, s23, s5
	v_or_b32_e32 v12, s14, v1
	v_mov_b32_e32 v13, s15
	s_load_dwordx2 s[22:23], s[6:7], 0x0
	v_cmp_gt_i64_e64 s[6:7], s[28:29], v[12:13]
	v_lshlrev_b32_e32 v12, 2, v10
	s_add_u32 s4, s16, s4
	v_lshl_or_b32 v0, v0, 5, v12
	s_addc_u32 s5, s17, s5
	v_add_u32_e32 v19, 0x400, v0
	v_mov_b32_e32 v0, 0x400
	s_load_dwordx2 s[16:17], s[4:5], 0x0
	v_lshlrev_b32_e32 v14, 2, v1
	v_cmp_gt_i64_e64 s[4:5], s[30:31], v[4:5]
	v_lshl_add_u32 v21, v6, 5, v0
	v_mul_lo_u32 v13, s37, v4
	v_mul_lo_u32 v5, s36, v5
	v_mad_u64_u32 v[0:1], s[36:37], s36, v4, 0
	v_add3_u32 v1, v1, v5, v13
	s_lshl_b64 s[36:37], s[38:39], 2
	v_lshl_add_u64 v[0:1], v[0:1], 2, s[36:37]
	v_mov_b32_e32 v13, v9
	v_lshl_add_u64 v[0:1], v[0:1], 0, v[12:13]
	s_waitcnt lgkmcnt(0)
	v_lshl_add_u64 v[12:13], s[22:23], 0, v[0:1]
	v_mad_u64_u32 v[0:1], s[22:23], s18, v8, 0
	v_mov_b32_e32 v4, v1
	s_lshl_b64 s[2:3], s[2:3], 7
	s_lshl_b64 s[20:21], s[20:21], 2
	v_mad_u64_u32 v[4:5], s[22:23], s19, v8, v[4:5]
	s_add_u32 s2, s20, s2
	v_mov_b32_e32 v1, v4
	s_addc_u32 s3, s21, s3
	v_lshl_add_u64 v[0:1], v[0:1], 2, s[2:3]
	v_mov_b32_e32 v15, v9
	v_lshl_add_u64 v[0:1], v[0:1], 0, v[14:15]
	v_mov_b32_e32 v11, v9
	v_lshl_or_b32 v18, v8, 7, v14
	v_lshlrev_b32_e32 v20, 2, v2
	v_lshl_add_u64 v[14:15], s[16:17], 0, v[0:1]
	s_lshl_b64 s[2:3], s[18:19], 5
	s_mov_b64 s[16:17], 0
	v_mov_b64_e32 v[16:17], s[34:35]
	v_mov_b32_e32 v4, v9
	v_mov_b32_e32 v5, v9
	;; [unrolled: 1-line block ×4, first 2 shown]
	s_branch .LBB194_3
.LBB194_2:                              ;   in Loop: Header=BB194_3 Depth=1
	s_or_b64 exec, exec, s[18:19]
	s_waitcnt vmcnt(0) lgkmcnt(0)
	ds_write_b32 v19, v22
	s_waitcnt lgkmcnt(0)
	s_barrier
	ds_read_b128 v[22:25], v21
	ds_read_b128 v[26:29], v21 offset:16
	ds_read2_b32 v[38:39], v20 offset1:16
	ds_read2_b32 v[40:41], v20 offset0:32 offset1:48
	ds_read2_b32 v[42:43], v20 offset0:64 offset1:80
	;; [unrolled: 1-line block ×4, first 2 shown]
	ds_read_b128 v[30:33], v21 offset:512
	ds_read_b128 v[34:37], v21 offset:528
	ds_read2_b32 v[48:49], v20 offset0:160 offset1:176
	ds_read2_b32 v[50:51], v20 offset0:192 offset1:208
	;; [unrolled: 1-line block ×3, first 2 shown]
	s_waitcnt lgkmcnt(9)
	v_pk_fma_f32 v[4:5], v[38:39], v[22:23], v[4:5] op_sel_hi:[1,0,1]
	s_waitcnt lgkmcnt(4)
	v_pk_fma_f32 v[0:1], v[38:39], v[30:31], v[0:1] op_sel_hi:[1,0,1]
	v_pk_fma_f32 v[4:5], v[40:41], v[22:23], v[4:5] op_sel:[0,1,0]
	v_mov_b32_e32 v22, v25
	v_pk_fma_f32 v[4:5], v[42:43], v[24:25], v[4:5] op_sel_hi:[1,0,1]
	v_pk_fma_f32 v[0:1], v[40:41], v[30:31], v[0:1] op_sel:[0,1,0]
	v_pk_fma_f32 v[4:5], v[44:45], v[22:23], v[4:5] op_sel_hi:[1,0,1]
	v_mov_b32_e32 v22, v29
	v_pk_fma_f32 v[4:5], v[46:47], v[26:27], v[4:5] op_sel_hi:[1,0,1]
	v_pk_fma_f32 v[0:1], v[42:43], v[32:33], v[0:1] op_sel_hi:[1,0,1]
	s_waitcnt lgkmcnt(2)
	v_pk_fma_f32 v[4:5], v[48:49], v[26:27], v[4:5] op_sel:[0,1,0]
	s_add_u32 s16, s16, 8
	s_waitcnt lgkmcnt(1)
	v_pk_fma_f32 v[4:5], v[50:51], v[28:29], v[4:5] op_sel_hi:[1,0,1]
	s_addc_u32 s17, s17, 0
	s_waitcnt lgkmcnt(0)
	v_pk_fma_f32 v[4:5], v[52:53], v[22:23], v[4:5] op_sel_hi:[1,0,1]
	v_mov_b32_e32 v22, v33
	v_pk_fma_f32 v[0:1], v[44:45], v[22:23], v[0:1] op_sel_hi:[1,0,1]
	v_mov_b32_e32 v22, v37
	v_pk_fma_f32 v[0:1], v[46:47], v[34:35], v[0:1] op_sel_hi:[1,0,1]
	v_cmp_lt_i64_e32 vcc, s[16:17], v[16:17]
	v_pk_fma_f32 v[0:1], v[48:49], v[34:35], v[0:1] op_sel:[0,1,0]
	v_lshl_add_u64 v[12:13], v[12:13], 0, 32
	v_pk_fma_f32 v[0:1], v[50:51], v[36:37], v[0:1] op_sel_hi:[1,0,1]
	v_lshl_add_u64 v[14:15], v[14:15], 0, s[2:3]
	v_pk_fma_f32 v[0:1], v[52:53], v[22:23], v[0:1] op_sel_hi:[1,0,1]
	s_barrier
	s_cbranch_vccz .LBB194_7
.LBB194_3:                              ; =>This Inner Loop Header: Depth=1
	v_lshl_add_u64 v[22:23], v[8:9], 0, s[16:17]
	v_cmp_gt_i64_e32 vcc, s[34:35], v[22:23]
	s_and_b64 s[20:21], s[6:7], vcc
	v_mov_b32_e32 v22, 0
	s_and_saveexec_b64 s[18:19], s[20:21]
	s_cbranch_execz .LBB194_5
; %bb.4:                                ;   in Loop: Header=BB194_3 Depth=1
	flat_load_dword v22, v[14:15]
.LBB194_5:                              ;   in Loop: Header=BB194_3 Depth=1
	s_or_b64 exec, exec, s[18:19]
	s_waitcnt vmcnt(0) lgkmcnt(0)
	ds_write_b32 v18, v22
	v_lshl_add_u64 v[22:23], v[10:11], 0, s[16:17]
	v_cmp_gt_i64_e32 vcc, s[34:35], v[22:23]
	s_and_b64 s[20:21], vcc, s[4:5]
	v_mov_b32_e32 v22, 0
	s_and_saveexec_b64 s[18:19], s[20:21]
	s_cbranch_execz .LBB194_2
; %bb.6:                                ;   in Loop: Header=BB194_3 Depth=1
	flat_load_dword v22, v[12:13]
	s_branch .LBB194_2
.LBB194_7:
	s_load_dword s6, s[0:1], 0x18
	s_load_dword s7, s[0:1], 0x50
	s_lshl_b64 s[0:1], s[26:27], 2
	s_waitcnt lgkmcnt(0)
	s_add_u32 s16, s40, s0
	v_lshl_add_u64 v[6:7], s[42:43], 0, v[6:7]
	s_addc_u32 s17, s41, s1
	v_cmp_neq_f32_e64 s[2:3], s7, 0
	v_cmp_gt_i64_e64 s[0:1], s[30:31], v[6:7]
	s_and_b64 vcc, exec, s[2:3]
	s_cbranch_vccnz .LBB194_20
; %bb.8:
	s_and_saveexec_b64 s[18:19], s[0:1]
	s_cbranch_execz .LBB194_18
; %bb.9:
	v_mul_lo_u32 v12, v7, s24
	v_mul_lo_u32 v13, v6, s25
	v_mad_u64_u32 v[10:11], s[2:3], v6, s24, 0
	v_add3_u32 v11, v11, v13, v12
	v_lshl_add_u64 v[8:9], s[14:15], 0, v[2:3]
	v_lshl_add_u64 v[10:11], v[10:11], 2, s[16:17]
	v_cmp_gt_i64_e32 vcc, s[28:29], v[8:9]
	v_lshl_add_u64 v[12:13], v[8:9], 2, v[10:11]
	s_and_saveexec_b64 s[2:3], vcc
	s_cbranch_execz .LBB194_11
; %bb.10:
	v_mul_f32_e32 v14, s6, v4
	flat_store_dword v[12:13], v14
.LBB194_11:
	s_or_b64 exec, exec, s[2:3]
	v_lshl_add_u64 v[14:15], v[8:9], 0, 16
	v_cmp_gt_i64_e64 s[2:3], s[28:29], v[14:15]
	s_and_saveexec_b64 s[4:5], s[2:3]
	s_cbranch_execz .LBB194_13
; %bb.12:
	v_mul_f32_e32 v14, s6, v5
	flat_store_dword v[12:13], v14 offset:64
.LBB194_13:
	s_or_b64 exec, exec, s[4:5]
	v_lshl_add_u64 v[12:13], v[6:7], 0, 16
	v_cmp_gt_i64_e64 s[4:5], s[30:31], v[12:13]
	s_and_b64 exec, exec, s[4:5]
	s_cbranch_execz .LBB194_18
; %bb.14:
	s_lshl_b64 s[4:5], s[24:25], 6
	v_lshl_add_u64 v[10:11], v[10:11], 0, s[4:5]
	v_lshl_add_u64 v[8:9], v[8:9], 2, v[10:11]
	s_and_saveexec_b64 s[4:5], vcc
	s_cbranch_execz .LBB194_16
; %bb.15:
	v_mul_f32_e32 v10, s6, v0
	flat_store_dword v[8:9], v10
.LBB194_16:
	s_or_b64 exec, exec, s[4:5]
	s_and_b64 exec, exec, s[2:3]
	s_cbranch_execz .LBB194_18
; %bb.17:
	v_mul_f32_e32 v10, s6, v1
	flat_store_dword v[8:9], v10 offset:64
.LBB194_18:
	s_or_b64 exec, exec, s[18:19]
	s_cbranch_execz .LBB194_21
.LBB194_19:
	s_endpgm
.LBB194_20:
.LBB194_21:
	s_and_saveexec_b64 s[2:3], s[0:1]
	s_cbranch_execz .LBB194_19
; %bb.22:
	s_lshl_b64 s[0:1], s[12:13], 2
	v_lshl_add_u64 v[12:13], s[14:15], 0, v[2:3]
	v_mul_lo_u32 v8, v7, s10
	v_mul_lo_u32 v9, v6, s11
	v_mad_u64_u32 v[2:3], s[2:3], v6, s10, 0
	s_add_u32 s0, s8, s0
	v_add3_u32 v3, v3, v9, v8
	v_mul_lo_u32 v10, v7, s24
	v_mul_lo_u32 v11, v6, s25
	v_mad_u64_u32 v[8:9], s[2:3], v6, s24, 0
	s_addc_u32 s1, s9, s1
	v_add3_u32 v9, v9, v11, v10
	v_cmp_gt_i64_e32 vcc, s[28:29], v[12:13]
	v_lshl_add_u64 v[10:11], v[2:3], 2, s[0:1]
	v_lshl_add_u64 v[8:9], v[8:9], 2, s[16:17]
	v_lshlrev_b64 v[2:3], 2, v[12:13]
	s_and_saveexec_b64 s[0:1], vcc
	s_cbranch_execz .LBB194_24
; %bb.23:
	v_lshl_add_u64 v[14:15], v[10:11], 0, v[2:3]
	flat_load_dword v15, v[14:15]
	v_mov_b32_e32 v14, v4
	s_waitcnt vmcnt(0) lgkmcnt(0)
	v_pk_mul_f32 v[14:15], s[6:7], v[14:15]
	s_nop 0
	v_add_f32_e32 v4, v14, v15
	v_lshl_add_u64 v[14:15], v[8:9], 0, v[2:3]
	flat_store_dword v[14:15], v4
.LBB194_24:
	s_or_b64 exec, exec, s[0:1]
	v_lshl_add_u64 v[12:13], v[12:13], 0, 16
	v_cmp_gt_i64_e64 s[0:1], s[28:29], v[12:13]
	s_and_saveexec_b64 s[2:3], s[0:1]
	s_cbranch_execz .LBB194_26
; %bb.25:
	v_lshl_add_u64 v[12:13], v[10:11], 0, v[2:3]
	flat_load_dword v13, v[12:13] offset:64
	v_mov_b32_e32 v12, v5
	s_waitcnt vmcnt(0) lgkmcnt(0)
	v_pk_mul_f32 v[4:5], s[6:7], v[12:13]
	s_nop 0
	v_add_f32_e32 v12, v4, v5
	v_lshl_add_u64 v[4:5], v[8:9], 0, v[2:3]
	flat_store_dword v[4:5], v12 offset:64
.LBB194_26:
	s_or_b64 exec, exec, s[2:3]
	v_lshl_add_u64 v[4:5], v[6:7], 0, 16
	v_cmp_gt_i64_e64 s[2:3], s[30:31], v[4:5]
	s_and_b64 exec, exec, s[2:3]
	s_cbranch_execz .LBB194_19
; %bb.27:
	s_lshl_b64 s[2:3], s[10:11], 6
	v_lshl_add_u64 v[4:5], v[10:11], 0, s[2:3]
	s_lshl_b64 s[2:3], s[24:25], 6
	v_lshl_add_u64 v[6:7], v[8:9], 0, s[2:3]
	v_lshl_add_u64 v[4:5], v[4:5], 0, v[2:3]
	;; [unrolled: 1-line block ×3, first 2 shown]
	s_and_saveexec_b64 s[2:3], vcc
	s_cbranch_execz .LBB194_29
; %bb.28:
	flat_load_dword v7, v[4:5]
	v_mov_b32_e32 v6, v0
	s_waitcnt vmcnt(0) lgkmcnt(0)
	v_pk_mul_f32 v[6:7], s[6:7], v[6:7]
	s_nop 0
	v_add_f32_e32 v0, v6, v7
	flat_store_dword v[2:3], v0
.LBB194_29:
	s_or_b64 exec, exec, s[2:3]
	s_and_b64 exec, exec, s[0:1]
	s_cbranch_execz .LBB194_19
; %bb.30:
	flat_load_dword v5, v[4:5] offset:64
	v_mov_b32_e32 v4, v1
	s_waitcnt vmcnt(0) lgkmcnt(0)
	v_pk_mul_f32 v[0:1], s[6:7], v[4:5]
	s_nop 0
	v_add_f32_e32 v0, v0, v1
	flat_store_dword v[2:3], v0 offset:64
	s_endpgm
	.section	.rodata,"a",@progbits
	.p2align	6, 0x0
	.amdhsa_kernel _ZN12_GLOBAL__N_135rocblas_gemm_batched_general_kernelIfLi16ELi16ELi32ELi32ELi8ELi32ELi8ELi8ELi32ELc78ELc78EKPKfS3_KPfEEvlllT_PT11_llS8_llS6_PT12_llPT13_lli
		.amdhsa_group_segment_fixed_size 2048
		.amdhsa_private_segment_fixed_size 0
		.amdhsa_kernarg_size 140
		.amdhsa_user_sgpr_count 2
		.amdhsa_user_sgpr_dispatch_ptr 0
		.amdhsa_user_sgpr_queue_ptr 0
		.amdhsa_user_sgpr_kernarg_segment_ptr 1
		.amdhsa_user_sgpr_dispatch_id 0
		.amdhsa_user_sgpr_kernarg_preload_length 0
		.amdhsa_user_sgpr_kernarg_preload_offset 0
		.amdhsa_user_sgpr_private_segment_size 0
		.amdhsa_uses_dynamic_stack 0
		.amdhsa_enable_private_segment 0
		.amdhsa_system_sgpr_workgroup_id_x 1
		.amdhsa_system_sgpr_workgroup_id_y 1
		.amdhsa_system_sgpr_workgroup_id_z 1
		.amdhsa_system_sgpr_workgroup_info 0
		.amdhsa_system_vgpr_workitem_id 1
		.amdhsa_next_free_vgpr 54
		.amdhsa_next_free_sgpr 44
		.amdhsa_accum_offset 56
		.amdhsa_reserve_vcc 1
		.amdhsa_float_round_mode_32 0
		.amdhsa_float_round_mode_16_64 0
		.amdhsa_float_denorm_mode_32 3
		.amdhsa_float_denorm_mode_16_64 3
		.amdhsa_dx10_clamp 1
		.amdhsa_ieee_mode 1
		.amdhsa_fp16_overflow 0
		.amdhsa_tg_split 0
		.amdhsa_exception_fp_ieee_invalid_op 0
		.amdhsa_exception_fp_denorm_src 0
		.amdhsa_exception_fp_ieee_div_zero 0
		.amdhsa_exception_fp_ieee_overflow 0
		.amdhsa_exception_fp_ieee_underflow 0
		.amdhsa_exception_fp_ieee_inexact 0
		.amdhsa_exception_int_div_zero 0
	.end_amdhsa_kernel
	.section	.text._ZN12_GLOBAL__N_135rocblas_gemm_batched_general_kernelIfLi16ELi16ELi32ELi32ELi8ELi32ELi8ELi8ELi32ELc78ELc78EKPKfS3_KPfEEvlllT_PT11_llS8_llS6_PT12_llPT13_lli,"axG",@progbits,_ZN12_GLOBAL__N_135rocblas_gemm_batched_general_kernelIfLi16ELi16ELi32ELi32ELi8ELi32ELi8ELi8ELi32ELc78ELc78EKPKfS3_KPfEEvlllT_PT11_llS8_llS6_PT12_llPT13_lli,comdat
.Lfunc_end194:
	.size	_ZN12_GLOBAL__N_135rocblas_gemm_batched_general_kernelIfLi16ELi16ELi32ELi32ELi8ELi32ELi8ELi8ELi32ELc78ELc78EKPKfS3_KPfEEvlllT_PT11_llS8_llS6_PT12_llPT13_lli, .Lfunc_end194-_ZN12_GLOBAL__N_135rocblas_gemm_batched_general_kernelIfLi16ELi16ELi32ELi32ELi8ELi32ELi8ELi8ELi32ELc78ELc78EKPKfS3_KPfEEvlllT_PT11_llS8_llS6_PT12_llPT13_lli
                                        ; -- End function
	.set _ZN12_GLOBAL__N_135rocblas_gemm_batched_general_kernelIfLi16ELi16ELi32ELi32ELi8ELi32ELi8ELi8ELi32ELc78ELc78EKPKfS3_KPfEEvlllT_PT11_llS8_llS6_PT12_llPT13_lli.num_vgpr, 54
	.set _ZN12_GLOBAL__N_135rocblas_gemm_batched_general_kernelIfLi16ELi16ELi32ELi32ELi8ELi32ELi8ELi8ELi32ELc78ELc78EKPKfS3_KPfEEvlllT_PT11_llS8_llS6_PT12_llPT13_lli.num_agpr, 0
	.set _ZN12_GLOBAL__N_135rocblas_gemm_batched_general_kernelIfLi16ELi16ELi32ELi32ELi8ELi32ELi8ELi8ELi32ELc78ELc78EKPKfS3_KPfEEvlllT_PT11_llS8_llS6_PT12_llPT13_lli.numbered_sgpr, 44
	.set _ZN12_GLOBAL__N_135rocblas_gemm_batched_general_kernelIfLi16ELi16ELi32ELi32ELi8ELi32ELi8ELi8ELi32ELc78ELc78EKPKfS3_KPfEEvlllT_PT11_llS8_llS6_PT12_llPT13_lli.num_named_barrier, 0
	.set _ZN12_GLOBAL__N_135rocblas_gemm_batched_general_kernelIfLi16ELi16ELi32ELi32ELi8ELi32ELi8ELi8ELi32ELc78ELc78EKPKfS3_KPfEEvlllT_PT11_llS8_llS6_PT12_llPT13_lli.private_seg_size, 0
	.set _ZN12_GLOBAL__N_135rocblas_gemm_batched_general_kernelIfLi16ELi16ELi32ELi32ELi8ELi32ELi8ELi8ELi32ELc78ELc78EKPKfS3_KPfEEvlllT_PT11_llS8_llS6_PT12_llPT13_lli.uses_vcc, 1
	.set _ZN12_GLOBAL__N_135rocblas_gemm_batched_general_kernelIfLi16ELi16ELi32ELi32ELi8ELi32ELi8ELi8ELi32ELc78ELc78EKPKfS3_KPfEEvlllT_PT11_llS8_llS6_PT12_llPT13_lli.uses_flat_scratch, 0
	.set _ZN12_GLOBAL__N_135rocblas_gemm_batched_general_kernelIfLi16ELi16ELi32ELi32ELi8ELi32ELi8ELi8ELi32ELc78ELc78EKPKfS3_KPfEEvlllT_PT11_llS8_llS6_PT12_llPT13_lli.has_dyn_sized_stack, 0
	.set _ZN12_GLOBAL__N_135rocblas_gemm_batched_general_kernelIfLi16ELi16ELi32ELi32ELi8ELi32ELi8ELi8ELi32ELc78ELc78EKPKfS3_KPfEEvlllT_PT11_llS8_llS6_PT12_llPT13_lli.has_recursion, 0
	.set _ZN12_GLOBAL__N_135rocblas_gemm_batched_general_kernelIfLi16ELi16ELi32ELi32ELi8ELi32ELi8ELi8ELi32ELc78ELc78EKPKfS3_KPfEEvlllT_PT11_llS8_llS6_PT12_llPT13_lli.has_indirect_call, 0
	.section	.AMDGPU.csdata,"",@progbits
; Kernel info:
; codeLenInByte = 1640
; TotalNumSgprs: 50
; NumVgprs: 54
; NumAgprs: 0
; TotalNumVgprs: 54
; ScratchSize: 0
; MemoryBound: 0
; FloatMode: 240
; IeeeMode: 1
; LDSByteSize: 2048 bytes/workgroup (compile time only)
; SGPRBlocks: 6
; VGPRBlocks: 6
; NumSGPRsForWavesPerEU: 50
; NumVGPRsForWavesPerEU: 54
; AccumOffset: 56
; Occupancy: 8
; WaveLimiterHint : 1
; COMPUTE_PGM_RSRC2:SCRATCH_EN: 0
; COMPUTE_PGM_RSRC2:USER_SGPR: 2
; COMPUTE_PGM_RSRC2:TRAP_HANDLER: 0
; COMPUTE_PGM_RSRC2:TGID_X_EN: 1
; COMPUTE_PGM_RSRC2:TGID_Y_EN: 1
; COMPUTE_PGM_RSRC2:TGID_Z_EN: 1
; COMPUTE_PGM_RSRC2:TIDIG_COMP_CNT: 1
; COMPUTE_PGM_RSRC3_GFX90A:ACCUM_OFFSET: 13
; COMPUTE_PGM_RSRC3_GFX90A:TG_SPLIT: 0
	.section	.text._ZN12_GLOBAL__N_135rocblas_gemm_batched_general_kernelIfLi16ELi16ELi32ELi32ELi8ELi32ELi8ELi8ELi32ELc84ELc78EKPKfS3_KPfEEvlllT_PT11_llS8_llS6_PT12_llPT13_lli,"axG",@progbits,_ZN12_GLOBAL__N_135rocblas_gemm_batched_general_kernelIfLi16ELi16ELi32ELi32ELi8ELi32ELi8ELi8ELi32ELc84ELc78EKPKfS3_KPfEEvlllT_PT11_llS8_llS6_PT12_llPT13_lli,comdat
	.globl	_ZN12_GLOBAL__N_135rocblas_gemm_batched_general_kernelIfLi16ELi16ELi32ELi32ELi8ELi32ELi8ELi8ELi32ELc84ELc78EKPKfS3_KPfEEvlllT_PT11_llS8_llS6_PT12_llPT13_lli ; -- Begin function _ZN12_GLOBAL__N_135rocblas_gemm_batched_general_kernelIfLi16ELi16ELi32ELi32ELi8ELi32ELi8ELi8ELi32ELc84ELc78EKPKfS3_KPfEEvlllT_PT11_llS8_llS6_PT12_llPT13_lli
	.p2align	8
	.type	_ZN12_GLOBAL__N_135rocblas_gemm_batched_general_kernelIfLi16ELi16ELi32ELi32ELi8ELi32ELi8ELi8ELi32ELc84ELc78EKPKfS3_KPfEEvlllT_PT11_llS8_llS6_PT12_llPT13_lli,@function
_ZN12_GLOBAL__N_135rocblas_gemm_batched_general_kernelIfLi16ELi16ELi32ELi32ELi8ELi32ELi8ELi8ELi32ELc84ELc78EKPKfS3_KPfEEvlllT_PT11_llS8_llS6_PT12_llPT13_lli: ; @_ZN12_GLOBAL__N_135rocblas_gemm_batched_general_kernelIfLi16ELi16ELi32ELi32ELi8ELi32ELi8ELi8ELi32ELc84ELc78EKPKfS3_KPfEEvlllT_PT11_llS8_llS6_PT12_llPT13_lli
; %bb.0:
	s_load_dwordx4 s[28:31], s[0:1], 0x0
	s_load_dwordx2 s[34:35], s[0:1], 0x10
	s_load_dwordx4 s[24:27], s[0:1], 0x78
	s_load_dwordx8 s[8:15], s[0:1], 0x58
	s_mov_b32 s5, 0
	s_lshl_b64 s[4:5], s[4:5], 3
	s_mov_b32 s16, s3
	v_mov_b32_e32 v7, 0
	s_waitcnt lgkmcnt(0)
	s_add_u32 s6, s8, s4
	s_addc_u32 s7, s9, s5
	s_add_u32 s8, s14, s4
	s_addc_u32 s9, s15, s5
	s_load_dwordx2 s[6:7], s[6:7], 0x0
	s_ashr_i32 s3, s2, 31
	s_load_dwordx2 s[14:15], s[8:9], 0x0
	s_lshl_b64 s[8:9], s[2:3], 5
	s_ashr_i32 s17, s16, 31
	v_cmp_lt_i64_e64 s[2:3], s[34:35], 1
	v_and_b32_e32 v2, 0x3ff, v0
	v_bfe_u32 v6, v0, 10, 10
	v_mov_b32_e32 v3, v7
	s_lshl_b64 s[40:41], s[16:17], 5
	s_and_b64 vcc, exec, s[2:3]
	v_mov_b32_e32 v5, v7
	v_mov_b32_e32 v4, v7
	;; [unrolled: 1-line block ×4, first 2 shown]
	s_cbranch_vccnz .LBB195_7
; %bb.1:
	s_load_dwordx8 s[16:23], s[0:1], 0x20
	s_load_dwordx4 s[36:39], s[0:1], 0x40
	v_lshl_add_u32 v12, v6, 4, v2
	v_and_b32_e32 v14, 31, v12
	v_lshrrev_b32_e32 v8, 5, v12
	s_waitcnt lgkmcnt(0)
	s_add_u32 s2, s22, s4
	s_addc_u32 s3, s23, s5
	s_load_dwordx2 s[22:23], s[2:3], 0x0
	s_add_u32 s2, s16, s4
	v_mov_b32_e32 v9, 0
	v_and_b32_e32 v10, 7, v2
	s_addc_u32 s3, s17, s5
	v_lshrrev_b32_e32 v0, 3, v12
	v_or_b32_e32 v12, s8, v14
	v_mov_b32_e32 v13, s9
	s_load_dwordx2 s[16:17], s[2:3], 0x0
	v_mov_b32_e32 v1, v9
	v_cmp_gt_i64_e64 s[2:3], s[28:29], v[12:13]
	v_lshlrev_b32_e32 v12, 2, v10
	v_lshl_add_u64 v[4:5], v[0:1], 0, s[40:41]
	v_lshl_or_b32 v0, v0, 5, v12
	v_lshlrev_b32_e32 v1, 2, v14
	v_add_u32_e32 v19, 0x400, v0
	v_mov_b32_e32 v0, 0x400
	v_lshl_or_b32 v18, v8, 7, v1
	v_cmp_gt_i64_e64 s[4:5], s[30:31], v[4:5]
	v_lshl_add_u32 v21, v6, 5, v0
	v_mul_lo_u32 v13, s37, v4
	v_mul_lo_u32 v5, s36, v5
	v_mad_u64_u32 v[0:1], s[36:37], s36, v4, 0
	v_add3_u32 v1, v1, v5, v13
	s_lshl_b64 s[36:37], s[38:39], 2
	v_lshl_add_u64 v[0:1], v[0:1], 2, s[36:37]
	v_mov_b32_e32 v13, v9
	v_mov_b32_e32 v15, v9
	v_lshl_add_u64 v[0:1], v[0:1], 0, v[12:13]
	s_waitcnt lgkmcnt(0)
	v_lshl_add_u64 v[12:13], s[22:23], 0, v[0:1]
	v_lshl_add_u64 v[0:1], s[8:9], 0, v[14:15]
	v_mul_lo_u32 v4, s19, v0
	v_mul_lo_u32 v5, s18, v1
	v_mad_u64_u32 v[0:1], s[18:19], s18, v0, 0
	v_add3_u32 v1, v1, v5, v4
	s_lshl_b64 s[18:19], s[20:21], 2
	v_lshl_add_u64 v[0:1], v[0:1], 2, s[18:19]
	v_lshlrev_b32_e32 v4, 2, v8
	v_mov_b32_e32 v5, v9
	v_lshl_add_u64 v[0:1], v[0:1], 0, v[4:5]
	v_mov_b32_e32 v11, v9
	v_lshlrev_b32_e32 v20, 2, v2
	v_lshl_add_u64 v[14:15], s[16:17], 0, v[0:1]
	s_mov_b64 s[16:17], 0
	v_mov_b64_e32 v[16:17], s[34:35]
	v_mov_b32_e32 v4, v9
	v_mov_b32_e32 v0, v9
	;; [unrolled: 1-line block ×3, first 2 shown]
	s_branch .LBB195_3
.LBB195_2:                              ;   in Loop: Header=BB195_3 Depth=1
	s_or_b64 exec, exec, s[18:19]
	s_waitcnt vmcnt(0) lgkmcnt(0)
	ds_write_b32 v19, v22
	s_waitcnt lgkmcnt(0)
	s_barrier
	ds_read_b128 v[22:25], v21
	ds_read_b128 v[26:29], v21 offset:16
	ds_read2_b32 v[38:39], v20 offset1:16
	ds_read2_b32 v[40:41], v20 offset0:32 offset1:48
	ds_read2_b32 v[42:43], v20 offset0:64 offset1:80
	;; [unrolled: 1-line block ×4, first 2 shown]
	ds_read_b128 v[30:33], v21 offset:512
	ds_read_b128 v[34:37], v21 offset:528
	ds_read2_b32 v[48:49], v20 offset0:160 offset1:176
	ds_read2_b32 v[50:51], v20 offset0:192 offset1:208
	;; [unrolled: 1-line block ×3, first 2 shown]
	s_waitcnt lgkmcnt(9)
	v_pk_fma_f32 v[4:5], v[38:39], v[22:23], v[4:5] op_sel_hi:[1,0,1]
	s_waitcnt lgkmcnt(4)
	v_pk_fma_f32 v[0:1], v[38:39], v[30:31], v[0:1] op_sel_hi:[1,0,1]
	v_pk_fma_f32 v[4:5], v[40:41], v[22:23], v[4:5] op_sel:[0,1,0]
	v_mov_b32_e32 v22, v25
	v_pk_fma_f32 v[4:5], v[42:43], v[24:25], v[4:5] op_sel_hi:[1,0,1]
	v_pk_fma_f32 v[0:1], v[40:41], v[30:31], v[0:1] op_sel:[0,1,0]
	v_pk_fma_f32 v[4:5], v[44:45], v[22:23], v[4:5] op_sel_hi:[1,0,1]
	v_mov_b32_e32 v22, v29
	v_pk_fma_f32 v[4:5], v[46:47], v[26:27], v[4:5] op_sel_hi:[1,0,1]
	v_pk_fma_f32 v[0:1], v[42:43], v[32:33], v[0:1] op_sel_hi:[1,0,1]
	s_waitcnt lgkmcnt(2)
	v_pk_fma_f32 v[4:5], v[48:49], v[26:27], v[4:5] op_sel:[0,1,0]
	s_add_u32 s16, s16, 8
	s_waitcnt lgkmcnt(1)
	v_pk_fma_f32 v[4:5], v[50:51], v[28:29], v[4:5] op_sel_hi:[1,0,1]
	s_addc_u32 s17, s17, 0
	s_waitcnt lgkmcnt(0)
	v_pk_fma_f32 v[4:5], v[52:53], v[22:23], v[4:5] op_sel_hi:[1,0,1]
	v_mov_b32_e32 v22, v33
	v_pk_fma_f32 v[0:1], v[44:45], v[22:23], v[0:1] op_sel_hi:[1,0,1]
	v_mov_b32_e32 v22, v37
	v_pk_fma_f32 v[0:1], v[46:47], v[34:35], v[0:1] op_sel_hi:[1,0,1]
	v_cmp_lt_i64_e32 vcc, s[16:17], v[16:17]
	v_pk_fma_f32 v[0:1], v[48:49], v[34:35], v[0:1] op_sel:[0,1,0]
	v_lshl_add_u64 v[12:13], v[12:13], 0, 32
	v_pk_fma_f32 v[0:1], v[50:51], v[36:37], v[0:1] op_sel_hi:[1,0,1]
	v_lshl_add_u64 v[14:15], v[14:15], 0, 32
	v_pk_fma_f32 v[0:1], v[52:53], v[22:23], v[0:1] op_sel_hi:[1,0,1]
	s_barrier
	s_cbranch_vccz .LBB195_7
.LBB195_3:                              ; =>This Inner Loop Header: Depth=1
	v_lshl_add_u64 v[22:23], v[8:9], 0, s[16:17]
	v_cmp_gt_i64_e32 vcc, s[34:35], v[22:23]
	s_and_b64 s[20:21], s[2:3], vcc
	v_mov_b32_e32 v22, 0
	s_and_saveexec_b64 s[18:19], s[20:21]
	s_cbranch_execz .LBB195_5
; %bb.4:                                ;   in Loop: Header=BB195_3 Depth=1
	flat_load_dword v22, v[14:15]
.LBB195_5:                              ;   in Loop: Header=BB195_3 Depth=1
	s_or_b64 exec, exec, s[18:19]
	s_waitcnt vmcnt(0) lgkmcnt(0)
	ds_write_b32 v18, v22
	v_lshl_add_u64 v[22:23], v[10:11], 0, s[16:17]
	v_cmp_gt_i64_e32 vcc, s[34:35], v[22:23]
	s_and_b64 s[20:21], vcc, s[4:5]
	v_mov_b32_e32 v22, 0
	s_and_saveexec_b64 s[18:19], s[20:21]
	s_cbranch_execz .LBB195_2
; %bb.6:                                ;   in Loop: Header=BB195_3 Depth=1
	flat_load_dword v22, v[12:13]
	s_branch .LBB195_2
.LBB195_7:
	s_load_dword s16, s[0:1], 0x18
	s_load_dword s17, s[0:1], 0x50
	s_lshl_b64 s[0:1], s[26:27], 2
	s_waitcnt lgkmcnt(0)
	s_add_u32 s14, s14, s0
	v_lshl_add_u64 v[6:7], s[40:41], 0, v[6:7]
	s_addc_u32 s15, s15, s1
	v_cmp_neq_f32_e64 s[2:3], s17, 0
	v_cmp_gt_i64_e64 s[0:1], s[30:31], v[6:7]
	s_and_b64 vcc, exec, s[2:3]
	s_cbranch_vccnz .LBB195_20
; %bb.8:
	s_and_saveexec_b64 s[18:19], s[0:1]
	s_cbranch_execz .LBB195_18
; %bb.9:
	v_mul_lo_u32 v12, v7, s24
	v_mul_lo_u32 v13, v6, s25
	v_mad_u64_u32 v[10:11], s[2:3], v6, s24, 0
	v_add3_u32 v11, v11, v13, v12
	v_lshl_add_u64 v[8:9], s[8:9], 0, v[2:3]
	v_lshl_add_u64 v[10:11], v[10:11], 2, s[14:15]
	v_cmp_gt_i64_e32 vcc, s[28:29], v[8:9]
	v_lshl_add_u64 v[12:13], v[8:9], 2, v[10:11]
	s_and_saveexec_b64 s[2:3], vcc
	s_cbranch_execz .LBB195_11
; %bb.10:
	v_mul_f32_e32 v14, s16, v4
	flat_store_dword v[12:13], v14
.LBB195_11:
	s_or_b64 exec, exec, s[2:3]
	v_lshl_add_u64 v[14:15], v[8:9], 0, 16
	v_cmp_gt_i64_e64 s[2:3], s[28:29], v[14:15]
	s_and_saveexec_b64 s[4:5], s[2:3]
	s_cbranch_execz .LBB195_13
; %bb.12:
	v_mul_f32_e32 v14, s16, v5
	flat_store_dword v[12:13], v14 offset:64
.LBB195_13:
	s_or_b64 exec, exec, s[4:5]
	v_lshl_add_u64 v[12:13], v[6:7], 0, 16
	v_cmp_gt_i64_e64 s[4:5], s[30:31], v[12:13]
	s_and_b64 exec, exec, s[4:5]
	s_cbranch_execz .LBB195_18
; %bb.14:
	s_lshl_b64 s[4:5], s[24:25], 6
	v_lshl_add_u64 v[10:11], v[10:11], 0, s[4:5]
	v_lshl_add_u64 v[8:9], v[8:9], 2, v[10:11]
	s_and_saveexec_b64 s[4:5], vcc
	s_cbranch_execz .LBB195_16
; %bb.15:
	v_mul_f32_e32 v10, s16, v0
	flat_store_dword v[8:9], v10
.LBB195_16:
	s_or_b64 exec, exec, s[4:5]
	s_and_b64 exec, exec, s[2:3]
	s_cbranch_execz .LBB195_18
; %bb.17:
	v_mul_f32_e32 v10, s16, v1
	flat_store_dword v[8:9], v10 offset:64
.LBB195_18:
	s_or_b64 exec, exec, s[18:19]
	s_cbranch_execz .LBB195_21
.LBB195_19:
	s_endpgm
.LBB195_20:
.LBB195_21:
	s_and_saveexec_b64 s[2:3], s[0:1]
	s_cbranch_execz .LBB195_19
; %bb.22:
	s_lshl_b64 s[0:1], s[12:13], 2
	v_lshl_add_u64 v[12:13], s[8:9], 0, v[2:3]
	v_mul_lo_u32 v8, v7, s10
	v_mul_lo_u32 v9, v6, s11
	v_mad_u64_u32 v[2:3], s[2:3], v6, s10, 0
	s_add_u32 s0, s6, s0
	v_add3_u32 v3, v3, v9, v8
	v_mul_lo_u32 v10, v7, s24
	v_mul_lo_u32 v11, v6, s25
	v_mad_u64_u32 v[8:9], s[2:3], v6, s24, 0
	s_addc_u32 s1, s7, s1
	v_add3_u32 v9, v9, v11, v10
	v_cmp_gt_i64_e32 vcc, s[28:29], v[12:13]
	v_lshl_add_u64 v[10:11], v[2:3], 2, s[0:1]
	v_lshl_add_u64 v[8:9], v[8:9], 2, s[14:15]
	v_lshlrev_b64 v[2:3], 2, v[12:13]
	s_and_saveexec_b64 s[0:1], vcc
	s_cbranch_execz .LBB195_24
; %bb.23:
	v_lshl_add_u64 v[14:15], v[10:11], 0, v[2:3]
	flat_load_dword v15, v[14:15]
	v_mov_b32_e32 v14, v4
	s_waitcnt vmcnt(0) lgkmcnt(0)
	v_pk_mul_f32 v[14:15], s[16:17], v[14:15]
	s_nop 0
	v_add_f32_e32 v4, v14, v15
	v_lshl_add_u64 v[14:15], v[8:9], 0, v[2:3]
	flat_store_dword v[14:15], v4
.LBB195_24:
	s_or_b64 exec, exec, s[0:1]
	v_lshl_add_u64 v[12:13], v[12:13], 0, 16
	v_cmp_gt_i64_e64 s[0:1], s[28:29], v[12:13]
	s_and_saveexec_b64 s[2:3], s[0:1]
	s_cbranch_execz .LBB195_26
; %bb.25:
	v_lshl_add_u64 v[12:13], v[10:11], 0, v[2:3]
	flat_load_dword v13, v[12:13] offset:64
	v_mov_b32_e32 v12, v5
	s_waitcnt vmcnt(0) lgkmcnt(0)
	v_pk_mul_f32 v[4:5], s[16:17], v[12:13]
	s_nop 0
	v_add_f32_e32 v12, v4, v5
	v_lshl_add_u64 v[4:5], v[8:9], 0, v[2:3]
	flat_store_dword v[4:5], v12 offset:64
.LBB195_26:
	s_or_b64 exec, exec, s[2:3]
	v_lshl_add_u64 v[4:5], v[6:7], 0, 16
	v_cmp_gt_i64_e64 s[2:3], s[30:31], v[4:5]
	s_and_b64 exec, exec, s[2:3]
	s_cbranch_execz .LBB195_19
; %bb.27:
	s_lshl_b64 s[2:3], s[10:11], 6
	v_lshl_add_u64 v[4:5], v[10:11], 0, s[2:3]
	s_lshl_b64 s[2:3], s[24:25], 6
	v_lshl_add_u64 v[6:7], v[8:9], 0, s[2:3]
	v_lshl_add_u64 v[4:5], v[4:5], 0, v[2:3]
	;; [unrolled: 1-line block ×3, first 2 shown]
	s_and_saveexec_b64 s[2:3], vcc
	s_cbranch_execz .LBB195_29
; %bb.28:
	flat_load_dword v7, v[4:5]
	v_mov_b32_e32 v6, v0
	s_waitcnt vmcnt(0) lgkmcnt(0)
	v_pk_mul_f32 v[6:7], s[16:17], v[6:7]
	s_nop 0
	v_add_f32_e32 v0, v6, v7
	flat_store_dword v[2:3], v0
.LBB195_29:
	s_or_b64 exec, exec, s[2:3]
	s_and_b64 exec, exec, s[0:1]
	s_cbranch_execz .LBB195_19
; %bb.30:
	flat_load_dword v5, v[4:5] offset:64
	v_mov_b32_e32 v4, v1
	s_waitcnt vmcnt(0) lgkmcnt(0)
	v_pk_mul_f32 v[0:1], s[16:17], v[4:5]
	s_nop 0
	v_add_f32_e32 v0, v0, v1
	flat_store_dword v[2:3], v0 offset:64
	s_endpgm
	.section	.rodata,"a",@progbits
	.p2align	6, 0x0
	.amdhsa_kernel _ZN12_GLOBAL__N_135rocblas_gemm_batched_general_kernelIfLi16ELi16ELi32ELi32ELi8ELi32ELi8ELi8ELi32ELc84ELc78EKPKfS3_KPfEEvlllT_PT11_llS8_llS6_PT12_llPT13_lli
		.amdhsa_group_segment_fixed_size 2048
		.amdhsa_private_segment_fixed_size 0
		.amdhsa_kernarg_size 140
		.amdhsa_user_sgpr_count 2
		.amdhsa_user_sgpr_dispatch_ptr 0
		.amdhsa_user_sgpr_queue_ptr 0
		.amdhsa_user_sgpr_kernarg_segment_ptr 1
		.amdhsa_user_sgpr_dispatch_id 0
		.amdhsa_user_sgpr_kernarg_preload_length 0
		.amdhsa_user_sgpr_kernarg_preload_offset 0
		.amdhsa_user_sgpr_private_segment_size 0
		.amdhsa_uses_dynamic_stack 0
		.amdhsa_enable_private_segment 0
		.amdhsa_system_sgpr_workgroup_id_x 1
		.amdhsa_system_sgpr_workgroup_id_y 1
		.amdhsa_system_sgpr_workgroup_id_z 1
		.amdhsa_system_sgpr_workgroup_info 0
		.amdhsa_system_vgpr_workitem_id 1
		.amdhsa_next_free_vgpr 54
		.amdhsa_next_free_sgpr 42
		.amdhsa_accum_offset 56
		.amdhsa_reserve_vcc 1
		.amdhsa_float_round_mode_32 0
		.amdhsa_float_round_mode_16_64 0
		.amdhsa_float_denorm_mode_32 3
		.amdhsa_float_denorm_mode_16_64 3
		.amdhsa_dx10_clamp 1
		.amdhsa_ieee_mode 1
		.amdhsa_fp16_overflow 0
		.amdhsa_tg_split 0
		.amdhsa_exception_fp_ieee_invalid_op 0
		.amdhsa_exception_fp_denorm_src 0
		.amdhsa_exception_fp_ieee_div_zero 0
		.amdhsa_exception_fp_ieee_overflow 0
		.amdhsa_exception_fp_ieee_underflow 0
		.amdhsa_exception_fp_ieee_inexact 0
		.amdhsa_exception_int_div_zero 0
	.end_amdhsa_kernel
	.section	.text._ZN12_GLOBAL__N_135rocblas_gemm_batched_general_kernelIfLi16ELi16ELi32ELi32ELi8ELi32ELi8ELi8ELi32ELc84ELc78EKPKfS3_KPfEEvlllT_PT11_llS8_llS6_PT12_llPT13_lli,"axG",@progbits,_ZN12_GLOBAL__N_135rocblas_gemm_batched_general_kernelIfLi16ELi16ELi32ELi32ELi8ELi32ELi8ELi8ELi32ELc84ELc78EKPKfS3_KPfEEvlllT_PT11_llS8_llS6_PT12_llPT13_lli,comdat
.Lfunc_end195:
	.size	_ZN12_GLOBAL__N_135rocblas_gemm_batched_general_kernelIfLi16ELi16ELi32ELi32ELi8ELi32ELi8ELi8ELi32ELc84ELc78EKPKfS3_KPfEEvlllT_PT11_llS8_llS6_PT12_llPT13_lli, .Lfunc_end195-_ZN12_GLOBAL__N_135rocblas_gemm_batched_general_kernelIfLi16ELi16ELi32ELi32ELi8ELi32ELi8ELi8ELi32ELc84ELc78EKPKfS3_KPfEEvlllT_PT11_llS8_llS6_PT12_llPT13_lli
                                        ; -- End function
	.set _ZN12_GLOBAL__N_135rocblas_gemm_batched_general_kernelIfLi16ELi16ELi32ELi32ELi8ELi32ELi8ELi8ELi32ELc84ELc78EKPKfS3_KPfEEvlllT_PT11_llS8_llS6_PT12_llPT13_lli.num_vgpr, 54
	.set _ZN12_GLOBAL__N_135rocblas_gemm_batched_general_kernelIfLi16ELi16ELi32ELi32ELi8ELi32ELi8ELi8ELi32ELc84ELc78EKPKfS3_KPfEEvlllT_PT11_llS8_llS6_PT12_llPT13_lli.num_agpr, 0
	.set _ZN12_GLOBAL__N_135rocblas_gemm_batched_general_kernelIfLi16ELi16ELi32ELi32ELi8ELi32ELi8ELi8ELi32ELc84ELc78EKPKfS3_KPfEEvlllT_PT11_llS8_llS6_PT12_llPT13_lli.numbered_sgpr, 42
	.set _ZN12_GLOBAL__N_135rocblas_gemm_batched_general_kernelIfLi16ELi16ELi32ELi32ELi8ELi32ELi8ELi8ELi32ELc84ELc78EKPKfS3_KPfEEvlllT_PT11_llS8_llS6_PT12_llPT13_lli.num_named_barrier, 0
	.set _ZN12_GLOBAL__N_135rocblas_gemm_batched_general_kernelIfLi16ELi16ELi32ELi32ELi8ELi32ELi8ELi8ELi32ELc84ELc78EKPKfS3_KPfEEvlllT_PT11_llS8_llS6_PT12_llPT13_lli.private_seg_size, 0
	.set _ZN12_GLOBAL__N_135rocblas_gemm_batched_general_kernelIfLi16ELi16ELi32ELi32ELi8ELi32ELi8ELi8ELi32ELc84ELc78EKPKfS3_KPfEEvlllT_PT11_llS8_llS6_PT12_llPT13_lli.uses_vcc, 1
	.set _ZN12_GLOBAL__N_135rocblas_gemm_batched_general_kernelIfLi16ELi16ELi32ELi32ELi8ELi32ELi8ELi8ELi32ELc84ELc78EKPKfS3_KPfEEvlllT_PT11_llS8_llS6_PT12_llPT13_lli.uses_flat_scratch, 0
	.set _ZN12_GLOBAL__N_135rocblas_gemm_batched_general_kernelIfLi16ELi16ELi32ELi32ELi8ELi32ELi8ELi8ELi32ELc84ELc78EKPKfS3_KPfEEvlllT_PT11_llS8_llS6_PT12_llPT13_lli.has_dyn_sized_stack, 0
	.set _ZN12_GLOBAL__N_135rocblas_gemm_batched_general_kernelIfLi16ELi16ELi32ELi32ELi8ELi32ELi8ELi8ELi32ELc84ELc78EKPKfS3_KPfEEvlllT_PT11_llS8_llS6_PT12_llPT13_lli.has_recursion, 0
	.set _ZN12_GLOBAL__N_135rocblas_gemm_batched_general_kernelIfLi16ELi16ELi32ELi32ELi8ELi32ELi8ELi8ELi32ELc84ELc78EKPKfS3_KPfEEvlllT_PT11_llS8_llS6_PT12_llPT13_lli.has_indirect_call, 0
	.section	.AMDGPU.csdata,"",@progbits
; Kernel info:
; codeLenInByte = 1644
; TotalNumSgprs: 48
; NumVgprs: 54
; NumAgprs: 0
; TotalNumVgprs: 54
; ScratchSize: 0
; MemoryBound: 0
; FloatMode: 240
; IeeeMode: 1
; LDSByteSize: 2048 bytes/workgroup (compile time only)
; SGPRBlocks: 5
; VGPRBlocks: 6
; NumSGPRsForWavesPerEU: 48
; NumVGPRsForWavesPerEU: 54
; AccumOffset: 56
; Occupancy: 8
; WaveLimiterHint : 1
; COMPUTE_PGM_RSRC2:SCRATCH_EN: 0
; COMPUTE_PGM_RSRC2:USER_SGPR: 2
; COMPUTE_PGM_RSRC2:TRAP_HANDLER: 0
; COMPUTE_PGM_RSRC2:TGID_X_EN: 1
; COMPUTE_PGM_RSRC2:TGID_Y_EN: 1
; COMPUTE_PGM_RSRC2:TGID_Z_EN: 1
; COMPUTE_PGM_RSRC2:TIDIG_COMP_CNT: 1
; COMPUTE_PGM_RSRC3_GFX90A:ACCUM_OFFSET: 13
; COMPUTE_PGM_RSRC3_GFX90A:TG_SPLIT: 0
	.section	.text._ZN12_GLOBAL__N_135rocblas_gemm_batched_general_kernelIfLi16ELi16ELi32ELi32ELi8ELi32ELi8ELi8ELi32ELc78ELc84EKPKfS3_KPfEEvlllT_PT11_llS8_llS6_PT12_llPT13_lli,"axG",@progbits,_ZN12_GLOBAL__N_135rocblas_gemm_batched_general_kernelIfLi16ELi16ELi32ELi32ELi8ELi32ELi8ELi8ELi32ELc78ELc84EKPKfS3_KPfEEvlllT_PT11_llS8_llS6_PT12_llPT13_lli,comdat
	.globl	_ZN12_GLOBAL__N_135rocblas_gemm_batched_general_kernelIfLi16ELi16ELi32ELi32ELi8ELi32ELi8ELi8ELi32ELc78ELc84EKPKfS3_KPfEEvlllT_PT11_llS8_llS6_PT12_llPT13_lli ; -- Begin function _ZN12_GLOBAL__N_135rocblas_gemm_batched_general_kernelIfLi16ELi16ELi32ELi32ELi8ELi32ELi8ELi8ELi32ELc78ELc84EKPKfS3_KPfEEvlllT_PT11_llS8_llS6_PT12_llPT13_lli
	.p2align	8
	.type	_ZN12_GLOBAL__N_135rocblas_gemm_batched_general_kernelIfLi16ELi16ELi32ELi32ELi8ELi32ELi8ELi8ELi32ELc78ELc84EKPKfS3_KPfEEvlllT_PT11_llS8_llS6_PT12_llPT13_lli,@function
_ZN12_GLOBAL__N_135rocblas_gemm_batched_general_kernelIfLi16ELi16ELi32ELi32ELi8ELi32ELi8ELi8ELi32ELc78ELc84EKPKfS3_KPfEEvlllT_PT11_llS8_llS6_PT12_llPT13_lli: ; @_ZN12_GLOBAL__N_135rocblas_gemm_batched_general_kernelIfLi16ELi16ELi32ELi32ELi8ELi32ELi8ELi8ELi32ELc78ELc84EKPKfS3_KPfEEvlllT_PT11_llS8_llS6_PT12_llPT13_lli
; %bb.0:
	s_load_dwordx4 s[28:31], s[0:1], 0x0
	s_load_dwordx2 s[34:35], s[0:1], 0x10
	s_load_dwordx4 s[24:27], s[0:1], 0x78
	s_load_dwordx8 s[8:15], s[0:1], 0x58
	s_mov_b32 s5, 0
	s_lshl_b64 s[4:5], s[4:5], 3
	s_mov_b32 s44, s3
	v_mov_b32_e32 v7, 0
	s_waitcnt lgkmcnt(0)
	s_add_u32 s6, s8, s4
	s_addc_u32 s7, s9, s5
	s_load_dwordx2 s[8:9], s[6:7], 0x0
	s_add_u32 s6, s14, s4
	s_addc_u32 s7, s15, s5
	s_load_dwordx2 s[40:41], s[6:7], 0x0
	s_ashr_i32 s3, s2, 31
	s_ashr_i32 s45, s44, 31
	v_cmp_lt_i64_e64 s[6:7], s[34:35], 1
	v_and_b32_e32 v2, 0x3ff, v0
	v_bfe_u32 v6, v0, 10, 10
	v_mov_b32_e32 v3, v7
	s_lshl_b64 s[14:15], s[2:3], 5
	s_lshl_b64 s[42:43], s[44:45], 5
	s_and_b64 vcc, exec, s[6:7]
	v_mov_b32_e32 v5, v7
	v_mov_b32_e32 v4, v7
	;; [unrolled: 1-line block ×4, first 2 shown]
	s_cbranch_vccnz .LBB196_7
; %bb.1:
	s_load_dwordx8 s[16:23], s[0:1], 0x20
	s_load_dwordx4 s[36:39], s[0:1], 0x40
	v_lshl_add_u32 v12, v6, 4, v2
	v_mov_b32_e32 v9, 0
	v_lshrrev_b32_e32 v0, 3, v12
	s_waitcnt lgkmcnt(0)
	s_add_u32 s6, s22, s4
	s_addc_u32 s7, s23, s5
	s_add_u32 s4, s16, s4
	v_mov_b32_e32 v1, v9
	v_and_b32_e32 v10, 7, v2
	s_addc_u32 s5, s17, s5
	v_lshl_add_u64 v[4:5], v[0:1], 0, s[42:43]
	v_and_b32_e32 v1, 31, v12
	v_lshrrev_b32_e32 v8, 5, v12
	s_load_dwordx2 s[46:47], s[4:5], 0x0
	v_or_b32_e32 v12, s14, v1
	v_mov_b32_e32 v13, s15
	v_cmp_gt_i64_e64 s[4:5], s[30:31], v[4:5]
	v_mad_u64_u32 v[4:5], s[16:17], s36, v10, 0
	s_load_dwordx2 s[22:23], s[6:7], 0x0
	v_cmp_gt_i64_e64 s[6:7], s[28:29], v[12:13]
	v_mov_b32_e32 v12, v5
	v_mad_u64_u32 v[12:13], s[16:17], s37, v10, v[12:13]
	v_lshlrev_b32_e32 v14, 2, v1
	v_lshlrev_b32_e32 v1, 2, v10
	s_lshl_b64 s[16:17], s[44:45], 7
	s_lshl_b64 s[38:39], s[38:39], 2
	v_lshl_or_b32 v1, v0, 5, v1
	s_add_u32 s16, s38, s16
	v_add_u32_e32 v19, 0x400, v1
	v_mov_b32_e32 v1, 0x400
	v_mov_b32_e32 v5, v12
	s_addc_u32 s17, s39, s17
	v_lshl_add_u32 v21, v6, 5, v1
	v_lshl_add_u64 v[4:5], v[4:5], 2, s[16:17]
	v_lshlrev_b32_e32 v0, 2, v0
	v_mov_b32_e32 v1, v9
	v_lshl_add_u64 v[0:1], v[4:5], 0, v[0:1]
	s_waitcnt lgkmcnt(0)
	v_lshl_add_u64 v[12:13], s[22:23], 0, v[0:1]
	v_mad_u64_u32 v[0:1], s[22:23], s18, v8, 0
	s_lshl_b64 s[16:17], s[36:37], 5
	v_mov_b32_e32 v4, v1
	s_lshl_b64 s[2:3], s[2:3], 7
	s_lshl_b64 s[20:21], s[20:21], 2
	v_mad_u64_u32 v[4:5], s[22:23], s19, v8, v[4:5]
	s_add_u32 s2, s20, s2
	v_mov_b32_e32 v1, v4
	s_addc_u32 s3, s21, s3
	v_lshl_add_u64 v[0:1], v[0:1], 2, s[2:3]
	v_mov_b32_e32 v15, v9
	v_lshl_add_u64 v[0:1], v[0:1], 0, v[14:15]
	v_mov_b32_e32 v11, v9
	v_lshl_or_b32 v18, v8, 7, v14
	v_lshlrev_b32_e32 v20, 2, v2
	v_lshl_add_u64 v[14:15], s[46:47], 0, v[0:1]
	s_lshl_b64 s[2:3], s[18:19], 5
	s_mov_b64 s[18:19], 0
	v_mov_b64_e32 v[16:17], s[34:35]
	v_mov_b32_e32 v4, v9
	v_mov_b32_e32 v5, v9
	;; [unrolled: 1-line block ×4, first 2 shown]
	s_branch .LBB196_3
.LBB196_2:                              ;   in Loop: Header=BB196_3 Depth=1
	s_or_b64 exec, exec, s[20:21]
	s_waitcnt vmcnt(0) lgkmcnt(0)
	ds_write_b32 v19, v22
	s_waitcnt lgkmcnt(0)
	s_barrier
	ds_read_b128 v[22:25], v21
	ds_read_b128 v[26:29], v21 offset:16
	ds_read2_b32 v[38:39], v20 offset1:16
	ds_read2_b32 v[40:41], v20 offset0:32 offset1:48
	ds_read2_b32 v[42:43], v20 offset0:64 offset1:80
	;; [unrolled: 1-line block ×4, first 2 shown]
	ds_read_b128 v[30:33], v21 offset:512
	ds_read_b128 v[34:37], v21 offset:528
	ds_read2_b32 v[48:49], v20 offset0:160 offset1:176
	ds_read2_b32 v[50:51], v20 offset0:192 offset1:208
	;; [unrolled: 1-line block ×3, first 2 shown]
	s_waitcnt lgkmcnt(9)
	v_pk_fma_f32 v[4:5], v[38:39], v[22:23], v[4:5] op_sel_hi:[1,0,1]
	s_waitcnt lgkmcnt(4)
	v_pk_fma_f32 v[0:1], v[38:39], v[30:31], v[0:1] op_sel_hi:[1,0,1]
	v_pk_fma_f32 v[4:5], v[40:41], v[22:23], v[4:5] op_sel:[0,1,0]
	v_mov_b32_e32 v22, v25
	v_pk_fma_f32 v[4:5], v[42:43], v[24:25], v[4:5] op_sel_hi:[1,0,1]
	v_pk_fma_f32 v[0:1], v[40:41], v[30:31], v[0:1] op_sel:[0,1,0]
	v_pk_fma_f32 v[4:5], v[44:45], v[22:23], v[4:5] op_sel_hi:[1,0,1]
	v_mov_b32_e32 v22, v29
	v_pk_fma_f32 v[4:5], v[46:47], v[26:27], v[4:5] op_sel_hi:[1,0,1]
	v_pk_fma_f32 v[0:1], v[42:43], v[32:33], v[0:1] op_sel_hi:[1,0,1]
	s_waitcnt lgkmcnt(2)
	v_pk_fma_f32 v[4:5], v[48:49], v[26:27], v[4:5] op_sel:[0,1,0]
	s_add_u32 s18, s18, 8
	s_waitcnt lgkmcnt(1)
	v_pk_fma_f32 v[4:5], v[50:51], v[28:29], v[4:5] op_sel_hi:[1,0,1]
	s_addc_u32 s19, s19, 0
	s_waitcnt lgkmcnt(0)
	v_pk_fma_f32 v[4:5], v[52:53], v[22:23], v[4:5] op_sel_hi:[1,0,1]
	v_mov_b32_e32 v22, v33
	v_pk_fma_f32 v[0:1], v[44:45], v[22:23], v[0:1] op_sel_hi:[1,0,1]
	v_mov_b32_e32 v22, v37
	v_pk_fma_f32 v[0:1], v[46:47], v[34:35], v[0:1] op_sel_hi:[1,0,1]
	v_cmp_lt_i64_e32 vcc, s[18:19], v[16:17]
	v_pk_fma_f32 v[0:1], v[48:49], v[34:35], v[0:1] op_sel:[0,1,0]
	v_lshl_add_u64 v[12:13], v[12:13], 0, s[16:17]
	v_pk_fma_f32 v[0:1], v[50:51], v[36:37], v[0:1] op_sel_hi:[1,0,1]
	v_lshl_add_u64 v[14:15], v[14:15], 0, s[2:3]
	v_pk_fma_f32 v[0:1], v[52:53], v[22:23], v[0:1] op_sel_hi:[1,0,1]
	s_barrier
	s_cbranch_vccz .LBB196_7
.LBB196_3:                              ; =>This Inner Loop Header: Depth=1
	v_lshl_add_u64 v[22:23], v[8:9], 0, s[18:19]
	v_cmp_gt_i64_e32 vcc, s[34:35], v[22:23]
	s_and_b64 s[22:23], s[6:7], vcc
	v_mov_b32_e32 v22, 0
	s_and_saveexec_b64 s[20:21], s[22:23]
	s_cbranch_execz .LBB196_5
; %bb.4:                                ;   in Loop: Header=BB196_3 Depth=1
	flat_load_dword v22, v[14:15]
.LBB196_5:                              ;   in Loop: Header=BB196_3 Depth=1
	s_or_b64 exec, exec, s[20:21]
	s_waitcnt vmcnt(0) lgkmcnt(0)
	ds_write_b32 v18, v22
	v_lshl_add_u64 v[22:23], v[10:11], 0, s[18:19]
	v_cmp_gt_i64_e32 vcc, s[34:35], v[22:23]
	s_and_b64 s[22:23], vcc, s[4:5]
	v_mov_b32_e32 v22, 0
	s_and_saveexec_b64 s[20:21], s[22:23]
	s_cbranch_execz .LBB196_2
; %bb.6:                                ;   in Loop: Header=BB196_3 Depth=1
	flat_load_dword v22, v[12:13]
	s_branch .LBB196_2
.LBB196_7:
	s_load_dword s6, s[0:1], 0x18
	s_load_dword s7, s[0:1], 0x50
	s_lshl_b64 s[0:1], s[26:27], 2
	s_waitcnt lgkmcnt(0)
	s_add_u32 s16, s40, s0
	v_lshl_add_u64 v[6:7], s[42:43], 0, v[6:7]
	s_addc_u32 s17, s41, s1
	v_cmp_neq_f32_e64 s[2:3], s7, 0
	v_cmp_gt_i64_e64 s[0:1], s[30:31], v[6:7]
	s_and_b64 vcc, exec, s[2:3]
	s_cbranch_vccnz .LBB196_20
; %bb.8:
	s_and_saveexec_b64 s[18:19], s[0:1]
	s_cbranch_execz .LBB196_18
; %bb.9:
	v_mul_lo_u32 v12, v7, s24
	v_mul_lo_u32 v13, v6, s25
	v_mad_u64_u32 v[10:11], s[2:3], v6, s24, 0
	v_add3_u32 v11, v11, v13, v12
	v_lshl_add_u64 v[8:9], s[14:15], 0, v[2:3]
	v_lshl_add_u64 v[10:11], v[10:11], 2, s[16:17]
	v_cmp_gt_i64_e32 vcc, s[28:29], v[8:9]
	v_lshl_add_u64 v[12:13], v[8:9], 2, v[10:11]
	s_and_saveexec_b64 s[2:3], vcc
	s_cbranch_execz .LBB196_11
; %bb.10:
	v_mul_f32_e32 v14, s6, v4
	flat_store_dword v[12:13], v14
.LBB196_11:
	s_or_b64 exec, exec, s[2:3]
	v_lshl_add_u64 v[14:15], v[8:9], 0, 16
	v_cmp_gt_i64_e64 s[2:3], s[28:29], v[14:15]
	s_and_saveexec_b64 s[4:5], s[2:3]
	s_cbranch_execz .LBB196_13
; %bb.12:
	v_mul_f32_e32 v14, s6, v5
	flat_store_dword v[12:13], v14 offset:64
.LBB196_13:
	s_or_b64 exec, exec, s[4:5]
	v_lshl_add_u64 v[12:13], v[6:7], 0, 16
	v_cmp_gt_i64_e64 s[4:5], s[30:31], v[12:13]
	s_and_b64 exec, exec, s[4:5]
	s_cbranch_execz .LBB196_18
; %bb.14:
	s_lshl_b64 s[4:5], s[24:25], 6
	v_lshl_add_u64 v[10:11], v[10:11], 0, s[4:5]
	v_lshl_add_u64 v[8:9], v[8:9], 2, v[10:11]
	s_and_saveexec_b64 s[4:5], vcc
	s_cbranch_execz .LBB196_16
; %bb.15:
	v_mul_f32_e32 v10, s6, v0
	flat_store_dword v[8:9], v10
.LBB196_16:
	s_or_b64 exec, exec, s[4:5]
	s_and_b64 exec, exec, s[2:3]
	s_cbranch_execz .LBB196_18
; %bb.17:
	v_mul_f32_e32 v10, s6, v1
	flat_store_dword v[8:9], v10 offset:64
.LBB196_18:
	s_or_b64 exec, exec, s[18:19]
	s_cbranch_execz .LBB196_21
.LBB196_19:
	s_endpgm
.LBB196_20:
.LBB196_21:
	s_and_saveexec_b64 s[2:3], s[0:1]
	s_cbranch_execz .LBB196_19
; %bb.22:
	s_lshl_b64 s[0:1], s[12:13], 2
	v_lshl_add_u64 v[12:13], s[14:15], 0, v[2:3]
	v_mul_lo_u32 v8, v7, s10
	v_mul_lo_u32 v9, v6, s11
	v_mad_u64_u32 v[2:3], s[2:3], v6, s10, 0
	s_add_u32 s0, s8, s0
	v_add3_u32 v3, v3, v9, v8
	v_mul_lo_u32 v10, v7, s24
	v_mul_lo_u32 v11, v6, s25
	v_mad_u64_u32 v[8:9], s[2:3], v6, s24, 0
	s_addc_u32 s1, s9, s1
	v_add3_u32 v9, v9, v11, v10
	v_cmp_gt_i64_e32 vcc, s[28:29], v[12:13]
	v_lshl_add_u64 v[10:11], v[2:3], 2, s[0:1]
	v_lshl_add_u64 v[8:9], v[8:9], 2, s[16:17]
	v_lshlrev_b64 v[2:3], 2, v[12:13]
	s_and_saveexec_b64 s[0:1], vcc
	s_cbranch_execz .LBB196_24
; %bb.23:
	v_lshl_add_u64 v[14:15], v[10:11], 0, v[2:3]
	flat_load_dword v15, v[14:15]
	v_mov_b32_e32 v14, v4
	s_waitcnt vmcnt(0) lgkmcnt(0)
	v_pk_mul_f32 v[14:15], s[6:7], v[14:15]
	s_nop 0
	v_add_f32_e32 v4, v14, v15
	v_lshl_add_u64 v[14:15], v[8:9], 0, v[2:3]
	flat_store_dword v[14:15], v4
.LBB196_24:
	s_or_b64 exec, exec, s[0:1]
	v_lshl_add_u64 v[12:13], v[12:13], 0, 16
	v_cmp_gt_i64_e64 s[0:1], s[28:29], v[12:13]
	s_and_saveexec_b64 s[2:3], s[0:1]
	s_cbranch_execz .LBB196_26
; %bb.25:
	v_lshl_add_u64 v[12:13], v[10:11], 0, v[2:3]
	flat_load_dword v13, v[12:13] offset:64
	v_mov_b32_e32 v12, v5
	s_waitcnt vmcnt(0) lgkmcnt(0)
	v_pk_mul_f32 v[4:5], s[6:7], v[12:13]
	s_nop 0
	v_add_f32_e32 v12, v4, v5
	v_lshl_add_u64 v[4:5], v[8:9], 0, v[2:3]
	flat_store_dword v[4:5], v12 offset:64
.LBB196_26:
	s_or_b64 exec, exec, s[2:3]
	v_lshl_add_u64 v[4:5], v[6:7], 0, 16
	v_cmp_gt_i64_e64 s[2:3], s[30:31], v[4:5]
	s_and_b64 exec, exec, s[2:3]
	s_cbranch_execz .LBB196_19
; %bb.27:
	s_lshl_b64 s[2:3], s[10:11], 6
	v_lshl_add_u64 v[4:5], v[10:11], 0, s[2:3]
	s_lshl_b64 s[2:3], s[24:25], 6
	v_lshl_add_u64 v[6:7], v[8:9], 0, s[2:3]
	v_lshl_add_u64 v[4:5], v[4:5], 0, v[2:3]
	;; [unrolled: 1-line block ×3, first 2 shown]
	s_and_saveexec_b64 s[2:3], vcc
	s_cbranch_execz .LBB196_29
; %bb.28:
	flat_load_dword v7, v[4:5]
	v_mov_b32_e32 v6, v0
	s_waitcnt vmcnt(0) lgkmcnt(0)
	v_pk_mul_f32 v[6:7], s[6:7], v[6:7]
	s_nop 0
	v_add_f32_e32 v0, v6, v7
	flat_store_dword v[2:3], v0
.LBB196_29:
	s_or_b64 exec, exec, s[2:3]
	s_and_b64 exec, exec, s[0:1]
	s_cbranch_execz .LBB196_19
; %bb.30:
	flat_load_dword v5, v[4:5] offset:64
	v_mov_b32_e32 v4, v1
	s_waitcnt vmcnt(0) lgkmcnt(0)
	v_pk_mul_f32 v[0:1], s[6:7], v[4:5]
	s_nop 0
	v_add_f32_e32 v0, v0, v1
	flat_store_dword v[2:3], v0 offset:64
	s_endpgm
	.section	.rodata,"a",@progbits
	.p2align	6, 0x0
	.amdhsa_kernel _ZN12_GLOBAL__N_135rocblas_gemm_batched_general_kernelIfLi16ELi16ELi32ELi32ELi8ELi32ELi8ELi8ELi32ELc78ELc84EKPKfS3_KPfEEvlllT_PT11_llS8_llS6_PT12_llPT13_lli
		.amdhsa_group_segment_fixed_size 2048
		.amdhsa_private_segment_fixed_size 0
		.amdhsa_kernarg_size 140
		.amdhsa_user_sgpr_count 2
		.amdhsa_user_sgpr_dispatch_ptr 0
		.amdhsa_user_sgpr_queue_ptr 0
		.amdhsa_user_sgpr_kernarg_segment_ptr 1
		.amdhsa_user_sgpr_dispatch_id 0
		.amdhsa_user_sgpr_kernarg_preload_length 0
		.amdhsa_user_sgpr_kernarg_preload_offset 0
		.amdhsa_user_sgpr_private_segment_size 0
		.amdhsa_uses_dynamic_stack 0
		.amdhsa_enable_private_segment 0
		.amdhsa_system_sgpr_workgroup_id_x 1
		.amdhsa_system_sgpr_workgroup_id_y 1
		.amdhsa_system_sgpr_workgroup_id_z 1
		.amdhsa_system_sgpr_workgroup_info 0
		.amdhsa_system_vgpr_workitem_id 1
		.amdhsa_next_free_vgpr 54
		.amdhsa_next_free_sgpr 48
		.amdhsa_accum_offset 56
		.amdhsa_reserve_vcc 1
		.amdhsa_float_round_mode_32 0
		.amdhsa_float_round_mode_16_64 0
		.amdhsa_float_denorm_mode_32 3
		.amdhsa_float_denorm_mode_16_64 3
		.amdhsa_dx10_clamp 1
		.amdhsa_ieee_mode 1
		.amdhsa_fp16_overflow 0
		.amdhsa_tg_split 0
		.amdhsa_exception_fp_ieee_invalid_op 0
		.amdhsa_exception_fp_denorm_src 0
		.amdhsa_exception_fp_ieee_div_zero 0
		.amdhsa_exception_fp_ieee_overflow 0
		.amdhsa_exception_fp_ieee_underflow 0
		.amdhsa_exception_fp_ieee_inexact 0
		.amdhsa_exception_int_div_zero 0
	.end_amdhsa_kernel
	.section	.text._ZN12_GLOBAL__N_135rocblas_gemm_batched_general_kernelIfLi16ELi16ELi32ELi32ELi8ELi32ELi8ELi8ELi32ELc78ELc84EKPKfS3_KPfEEvlllT_PT11_llS8_llS6_PT12_llPT13_lli,"axG",@progbits,_ZN12_GLOBAL__N_135rocblas_gemm_batched_general_kernelIfLi16ELi16ELi32ELi32ELi8ELi32ELi8ELi8ELi32ELc78ELc84EKPKfS3_KPfEEvlllT_PT11_llS8_llS6_PT12_llPT13_lli,comdat
.Lfunc_end196:
	.size	_ZN12_GLOBAL__N_135rocblas_gemm_batched_general_kernelIfLi16ELi16ELi32ELi32ELi8ELi32ELi8ELi8ELi32ELc78ELc84EKPKfS3_KPfEEvlllT_PT11_llS8_llS6_PT12_llPT13_lli, .Lfunc_end196-_ZN12_GLOBAL__N_135rocblas_gemm_batched_general_kernelIfLi16ELi16ELi32ELi32ELi8ELi32ELi8ELi8ELi32ELc78ELc84EKPKfS3_KPfEEvlllT_PT11_llS8_llS6_PT12_llPT13_lli
                                        ; -- End function
	.set _ZN12_GLOBAL__N_135rocblas_gemm_batched_general_kernelIfLi16ELi16ELi32ELi32ELi8ELi32ELi8ELi8ELi32ELc78ELc84EKPKfS3_KPfEEvlllT_PT11_llS8_llS6_PT12_llPT13_lli.num_vgpr, 54
	.set _ZN12_GLOBAL__N_135rocblas_gemm_batched_general_kernelIfLi16ELi16ELi32ELi32ELi8ELi32ELi8ELi8ELi32ELc78ELc84EKPKfS3_KPfEEvlllT_PT11_llS8_llS6_PT12_llPT13_lli.num_agpr, 0
	.set _ZN12_GLOBAL__N_135rocblas_gemm_batched_general_kernelIfLi16ELi16ELi32ELi32ELi8ELi32ELi8ELi8ELi32ELc78ELc84EKPKfS3_KPfEEvlllT_PT11_llS8_llS6_PT12_llPT13_lli.numbered_sgpr, 48
	.set _ZN12_GLOBAL__N_135rocblas_gemm_batched_general_kernelIfLi16ELi16ELi32ELi32ELi8ELi32ELi8ELi8ELi32ELc78ELc84EKPKfS3_KPfEEvlllT_PT11_llS8_llS6_PT12_llPT13_lli.num_named_barrier, 0
	.set _ZN12_GLOBAL__N_135rocblas_gemm_batched_general_kernelIfLi16ELi16ELi32ELi32ELi8ELi32ELi8ELi8ELi32ELc78ELc84EKPKfS3_KPfEEvlllT_PT11_llS8_llS6_PT12_llPT13_lli.private_seg_size, 0
	.set _ZN12_GLOBAL__N_135rocblas_gemm_batched_general_kernelIfLi16ELi16ELi32ELi32ELi8ELi32ELi8ELi8ELi32ELc78ELc84EKPKfS3_KPfEEvlllT_PT11_llS8_llS6_PT12_llPT13_lli.uses_vcc, 1
	.set _ZN12_GLOBAL__N_135rocblas_gemm_batched_general_kernelIfLi16ELi16ELi32ELi32ELi8ELi32ELi8ELi8ELi32ELc78ELc84EKPKfS3_KPfEEvlllT_PT11_llS8_llS6_PT12_llPT13_lli.uses_flat_scratch, 0
	.set _ZN12_GLOBAL__N_135rocblas_gemm_batched_general_kernelIfLi16ELi16ELi32ELi32ELi8ELi32ELi8ELi8ELi32ELc78ELc84EKPKfS3_KPfEEvlllT_PT11_llS8_llS6_PT12_llPT13_lli.has_dyn_sized_stack, 0
	.set _ZN12_GLOBAL__N_135rocblas_gemm_batched_general_kernelIfLi16ELi16ELi32ELi32ELi8ELi32ELi8ELi8ELi32ELc78ELc84EKPKfS3_KPfEEvlllT_PT11_llS8_llS6_PT12_llPT13_lli.has_recursion, 0
	.set _ZN12_GLOBAL__N_135rocblas_gemm_batched_general_kernelIfLi16ELi16ELi32ELi32ELi8ELi32ELi8ELi8ELi32ELc78ELc84EKPKfS3_KPfEEvlllT_PT11_llS8_llS6_PT12_llPT13_lli.has_indirect_call, 0
	.section	.AMDGPU.csdata,"",@progbits
; Kernel info:
; codeLenInByte = 1652
; TotalNumSgprs: 54
; NumVgprs: 54
; NumAgprs: 0
; TotalNumVgprs: 54
; ScratchSize: 0
; MemoryBound: 0
; FloatMode: 240
; IeeeMode: 1
; LDSByteSize: 2048 bytes/workgroup (compile time only)
; SGPRBlocks: 6
; VGPRBlocks: 6
; NumSGPRsForWavesPerEU: 54
; NumVGPRsForWavesPerEU: 54
; AccumOffset: 56
; Occupancy: 8
; WaveLimiterHint : 1
; COMPUTE_PGM_RSRC2:SCRATCH_EN: 0
; COMPUTE_PGM_RSRC2:USER_SGPR: 2
; COMPUTE_PGM_RSRC2:TRAP_HANDLER: 0
; COMPUTE_PGM_RSRC2:TGID_X_EN: 1
; COMPUTE_PGM_RSRC2:TGID_Y_EN: 1
; COMPUTE_PGM_RSRC2:TGID_Z_EN: 1
; COMPUTE_PGM_RSRC2:TIDIG_COMP_CNT: 1
; COMPUTE_PGM_RSRC3_GFX90A:ACCUM_OFFSET: 13
; COMPUTE_PGM_RSRC3_GFX90A:TG_SPLIT: 0
	.section	.text._ZN12_GLOBAL__N_135rocblas_gemm_batched_general_kernelIfLi16ELi16ELi32ELi32ELi8ELi32ELi8ELi8ELi32ELc84ELc84EKPKfS3_KPfEEvlllT_PT11_llS8_llS6_PT12_llPT13_lli,"axG",@progbits,_ZN12_GLOBAL__N_135rocblas_gemm_batched_general_kernelIfLi16ELi16ELi32ELi32ELi8ELi32ELi8ELi8ELi32ELc84ELc84EKPKfS3_KPfEEvlllT_PT11_llS8_llS6_PT12_llPT13_lli,comdat
	.globl	_ZN12_GLOBAL__N_135rocblas_gemm_batched_general_kernelIfLi16ELi16ELi32ELi32ELi8ELi32ELi8ELi8ELi32ELc84ELc84EKPKfS3_KPfEEvlllT_PT11_llS8_llS6_PT12_llPT13_lli ; -- Begin function _ZN12_GLOBAL__N_135rocblas_gemm_batched_general_kernelIfLi16ELi16ELi32ELi32ELi8ELi32ELi8ELi8ELi32ELc84ELc84EKPKfS3_KPfEEvlllT_PT11_llS8_llS6_PT12_llPT13_lli
	.p2align	8
	.type	_ZN12_GLOBAL__N_135rocblas_gemm_batched_general_kernelIfLi16ELi16ELi32ELi32ELi8ELi32ELi8ELi8ELi32ELc84ELc84EKPKfS3_KPfEEvlllT_PT11_llS8_llS6_PT12_llPT13_lli,@function
_ZN12_GLOBAL__N_135rocblas_gemm_batched_general_kernelIfLi16ELi16ELi32ELi32ELi8ELi32ELi8ELi8ELi32ELc84ELc84EKPKfS3_KPfEEvlllT_PT11_llS8_llS6_PT12_llPT13_lli: ; @_ZN12_GLOBAL__N_135rocblas_gemm_batched_general_kernelIfLi16ELi16ELi32ELi32ELi8ELi32ELi8ELi8ELi32ELc84ELc84EKPKfS3_KPfEEvlllT_PT11_llS8_llS6_PT12_llPT13_lli
; %bb.0:
	s_load_dwordx4 s[28:31], s[0:1], 0x0
	s_load_dwordx2 s[34:35], s[0:1], 0x10
	s_load_dwordx4 s[24:27], s[0:1], 0x78
	s_load_dwordx8 s[8:15], s[0:1], 0x58
	s_mov_b32 s5, 0
	s_lshl_b64 s[4:5], s[4:5], 3
	s_mov_b32 s42, s3
	v_mov_b32_e32 v7, 0
	s_waitcnt lgkmcnt(0)
	s_add_u32 s6, s8, s4
	s_addc_u32 s7, s9, s5
	s_add_u32 s8, s14, s4
	s_addc_u32 s9, s15, s5
	s_load_dwordx2 s[6:7], s[6:7], 0x0
	s_ashr_i32 s3, s2, 31
	s_load_dwordx2 s[14:15], s[8:9], 0x0
	s_lshl_b64 s[8:9], s[2:3], 5
	s_ashr_i32 s43, s42, 31
	v_cmp_lt_i64_e64 s[2:3], s[34:35], 1
	v_and_b32_e32 v2, 0x3ff, v0
	v_bfe_u32 v6, v0, 10, 10
	v_mov_b32_e32 v3, v7
	s_lshl_b64 s[40:41], s[42:43], 5
	s_and_b64 vcc, exec, s[2:3]
	v_mov_b32_e32 v5, v7
	v_mov_b32_e32 v4, v7
	;; [unrolled: 1-line block ×4, first 2 shown]
	s_cbranch_vccnz .LBB197_7
; %bb.1:
	s_load_dwordx8 s[16:23], s[0:1], 0x20
	s_load_dwordx4 s[36:39], s[0:1], 0x40
	v_lshl_add_u32 v12, v6, 4, v2
	v_mov_b32_e32 v9, 0
	v_lshrrev_b32_e32 v0, 3, v12
	s_waitcnt lgkmcnt(0)
	s_add_u32 s2, s22, s4
	s_addc_u32 s3, s23, s5
	v_mov_b32_e32 v1, v9
	v_and_b32_e32 v10, 7, v2
	s_load_dwordx2 s[22:23], s[2:3], 0x0
	s_add_u32 s2, s16, s4
	v_lshl_add_u64 v[4:5], v[0:1], 0, s[40:41]
	v_and_b32_e32 v14, 31, v12
	v_lshrrev_b32_e32 v8, 5, v12
	s_addc_u32 s3, s17, s5
	v_or_b32_e32 v12, s8, v14
	v_mov_b32_e32 v13, s9
	v_cmp_gt_i64_e64 s[4:5], s[30:31], v[4:5]
	v_mad_u64_u32 v[4:5], s[16:17], s36, v10, 0
	s_load_dwordx2 s[44:45], s[2:3], 0x0
	v_cmp_gt_i64_e64 s[2:3], s[28:29], v[12:13]
	v_mov_b32_e32 v12, v5
	v_lshlrev_b32_e32 v1, 2, v14
	v_mad_u64_u32 v[12:13], s[16:17], s37, v10, v[12:13]
	v_lshl_or_b32 v18, v8, 7, v1
	v_lshlrev_b32_e32 v1, 2, v10
	s_lshl_b64 s[16:17], s[42:43], 7
	s_lshl_b64 s[38:39], s[38:39], 2
	v_lshl_or_b32 v1, v0, 5, v1
	s_add_u32 s16, s38, s16
	v_add_u32_e32 v19, 0x400, v1
	v_mov_b32_e32 v1, 0x400
	v_mov_b32_e32 v5, v12
	s_addc_u32 s17, s39, s17
	v_lshl_add_u32 v21, v6, 5, v1
	v_lshl_add_u64 v[4:5], v[4:5], 2, s[16:17]
	v_lshlrev_b32_e32 v0, 2, v0
	v_mov_b32_e32 v1, v9
	v_mov_b32_e32 v15, v9
	v_lshl_add_u64 v[0:1], v[4:5], 0, v[0:1]
	s_waitcnt lgkmcnt(0)
	v_lshl_add_u64 v[12:13], s[22:23], 0, v[0:1]
	v_lshl_add_u64 v[0:1], s[8:9], 0, v[14:15]
	v_mul_lo_u32 v4, s19, v0
	v_mul_lo_u32 v5, s18, v1
	v_mad_u64_u32 v[0:1], s[18:19], s18, v0, 0
	v_add3_u32 v1, v1, v5, v4
	s_lshl_b64 s[18:19], s[20:21], 2
	v_lshl_add_u64 v[0:1], v[0:1], 2, s[18:19]
	v_lshlrev_b32_e32 v4, 2, v8
	v_mov_b32_e32 v5, v9
	v_lshl_add_u64 v[0:1], v[0:1], 0, v[4:5]
	v_mov_b32_e32 v11, v9
	v_lshlrev_b32_e32 v20, 2, v2
	s_lshl_b64 s[16:17], s[36:37], 5
	v_lshl_add_u64 v[14:15], s[44:45], 0, v[0:1]
	s_mov_b64 s[18:19], 0
	v_mov_b64_e32 v[16:17], s[34:35]
	v_mov_b32_e32 v4, v9
	v_mov_b32_e32 v0, v9
	v_mov_b32_e32 v1, v9
	s_branch .LBB197_3
.LBB197_2:                              ;   in Loop: Header=BB197_3 Depth=1
	s_or_b64 exec, exec, s[20:21]
	s_waitcnt vmcnt(0) lgkmcnt(0)
	ds_write_b32 v19, v22
	s_waitcnt lgkmcnt(0)
	s_barrier
	ds_read_b128 v[22:25], v21
	ds_read_b128 v[26:29], v21 offset:16
	ds_read2_b32 v[38:39], v20 offset1:16
	ds_read2_b32 v[40:41], v20 offset0:32 offset1:48
	ds_read2_b32 v[42:43], v20 offset0:64 offset1:80
	;; [unrolled: 1-line block ×4, first 2 shown]
	ds_read_b128 v[30:33], v21 offset:512
	ds_read_b128 v[34:37], v21 offset:528
	ds_read2_b32 v[48:49], v20 offset0:160 offset1:176
	ds_read2_b32 v[50:51], v20 offset0:192 offset1:208
	;; [unrolled: 1-line block ×3, first 2 shown]
	s_waitcnt lgkmcnt(9)
	v_pk_fma_f32 v[4:5], v[38:39], v[22:23], v[4:5] op_sel_hi:[1,0,1]
	s_waitcnt lgkmcnt(4)
	v_pk_fma_f32 v[0:1], v[38:39], v[30:31], v[0:1] op_sel_hi:[1,0,1]
	v_pk_fma_f32 v[4:5], v[40:41], v[22:23], v[4:5] op_sel:[0,1,0]
	v_mov_b32_e32 v22, v25
	v_pk_fma_f32 v[4:5], v[42:43], v[24:25], v[4:5] op_sel_hi:[1,0,1]
	v_pk_fma_f32 v[0:1], v[40:41], v[30:31], v[0:1] op_sel:[0,1,0]
	v_pk_fma_f32 v[4:5], v[44:45], v[22:23], v[4:5] op_sel_hi:[1,0,1]
	v_mov_b32_e32 v22, v29
	v_pk_fma_f32 v[4:5], v[46:47], v[26:27], v[4:5] op_sel_hi:[1,0,1]
	v_pk_fma_f32 v[0:1], v[42:43], v[32:33], v[0:1] op_sel_hi:[1,0,1]
	s_waitcnt lgkmcnt(2)
	v_pk_fma_f32 v[4:5], v[48:49], v[26:27], v[4:5] op_sel:[0,1,0]
	s_add_u32 s18, s18, 8
	s_waitcnt lgkmcnt(1)
	v_pk_fma_f32 v[4:5], v[50:51], v[28:29], v[4:5] op_sel_hi:[1,0,1]
	s_addc_u32 s19, s19, 0
	s_waitcnt lgkmcnt(0)
	v_pk_fma_f32 v[4:5], v[52:53], v[22:23], v[4:5] op_sel_hi:[1,0,1]
	v_mov_b32_e32 v22, v33
	v_pk_fma_f32 v[0:1], v[44:45], v[22:23], v[0:1] op_sel_hi:[1,0,1]
	v_mov_b32_e32 v22, v37
	v_pk_fma_f32 v[0:1], v[46:47], v[34:35], v[0:1] op_sel_hi:[1,0,1]
	v_cmp_lt_i64_e32 vcc, s[18:19], v[16:17]
	v_pk_fma_f32 v[0:1], v[48:49], v[34:35], v[0:1] op_sel:[0,1,0]
	v_lshl_add_u64 v[12:13], v[12:13], 0, s[16:17]
	v_pk_fma_f32 v[0:1], v[50:51], v[36:37], v[0:1] op_sel_hi:[1,0,1]
	v_lshl_add_u64 v[14:15], v[14:15], 0, 32
	v_pk_fma_f32 v[0:1], v[52:53], v[22:23], v[0:1] op_sel_hi:[1,0,1]
	s_barrier
	s_cbranch_vccz .LBB197_7
.LBB197_3:                              ; =>This Inner Loop Header: Depth=1
	v_lshl_add_u64 v[22:23], v[8:9], 0, s[18:19]
	v_cmp_gt_i64_e32 vcc, s[34:35], v[22:23]
	s_and_b64 s[22:23], s[2:3], vcc
	v_mov_b32_e32 v22, 0
	s_and_saveexec_b64 s[20:21], s[22:23]
	s_cbranch_execz .LBB197_5
; %bb.4:                                ;   in Loop: Header=BB197_3 Depth=1
	flat_load_dword v22, v[14:15]
.LBB197_5:                              ;   in Loop: Header=BB197_3 Depth=1
	s_or_b64 exec, exec, s[20:21]
	s_waitcnt vmcnt(0) lgkmcnt(0)
	ds_write_b32 v18, v22
	v_lshl_add_u64 v[22:23], v[10:11], 0, s[18:19]
	v_cmp_gt_i64_e32 vcc, s[34:35], v[22:23]
	s_and_b64 s[22:23], vcc, s[4:5]
	v_mov_b32_e32 v22, 0
	s_and_saveexec_b64 s[20:21], s[22:23]
	s_cbranch_execz .LBB197_2
; %bb.6:                                ;   in Loop: Header=BB197_3 Depth=1
	flat_load_dword v22, v[12:13]
	s_branch .LBB197_2
.LBB197_7:
	s_load_dword s16, s[0:1], 0x18
	s_load_dword s17, s[0:1], 0x50
	s_lshl_b64 s[0:1], s[26:27], 2
	s_waitcnt lgkmcnt(0)
	s_add_u32 s14, s14, s0
	v_lshl_add_u64 v[6:7], s[40:41], 0, v[6:7]
	s_addc_u32 s15, s15, s1
	v_cmp_neq_f32_e64 s[2:3], s17, 0
	v_cmp_gt_i64_e64 s[0:1], s[30:31], v[6:7]
	s_and_b64 vcc, exec, s[2:3]
	s_cbranch_vccnz .LBB197_20
; %bb.8:
	s_and_saveexec_b64 s[18:19], s[0:1]
	s_cbranch_execz .LBB197_18
; %bb.9:
	v_mul_lo_u32 v12, v7, s24
	v_mul_lo_u32 v13, v6, s25
	v_mad_u64_u32 v[10:11], s[2:3], v6, s24, 0
	v_add3_u32 v11, v11, v13, v12
	v_lshl_add_u64 v[8:9], s[8:9], 0, v[2:3]
	v_lshl_add_u64 v[10:11], v[10:11], 2, s[14:15]
	v_cmp_gt_i64_e32 vcc, s[28:29], v[8:9]
	v_lshl_add_u64 v[12:13], v[8:9], 2, v[10:11]
	s_and_saveexec_b64 s[2:3], vcc
	s_cbranch_execz .LBB197_11
; %bb.10:
	v_mul_f32_e32 v14, s16, v4
	flat_store_dword v[12:13], v14
.LBB197_11:
	s_or_b64 exec, exec, s[2:3]
	v_lshl_add_u64 v[14:15], v[8:9], 0, 16
	v_cmp_gt_i64_e64 s[2:3], s[28:29], v[14:15]
	s_and_saveexec_b64 s[4:5], s[2:3]
	s_cbranch_execz .LBB197_13
; %bb.12:
	v_mul_f32_e32 v14, s16, v5
	flat_store_dword v[12:13], v14 offset:64
.LBB197_13:
	s_or_b64 exec, exec, s[4:5]
	v_lshl_add_u64 v[12:13], v[6:7], 0, 16
	v_cmp_gt_i64_e64 s[4:5], s[30:31], v[12:13]
	s_and_b64 exec, exec, s[4:5]
	s_cbranch_execz .LBB197_18
; %bb.14:
	s_lshl_b64 s[4:5], s[24:25], 6
	v_lshl_add_u64 v[10:11], v[10:11], 0, s[4:5]
	v_lshl_add_u64 v[8:9], v[8:9], 2, v[10:11]
	s_and_saveexec_b64 s[4:5], vcc
	s_cbranch_execz .LBB197_16
; %bb.15:
	v_mul_f32_e32 v10, s16, v0
	flat_store_dword v[8:9], v10
.LBB197_16:
	s_or_b64 exec, exec, s[4:5]
	s_and_b64 exec, exec, s[2:3]
	s_cbranch_execz .LBB197_18
; %bb.17:
	v_mul_f32_e32 v10, s16, v1
	flat_store_dword v[8:9], v10 offset:64
.LBB197_18:
	s_or_b64 exec, exec, s[18:19]
	s_cbranch_execz .LBB197_21
.LBB197_19:
	s_endpgm
.LBB197_20:
.LBB197_21:
	s_and_saveexec_b64 s[2:3], s[0:1]
	s_cbranch_execz .LBB197_19
; %bb.22:
	s_lshl_b64 s[0:1], s[12:13], 2
	v_lshl_add_u64 v[12:13], s[8:9], 0, v[2:3]
	v_mul_lo_u32 v8, v7, s10
	v_mul_lo_u32 v9, v6, s11
	v_mad_u64_u32 v[2:3], s[2:3], v6, s10, 0
	s_add_u32 s0, s6, s0
	v_add3_u32 v3, v3, v9, v8
	v_mul_lo_u32 v10, v7, s24
	v_mul_lo_u32 v11, v6, s25
	v_mad_u64_u32 v[8:9], s[2:3], v6, s24, 0
	s_addc_u32 s1, s7, s1
	v_add3_u32 v9, v9, v11, v10
	v_cmp_gt_i64_e32 vcc, s[28:29], v[12:13]
	v_lshl_add_u64 v[10:11], v[2:3], 2, s[0:1]
	v_lshl_add_u64 v[8:9], v[8:9], 2, s[14:15]
	v_lshlrev_b64 v[2:3], 2, v[12:13]
	s_and_saveexec_b64 s[0:1], vcc
	s_cbranch_execz .LBB197_24
; %bb.23:
	v_lshl_add_u64 v[14:15], v[10:11], 0, v[2:3]
	flat_load_dword v15, v[14:15]
	v_mov_b32_e32 v14, v4
	s_waitcnt vmcnt(0) lgkmcnt(0)
	v_pk_mul_f32 v[14:15], s[16:17], v[14:15]
	s_nop 0
	v_add_f32_e32 v4, v14, v15
	v_lshl_add_u64 v[14:15], v[8:9], 0, v[2:3]
	flat_store_dword v[14:15], v4
.LBB197_24:
	s_or_b64 exec, exec, s[0:1]
	v_lshl_add_u64 v[12:13], v[12:13], 0, 16
	v_cmp_gt_i64_e64 s[0:1], s[28:29], v[12:13]
	s_and_saveexec_b64 s[2:3], s[0:1]
	s_cbranch_execz .LBB197_26
; %bb.25:
	v_lshl_add_u64 v[12:13], v[10:11], 0, v[2:3]
	flat_load_dword v13, v[12:13] offset:64
	v_mov_b32_e32 v12, v5
	s_waitcnt vmcnt(0) lgkmcnt(0)
	v_pk_mul_f32 v[4:5], s[16:17], v[12:13]
	s_nop 0
	v_add_f32_e32 v12, v4, v5
	v_lshl_add_u64 v[4:5], v[8:9], 0, v[2:3]
	flat_store_dword v[4:5], v12 offset:64
.LBB197_26:
	s_or_b64 exec, exec, s[2:3]
	v_lshl_add_u64 v[4:5], v[6:7], 0, 16
	v_cmp_gt_i64_e64 s[2:3], s[30:31], v[4:5]
	s_and_b64 exec, exec, s[2:3]
	s_cbranch_execz .LBB197_19
; %bb.27:
	s_lshl_b64 s[2:3], s[10:11], 6
	v_lshl_add_u64 v[4:5], v[10:11], 0, s[2:3]
	s_lshl_b64 s[2:3], s[24:25], 6
	v_lshl_add_u64 v[6:7], v[8:9], 0, s[2:3]
	v_lshl_add_u64 v[4:5], v[4:5], 0, v[2:3]
	v_lshl_add_u64 v[2:3], v[6:7], 0, v[2:3]
	s_and_saveexec_b64 s[2:3], vcc
	s_cbranch_execz .LBB197_29
; %bb.28:
	flat_load_dword v7, v[4:5]
	v_mov_b32_e32 v6, v0
	s_waitcnt vmcnt(0) lgkmcnt(0)
	v_pk_mul_f32 v[6:7], s[16:17], v[6:7]
	s_nop 0
	v_add_f32_e32 v0, v6, v7
	flat_store_dword v[2:3], v0
.LBB197_29:
	s_or_b64 exec, exec, s[2:3]
	s_and_b64 exec, exec, s[0:1]
	s_cbranch_execz .LBB197_19
; %bb.30:
	flat_load_dword v5, v[4:5] offset:64
	v_mov_b32_e32 v4, v1
	s_waitcnt vmcnt(0) lgkmcnt(0)
	v_pk_mul_f32 v[0:1], s[16:17], v[4:5]
	s_nop 0
	v_add_f32_e32 v0, v0, v1
	flat_store_dword v[2:3], v0 offset:64
	s_endpgm
	.section	.rodata,"a",@progbits
	.p2align	6, 0x0
	.amdhsa_kernel _ZN12_GLOBAL__N_135rocblas_gemm_batched_general_kernelIfLi16ELi16ELi32ELi32ELi8ELi32ELi8ELi8ELi32ELc84ELc84EKPKfS3_KPfEEvlllT_PT11_llS8_llS6_PT12_llPT13_lli
		.amdhsa_group_segment_fixed_size 2048
		.amdhsa_private_segment_fixed_size 0
		.amdhsa_kernarg_size 140
		.amdhsa_user_sgpr_count 2
		.amdhsa_user_sgpr_dispatch_ptr 0
		.amdhsa_user_sgpr_queue_ptr 0
		.amdhsa_user_sgpr_kernarg_segment_ptr 1
		.amdhsa_user_sgpr_dispatch_id 0
		.amdhsa_user_sgpr_kernarg_preload_length 0
		.amdhsa_user_sgpr_kernarg_preload_offset 0
		.amdhsa_user_sgpr_private_segment_size 0
		.amdhsa_uses_dynamic_stack 0
		.amdhsa_enable_private_segment 0
		.amdhsa_system_sgpr_workgroup_id_x 1
		.amdhsa_system_sgpr_workgroup_id_y 1
		.amdhsa_system_sgpr_workgroup_id_z 1
		.amdhsa_system_sgpr_workgroup_info 0
		.amdhsa_system_vgpr_workitem_id 1
		.amdhsa_next_free_vgpr 54
		.amdhsa_next_free_sgpr 46
		.amdhsa_accum_offset 56
		.amdhsa_reserve_vcc 1
		.amdhsa_float_round_mode_32 0
		.amdhsa_float_round_mode_16_64 0
		.amdhsa_float_denorm_mode_32 3
		.amdhsa_float_denorm_mode_16_64 3
		.amdhsa_dx10_clamp 1
		.amdhsa_ieee_mode 1
		.amdhsa_fp16_overflow 0
		.amdhsa_tg_split 0
		.amdhsa_exception_fp_ieee_invalid_op 0
		.amdhsa_exception_fp_denorm_src 0
		.amdhsa_exception_fp_ieee_div_zero 0
		.amdhsa_exception_fp_ieee_overflow 0
		.amdhsa_exception_fp_ieee_underflow 0
		.amdhsa_exception_fp_ieee_inexact 0
		.amdhsa_exception_int_div_zero 0
	.end_amdhsa_kernel
	.section	.text._ZN12_GLOBAL__N_135rocblas_gemm_batched_general_kernelIfLi16ELi16ELi32ELi32ELi8ELi32ELi8ELi8ELi32ELc84ELc84EKPKfS3_KPfEEvlllT_PT11_llS8_llS6_PT12_llPT13_lli,"axG",@progbits,_ZN12_GLOBAL__N_135rocblas_gemm_batched_general_kernelIfLi16ELi16ELi32ELi32ELi8ELi32ELi8ELi8ELi32ELc84ELc84EKPKfS3_KPfEEvlllT_PT11_llS8_llS6_PT12_llPT13_lli,comdat
.Lfunc_end197:
	.size	_ZN12_GLOBAL__N_135rocblas_gemm_batched_general_kernelIfLi16ELi16ELi32ELi32ELi8ELi32ELi8ELi8ELi32ELc84ELc84EKPKfS3_KPfEEvlllT_PT11_llS8_llS6_PT12_llPT13_lli, .Lfunc_end197-_ZN12_GLOBAL__N_135rocblas_gemm_batched_general_kernelIfLi16ELi16ELi32ELi32ELi8ELi32ELi8ELi8ELi32ELc84ELc84EKPKfS3_KPfEEvlllT_PT11_llS8_llS6_PT12_llPT13_lli
                                        ; -- End function
	.set _ZN12_GLOBAL__N_135rocblas_gemm_batched_general_kernelIfLi16ELi16ELi32ELi32ELi8ELi32ELi8ELi8ELi32ELc84ELc84EKPKfS3_KPfEEvlllT_PT11_llS8_llS6_PT12_llPT13_lli.num_vgpr, 54
	.set _ZN12_GLOBAL__N_135rocblas_gemm_batched_general_kernelIfLi16ELi16ELi32ELi32ELi8ELi32ELi8ELi8ELi32ELc84ELc84EKPKfS3_KPfEEvlllT_PT11_llS8_llS6_PT12_llPT13_lli.num_agpr, 0
	.set _ZN12_GLOBAL__N_135rocblas_gemm_batched_general_kernelIfLi16ELi16ELi32ELi32ELi8ELi32ELi8ELi8ELi32ELc84ELc84EKPKfS3_KPfEEvlllT_PT11_llS8_llS6_PT12_llPT13_lli.numbered_sgpr, 46
	.set _ZN12_GLOBAL__N_135rocblas_gemm_batched_general_kernelIfLi16ELi16ELi32ELi32ELi8ELi32ELi8ELi8ELi32ELc84ELc84EKPKfS3_KPfEEvlllT_PT11_llS8_llS6_PT12_llPT13_lli.num_named_barrier, 0
	.set _ZN12_GLOBAL__N_135rocblas_gemm_batched_general_kernelIfLi16ELi16ELi32ELi32ELi8ELi32ELi8ELi8ELi32ELc84ELc84EKPKfS3_KPfEEvlllT_PT11_llS8_llS6_PT12_llPT13_lli.private_seg_size, 0
	.set _ZN12_GLOBAL__N_135rocblas_gemm_batched_general_kernelIfLi16ELi16ELi32ELi32ELi8ELi32ELi8ELi8ELi32ELc84ELc84EKPKfS3_KPfEEvlllT_PT11_llS8_llS6_PT12_llPT13_lli.uses_vcc, 1
	.set _ZN12_GLOBAL__N_135rocblas_gemm_batched_general_kernelIfLi16ELi16ELi32ELi32ELi8ELi32ELi8ELi8ELi32ELc84ELc84EKPKfS3_KPfEEvlllT_PT11_llS8_llS6_PT12_llPT13_lli.uses_flat_scratch, 0
	.set _ZN12_GLOBAL__N_135rocblas_gemm_batched_general_kernelIfLi16ELi16ELi32ELi32ELi8ELi32ELi8ELi8ELi32ELc84ELc84EKPKfS3_KPfEEvlllT_PT11_llS8_llS6_PT12_llPT13_lli.has_dyn_sized_stack, 0
	.set _ZN12_GLOBAL__N_135rocblas_gemm_batched_general_kernelIfLi16ELi16ELi32ELi32ELi8ELi32ELi8ELi8ELi32ELc84ELc84EKPKfS3_KPfEEvlllT_PT11_llS8_llS6_PT12_llPT13_lli.has_recursion, 0
	.set _ZN12_GLOBAL__N_135rocblas_gemm_batched_general_kernelIfLi16ELi16ELi32ELi32ELi8ELi32ELi8ELi8ELi32ELc84ELc84EKPKfS3_KPfEEvlllT_PT11_llS8_llS6_PT12_llPT13_lli.has_indirect_call, 0
	.section	.AMDGPU.csdata,"",@progbits
; Kernel info:
; codeLenInByte = 1656
; TotalNumSgprs: 52
; NumVgprs: 54
; NumAgprs: 0
; TotalNumVgprs: 54
; ScratchSize: 0
; MemoryBound: 0
; FloatMode: 240
; IeeeMode: 1
; LDSByteSize: 2048 bytes/workgroup (compile time only)
; SGPRBlocks: 6
; VGPRBlocks: 6
; NumSGPRsForWavesPerEU: 52
; NumVGPRsForWavesPerEU: 54
; AccumOffset: 56
; Occupancy: 8
; WaveLimiterHint : 1
; COMPUTE_PGM_RSRC2:SCRATCH_EN: 0
; COMPUTE_PGM_RSRC2:USER_SGPR: 2
; COMPUTE_PGM_RSRC2:TRAP_HANDLER: 0
; COMPUTE_PGM_RSRC2:TGID_X_EN: 1
; COMPUTE_PGM_RSRC2:TGID_Y_EN: 1
; COMPUTE_PGM_RSRC2:TGID_Z_EN: 1
; COMPUTE_PGM_RSRC2:TIDIG_COMP_CNT: 1
; COMPUTE_PGM_RSRC3_GFX90A:ACCUM_OFFSET: 13
; COMPUTE_PGM_RSRC3_GFX90A:TG_SPLIT: 0
	.section	.text._ZN12_GLOBAL__N_135rocblas_gemm_batched_general_kernelIfLi16ELi16ELi32ELi32ELi8ELi32ELi8ELi8ELi32ELc67ELc67EKPKfS3_KPfEEvlllT_PT11_llS8_llS6_PT12_llPT13_lli,"axG",@progbits,_ZN12_GLOBAL__N_135rocblas_gemm_batched_general_kernelIfLi16ELi16ELi32ELi32ELi8ELi32ELi8ELi8ELi32ELc67ELc67EKPKfS3_KPfEEvlllT_PT11_llS8_llS6_PT12_llPT13_lli,comdat
	.globl	_ZN12_GLOBAL__N_135rocblas_gemm_batched_general_kernelIfLi16ELi16ELi32ELi32ELi8ELi32ELi8ELi8ELi32ELc67ELc67EKPKfS3_KPfEEvlllT_PT11_llS8_llS6_PT12_llPT13_lli ; -- Begin function _ZN12_GLOBAL__N_135rocblas_gemm_batched_general_kernelIfLi16ELi16ELi32ELi32ELi8ELi32ELi8ELi8ELi32ELc67ELc67EKPKfS3_KPfEEvlllT_PT11_llS8_llS6_PT12_llPT13_lli
	.p2align	8
	.type	_ZN12_GLOBAL__N_135rocblas_gemm_batched_general_kernelIfLi16ELi16ELi32ELi32ELi8ELi32ELi8ELi8ELi32ELc67ELc67EKPKfS3_KPfEEvlllT_PT11_llS8_llS6_PT12_llPT13_lli,@function
_ZN12_GLOBAL__N_135rocblas_gemm_batched_general_kernelIfLi16ELi16ELi32ELi32ELi8ELi32ELi8ELi8ELi32ELc67ELc67EKPKfS3_KPfEEvlllT_PT11_llS8_llS6_PT12_llPT13_lli: ; @_ZN12_GLOBAL__N_135rocblas_gemm_batched_general_kernelIfLi16ELi16ELi32ELi32ELi8ELi32ELi8ELi8ELi32ELc67ELc67EKPKfS3_KPfEEvlllT_PT11_llS8_llS6_PT12_llPT13_lli
; %bb.0:
	s_load_dwordx4 s[28:31], s[0:1], 0x0
	s_load_dwordx2 s[34:35], s[0:1], 0x10
	s_load_dwordx4 s[24:27], s[0:1], 0x78
	s_load_dwordx8 s[8:15], s[0:1], 0x58
	s_mov_b32 s5, 0
	s_lshl_b64 s[4:5], s[4:5], 3
	s_mov_b32 s42, s3
	v_mov_b32_e32 v7, 0
	s_waitcnt lgkmcnt(0)
	s_add_u32 s6, s8, s4
	s_addc_u32 s7, s9, s5
	s_add_u32 s8, s14, s4
	s_addc_u32 s9, s15, s5
	s_load_dwordx2 s[6:7], s[6:7], 0x0
	s_ashr_i32 s3, s2, 31
	s_load_dwordx2 s[14:15], s[8:9], 0x0
	s_lshl_b64 s[8:9], s[2:3], 5
	s_ashr_i32 s43, s42, 31
	v_cmp_lt_i64_e64 s[2:3], s[34:35], 1
	v_and_b32_e32 v2, 0x3ff, v0
	v_bfe_u32 v6, v0, 10, 10
	v_mov_b32_e32 v3, v7
	s_lshl_b64 s[40:41], s[42:43], 5
	s_and_b64 vcc, exec, s[2:3]
	v_mov_b32_e32 v5, v7
	v_mov_b32_e32 v4, v7
	;; [unrolled: 1-line block ×4, first 2 shown]
	s_cbranch_vccnz .LBB198_7
; %bb.1:
	s_load_dwordx8 s[16:23], s[0:1], 0x20
	s_load_dwordx4 s[36:39], s[0:1], 0x40
	v_lshl_add_u32 v12, v6, 4, v2
	v_mov_b32_e32 v9, 0
	v_lshrrev_b32_e32 v0, 3, v12
	s_waitcnt lgkmcnt(0)
	s_add_u32 s2, s22, s4
	s_addc_u32 s3, s23, s5
	v_mov_b32_e32 v1, v9
	v_and_b32_e32 v10, 7, v2
	s_load_dwordx2 s[22:23], s[2:3], 0x0
	s_add_u32 s2, s16, s4
	v_lshl_add_u64 v[4:5], v[0:1], 0, s[40:41]
	v_and_b32_e32 v14, 31, v12
	v_lshrrev_b32_e32 v8, 5, v12
	s_addc_u32 s3, s17, s5
	v_or_b32_e32 v12, s8, v14
	v_mov_b32_e32 v13, s9
	v_cmp_gt_i64_e64 s[4:5], s[30:31], v[4:5]
	v_mad_u64_u32 v[4:5], s[16:17], s36, v10, 0
	s_load_dwordx2 s[44:45], s[2:3], 0x0
	v_cmp_gt_i64_e64 s[2:3], s[28:29], v[12:13]
	v_mov_b32_e32 v12, v5
	v_lshlrev_b32_e32 v1, 2, v14
	v_mad_u64_u32 v[12:13], s[16:17], s37, v10, v[12:13]
	v_lshl_or_b32 v18, v8, 7, v1
	v_lshlrev_b32_e32 v1, 2, v10
	s_lshl_b64 s[16:17], s[42:43], 7
	s_lshl_b64 s[38:39], s[38:39], 2
	v_lshl_or_b32 v1, v0, 5, v1
	s_add_u32 s16, s38, s16
	v_add_u32_e32 v19, 0x400, v1
	v_mov_b32_e32 v1, 0x400
	v_mov_b32_e32 v5, v12
	s_addc_u32 s17, s39, s17
	v_lshl_add_u32 v21, v6, 5, v1
	v_lshl_add_u64 v[4:5], v[4:5], 2, s[16:17]
	v_lshlrev_b32_e32 v0, 2, v0
	v_mov_b32_e32 v1, v9
	v_mov_b32_e32 v15, v9
	v_lshl_add_u64 v[0:1], v[4:5], 0, v[0:1]
	s_waitcnt lgkmcnt(0)
	v_lshl_add_u64 v[12:13], s[22:23], 0, v[0:1]
	v_lshl_add_u64 v[0:1], s[8:9], 0, v[14:15]
	v_mul_lo_u32 v4, s19, v0
	v_mul_lo_u32 v5, s18, v1
	v_mad_u64_u32 v[0:1], s[18:19], s18, v0, 0
	v_add3_u32 v1, v1, v5, v4
	s_lshl_b64 s[18:19], s[20:21], 2
	v_lshl_add_u64 v[0:1], v[0:1], 2, s[18:19]
	v_lshlrev_b32_e32 v4, 2, v8
	v_mov_b32_e32 v5, v9
	v_lshl_add_u64 v[0:1], v[0:1], 0, v[4:5]
	v_mov_b32_e32 v11, v9
	v_lshlrev_b32_e32 v20, 2, v2
	s_lshl_b64 s[16:17], s[36:37], 5
	v_lshl_add_u64 v[14:15], s[44:45], 0, v[0:1]
	s_mov_b64 s[18:19], 0
	v_mov_b64_e32 v[16:17], s[34:35]
	v_mov_b32_e32 v4, v9
	v_mov_b32_e32 v0, v9
	;; [unrolled: 1-line block ×3, first 2 shown]
	s_branch .LBB198_3
.LBB198_2:                              ;   in Loop: Header=BB198_3 Depth=1
	s_or_b64 exec, exec, s[20:21]
	s_waitcnt vmcnt(0) lgkmcnt(0)
	ds_write_b32 v19, v22
	s_waitcnt lgkmcnt(0)
	s_barrier
	ds_read_b128 v[22:25], v21
	ds_read_b128 v[26:29], v21 offset:16
	ds_read2_b32 v[38:39], v20 offset1:16
	ds_read2_b32 v[40:41], v20 offset0:32 offset1:48
	ds_read2_b32 v[42:43], v20 offset0:64 offset1:80
	ds_read2_b32 v[44:45], v20 offset0:96 offset1:112
	ds_read2_b32 v[46:47], v20 offset0:128 offset1:144
	ds_read_b128 v[30:33], v21 offset:512
	ds_read_b128 v[34:37], v21 offset:528
	ds_read2_b32 v[48:49], v20 offset0:160 offset1:176
	ds_read2_b32 v[50:51], v20 offset0:192 offset1:208
	ds_read2_b32 v[52:53], v20 offset0:224 offset1:240
	s_waitcnt lgkmcnt(9)
	v_pk_fma_f32 v[4:5], v[38:39], v[22:23], v[4:5] op_sel_hi:[1,0,1]
	s_waitcnt lgkmcnt(4)
	v_pk_fma_f32 v[0:1], v[38:39], v[30:31], v[0:1] op_sel_hi:[1,0,1]
	v_pk_fma_f32 v[4:5], v[40:41], v[22:23], v[4:5] op_sel:[0,1,0]
	v_mov_b32_e32 v22, v25
	v_pk_fma_f32 v[4:5], v[42:43], v[24:25], v[4:5] op_sel_hi:[1,0,1]
	v_pk_fma_f32 v[0:1], v[40:41], v[30:31], v[0:1] op_sel:[0,1,0]
	v_pk_fma_f32 v[4:5], v[44:45], v[22:23], v[4:5] op_sel_hi:[1,0,1]
	v_mov_b32_e32 v22, v29
	v_pk_fma_f32 v[4:5], v[46:47], v[26:27], v[4:5] op_sel_hi:[1,0,1]
	v_pk_fma_f32 v[0:1], v[42:43], v[32:33], v[0:1] op_sel_hi:[1,0,1]
	s_waitcnt lgkmcnt(2)
	v_pk_fma_f32 v[4:5], v[48:49], v[26:27], v[4:5] op_sel:[0,1,0]
	s_add_u32 s18, s18, 8
	s_waitcnt lgkmcnt(1)
	v_pk_fma_f32 v[4:5], v[50:51], v[28:29], v[4:5] op_sel_hi:[1,0,1]
	s_addc_u32 s19, s19, 0
	s_waitcnt lgkmcnt(0)
	v_pk_fma_f32 v[4:5], v[52:53], v[22:23], v[4:5] op_sel_hi:[1,0,1]
	v_mov_b32_e32 v22, v33
	v_pk_fma_f32 v[0:1], v[44:45], v[22:23], v[0:1] op_sel_hi:[1,0,1]
	v_mov_b32_e32 v22, v37
	v_pk_fma_f32 v[0:1], v[46:47], v[34:35], v[0:1] op_sel_hi:[1,0,1]
	v_cmp_lt_i64_e32 vcc, s[18:19], v[16:17]
	v_pk_fma_f32 v[0:1], v[48:49], v[34:35], v[0:1] op_sel:[0,1,0]
	v_lshl_add_u64 v[12:13], v[12:13], 0, s[16:17]
	v_pk_fma_f32 v[0:1], v[50:51], v[36:37], v[0:1] op_sel_hi:[1,0,1]
	v_lshl_add_u64 v[14:15], v[14:15], 0, 32
	v_pk_fma_f32 v[0:1], v[52:53], v[22:23], v[0:1] op_sel_hi:[1,0,1]
	s_barrier
	s_cbranch_vccz .LBB198_7
.LBB198_3:                              ; =>This Inner Loop Header: Depth=1
	v_lshl_add_u64 v[22:23], v[8:9], 0, s[18:19]
	v_cmp_gt_i64_e32 vcc, s[34:35], v[22:23]
	s_and_b64 s[22:23], s[2:3], vcc
	v_mov_b32_e32 v22, 0
	s_and_saveexec_b64 s[20:21], s[22:23]
	s_cbranch_execz .LBB198_5
; %bb.4:                                ;   in Loop: Header=BB198_3 Depth=1
	flat_load_dword v22, v[14:15]
.LBB198_5:                              ;   in Loop: Header=BB198_3 Depth=1
	s_or_b64 exec, exec, s[20:21]
	s_waitcnt vmcnt(0) lgkmcnt(0)
	ds_write_b32 v18, v22
	v_lshl_add_u64 v[22:23], v[10:11], 0, s[18:19]
	v_cmp_gt_i64_e32 vcc, s[34:35], v[22:23]
	s_and_b64 s[22:23], vcc, s[4:5]
	v_mov_b32_e32 v22, 0
	s_and_saveexec_b64 s[20:21], s[22:23]
	s_cbranch_execz .LBB198_2
; %bb.6:                                ;   in Loop: Header=BB198_3 Depth=1
	flat_load_dword v22, v[12:13]
	s_branch .LBB198_2
.LBB198_7:
	s_load_dword s16, s[0:1], 0x18
	s_load_dword s17, s[0:1], 0x50
	s_lshl_b64 s[0:1], s[26:27], 2
	s_waitcnt lgkmcnt(0)
	s_add_u32 s14, s14, s0
	v_lshl_add_u64 v[6:7], s[40:41], 0, v[6:7]
	s_addc_u32 s15, s15, s1
	v_cmp_neq_f32_e64 s[2:3], s17, 0
	v_cmp_gt_i64_e64 s[0:1], s[30:31], v[6:7]
	s_and_b64 vcc, exec, s[2:3]
	s_cbranch_vccnz .LBB198_20
; %bb.8:
	s_and_saveexec_b64 s[18:19], s[0:1]
	s_cbranch_execz .LBB198_18
; %bb.9:
	v_mul_lo_u32 v12, v7, s24
	v_mul_lo_u32 v13, v6, s25
	v_mad_u64_u32 v[10:11], s[2:3], v6, s24, 0
	v_add3_u32 v11, v11, v13, v12
	v_lshl_add_u64 v[8:9], s[8:9], 0, v[2:3]
	v_lshl_add_u64 v[10:11], v[10:11], 2, s[14:15]
	v_cmp_gt_i64_e32 vcc, s[28:29], v[8:9]
	v_lshl_add_u64 v[12:13], v[8:9], 2, v[10:11]
	s_and_saveexec_b64 s[2:3], vcc
	s_cbranch_execz .LBB198_11
; %bb.10:
	v_mul_f32_e32 v14, s16, v4
	flat_store_dword v[12:13], v14
.LBB198_11:
	s_or_b64 exec, exec, s[2:3]
	v_lshl_add_u64 v[14:15], v[8:9], 0, 16
	v_cmp_gt_i64_e64 s[2:3], s[28:29], v[14:15]
	s_and_saveexec_b64 s[4:5], s[2:3]
	s_cbranch_execz .LBB198_13
; %bb.12:
	v_mul_f32_e32 v14, s16, v5
	flat_store_dword v[12:13], v14 offset:64
.LBB198_13:
	s_or_b64 exec, exec, s[4:5]
	v_lshl_add_u64 v[12:13], v[6:7], 0, 16
	v_cmp_gt_i64_e64 s[4:5], s[30:31], v[12:13]
	s_and_b64 exec, exec, s[4:5]
	s_cbranch_execz .LBB198_18
; %bb.14:
	s_lshl_b64 s[4:5], s[24:25], 6
	v_lshl_add_u64 v[10:11], v[10:11], 0, s[4:5]
	v_lshl_add_u64 v[8:9], v[8:9], 2, v[10:11]
	s_and_saveexec_b64 s[4:5], vcc
	s_cbranch_execz .LBB198_16
; %bb.15:
	v_mul_f32_e32 v10, s16, v0
	flat_store_dword v[8:9], v10
.LBB198_16:
	s_or_b64 exec, exec, s[4:5]
	s_and_b64 exec, exec, s[2:3]
	s_cbranch_execz .LBB198_18
; %bb.17:
	v_mul_f32_e32 v10, s16, v1
	flat_store_dword v[8:9], v10 offset:64
.LBB198_18:
	s_or_b64 exec, exec, s[18:19]
	s_cbranch_execz .LBB198_21
.LBB198_19:
	s_endpgm
.LBB198_20:
.LBB198_21:
	s_and_saveexec_b64 s[2:3], s[0:1]
	s_cbranch_execz .LBB198_19
; %bb.22:
	s_lshl_b64 s[0:1], s[12:13], 2
	v_lshl_add_u64 v[12:13], s[8:9], 0, v[2:3]
	v_mul_lo_u32 v8, v7, s10
	v_mul_lo_u32 v9, v6, s11
	v_mad_u64_u32 v[2:3], s[2:3], v6, s10, 0
	s_add_u32 s0, s6, s0
	v_add3_u32 v3, v3, v9, v8
	v_mul_lo_u32 v10, v7, s24
	v_mul_lo_u32 v11, v6, s25
	v_mad_u64_u32 v[8:9], s[2:3], v6, s24, 0
	s_addc_u32 s1, s7, s1
	v_add3_u32 v9, v9, v11, v10
	v_cmp_gt_i64_e32 vcc, s[28:29], v[12:13]
	v_lshl_add_u64 v[10:11], v[2:3], 2, s[0:1]
	v_lshl_add_u64 v[8:9], v[8:9], 2, s[14:15]
	v_lshlrev_b64 v[2:3], 2, v[12:13]
	s_and_saveexec_b64 s[0:1], vcc
	s_cbranch_execz .LBB198_24
; %bb.23:
	v_lshl_add_u64 v[14:15], v[10:11], 0, v[2:3]
	flat_load_dword v15, v[14:15]
	v_mov_b32_e32 v14, v4
	s_waitcnt vmcnt(0) lgkmcnt(0)
	v_pk_mul_f32 v[14:15], s[16:17], v[14:15]
	s_nop 0
	v_add_f32_e32 v4, v14, v15
	v_lshl_add_u64 v[14:15], v[8:9], 0, v[2:3]
	flat_store_dword v[14:15], v4
.LBB198_24:
	s_or_b64 exec, exec, s[0:1]
	v_lshl_add_u64 v[12:13], v[12:13], 0, 16
	v_cmp_gt_i64_e64 s[0:1], s[28:29], v[12:13]
	s_and_saveexec_b64 s[2:3], s[0:1]
	s_cbranch_execz .LBB198_26
; %bb.25:
	v_lshl_add_u64 v[12:13], v[10:11], 0, v[2:3]
	flat_load_dword v13, v[12:13] offset:64
	v_mov_b32_e32 v12, v5
	s_waitcnt vmcnt(0) lgkmcnt(0)
	v_pk_mul_f32 v[4:5], s[16:17], v[12:13]
	s_nop 0
	v_add_f32_e32 v12, v4, v5
	v_lshl_add_u64 v[4:5], v[8:9], 0, v[2:3]
	flat_store_dword v[4:5], v12 offset:64
.LBB198_26:
	s_or_b64 exec, exec, s[2:3]
	v_lshl_add_u64 v[4:5], v[6:7], 0, 16
	v_cmp_gt_i64_e64 s[2:3], s[30:31], v[4:5]
	s_and_b64 exec, exec, s[2:3]
	s_cbranch_execz .LBB198_19
; %bb.27:
	s_lshl_b64 s[2:3], s[10:11], 6
	v_lshl_add_u64 v[4:5], v[10:11], 0, s[2:3]
	s_lshl_b64 s[2:3], s[24:25], 6
	v_lshl_add_u64 v[6:7], v[8:9], 0, s[2:3]
	v_lshl_add_u64 v[4:5], v[4:5], 0, v[2:3]
	;; [unrolled: 1-line block ×3, first 2 shown]
	s_and_saveexec_b64 s[2:3], vcc
	s_cbranch_execz .LBB198_29
; %bb.28:
	flat_load_dword v7, v[4:5]
	v_mov_b32_e32 v6, v0
	s_waitcnt vmcnt(0) lgkmcnt(0)
	v_pk_mul_f32 v[6:7], s[16:17], v[6:7]
	s_nop 0
	v_add_f32_e32 v0, v6, v7
	flat_store_dword v[2:3], v0
.LBB198_29:
	s_or_b64 exec, exec, s[2:3]
	s_and_b64 exec, exec, s[0:1]
	s_cbranch_execz .LBB198_19
; %bb.30:
	flat_load_dword v5, v[4:5] offset:64
	v_mov_b32_e32 v4, v1
	s_waitcnt vmcnt(0) lgkmcnt(0)
	v_pk_mul_f32 v[0:1], s[16:17], v[4:5]
	s_nop 0
	v_add_f32_e32 v0, v0, v1
	flat_store_dword v[2:3], v0 offset:64
	s_endpgm
	.section	.rodata,"a",@progbits
	.p2align	6, 0x0
	.amdhsa_kernel _ZN12_GLOBAL__N_135rocblas_gemm_batched_general_kernelIfLi16ELi16ELi32ELi32ELi8ELi32ELi8ELi8ELi32ELc67ELc67EKPKfS3_KPfEEvlllT_PT11_llS8_llS6_PT12_llPT13_lli
		.amdhsa_group_segment_fixed_size 2048
		.amdhsa_private_segment_fixed_size 0
		.amdhsa_kernarg_size 140
		.amdhsa_user_sgpr_count 2
		.amdhsa_user_sgpr_dispatch_ptr 0
		.amdhsa_user_sgpr_queue_ptr 0
		.amdhsa_user_sgpr_kernarg_segment_ptr 1
		.amdhsa_user_sgpr_dispatch_id 0
		.amdhsa_user_sgpr_kernarg_preload_length 0
		.amdhsa_user_sgpr_kernarg_preload_offset 0
		.amdhsa_user_sgpr_private_segment_size 0
		.amdhsa_uses_dynamic_stack 0
		.amdhsa_enable_private_segment 0
		.amdhsa_system_sgpr_workgroup_id_x 1
		.amdhsa_system_sgpr_workgroup_id_y 1
		.amdhsa_system_sgpr_workgroup_id_z 1
		.amdhsa_system_sgpr_workgroup_info 0
		.amdhsa_system_vgpr_workitem_id 1
		.amdhsa_next_free_vgpr 54
		.amdhsa_next_free_sgpr 46
		.amdhsa_accum_offset 56
		.amdhsa_reserve_vcc 1
		.amdhsa_float_round_mode_32 0
		.amdhsa_float_round_mode_16_64 0
		.amdhsa_float_denorm_mode_32 3
		.amdhsa_float_denorm_mode_16_64 3
		.amdhsa_dx10_clamp 1
		.amdhsa_ieee_mode 1
		.amdhsa_fp16_overflow 0
		.amdhsa_tg_split 0
		.amdhsa_exception_fp_ieee_invalid_op 0
		.amdhsa_exception_fp_denorm_src 0
		.amdhsa_exception_fp_ieee_div_zero 0
		.amdhsa_exception_fp_ieee_overflow 0
		.amdhsa_exception_fp_ieee_underflow 0
		.amdhsa_exception_fp_ieee_inexact 0
		.amdhsa_exception_int_div_zero 0
	.end_amdhsa_kernel
	.section	.text._ZN12_GLOBAL__N_135rocblas_gemm_batched_general_kernelIfLi16ELi16ELi32ELi32ELi8ELi32ELi8ELi8ELi32ELc67ELc67EKPKfS3_KPfEEvlllT_PT11_llS8_llS6_PT12_llPT13_lli,"axG",@progbits,_ZN12_GLOBAL__N_135rocblas_gemm_batched_general_kernelIfLi16ELi16ELi32ELi32ELi8ELi32ELi8ELi8ELi32ELc67ELc67EKPKfS3_KPfEEvlllT_PT11_llS8_llS6_PT12_llPT13_lli,comdat
.Lfunc_end198:
	.size	_ZN12_GLOBAL__N_135rocblas_gemm_batched_general_kernelIfLi16ELi16ELi32ELi32ELi8ELi32ELi8ELi8ELi32ELc67ELc67EKPKfS3_KPfEEvlllT_PT11_llS8_llS6_PT12_llPT13_lli, .Lfunc_end198-_ZN12_GLOBAL__N_135rocblas_gemm_batched_general_kernelIfLi16ELi16ELi32ELi32ELi8ELi32ELi8ELi8ELi32ELc67ELc67EKPKfS3_KPfEEvlllT_PT11_llS8_llS6_PT12_llPT13_lli
                                        ; -- End function
	.set _ZN12_GLOBAL__N_135rocblas_gemm_batched_general_kernelIfLi16ELi16ELi32ELi32ELi8ELi32ELi8ELi8ELi32ELc67ELc67EKPKfS3_KPfEEvlllT_PT11_llS8_llS6_PT12_llPT13_lli.num_vgpr, 54
	.set _ZN12_GLOBAL__N_135rocblas_gemm_batched_general_kernelIfLi16ELi16ELi32ELi32ELi8ELi32ELi8ELi8ELi32ELc67ELc67EKPKfS3_KPfEEvlllT_PT11_llS8_llS6_PT12_llPT13_lli.num_agpr, 0
	.set _ZN12_GLOBAL__N_135rocblas_gemm_batched_general_kernelIfLi16ELi16ELi32ELi32ELi8ELi32ELi8ELi8ELi32ELc67ELc67EKPKfS3_KPfEEvlllT_PT11_llS8_llS6_PT12_llPT13_lli.numbered_sgpr, 46
	.set _ZN12_GLOBAL__N_135rocblas_gemm_batched_general_kernelIfLi16ELi16ELi32ELi32ELi8ELi32ELi8ELi8ELi32ELc67ELc67EKPKfS3_KPfEEvlllT_PT11_llS8_llS6_PT12_llPT13_lli.num_named_barrier, 0
	.set _ZN12_GLOBAL__N_135rocblas_gemm_batched_general_kernelIfLi16ELi16ELi32ELi32ELi8ELi32ELi8ELi8ELi32ELc67ELc67EKPKfS3_KPfEEvlllT_PT11_llS8_llS6_PT12_llPT13_lli.private_seg_size, 0
	.set _ZN12_GLOBAL__N_135rocblas_gemm_batched_general_kernelIfLi16ELi16ELi32ELi32ELi8ELi32ELi8ELi8ELi32ELc67ELc67EKPKfS3_KPfEEvlllT_PT11_llS8_llS6_PT12_llPT13_lli.uses_vcc, 1
	.set _ZN12_GLOBAL__N_135rocblas_gemm_batched_general_kernelIfLi16ELi16ELi32ELi32ELi8ELi32ELi8ELi8ELi32ELc67ELc67EKPKfS3_KPfEEvlllT_PT11_llS8_llS6_PT12_llPT13_lli.uses_flat_scratch, 0
	.set _ZN12_GLOBAL__N_135rocblas_gemm_batched_general_kernelIfLi16ELi16ELi32ELi32ELi8ELi32ELi8ELi8ELi32ELc67ELc67EKPKfS3_KPfEEvlllT_PT11_llS8_llS6_PT12_llPT13_lli.has_dyn_sized_stack, 0
	.set _ZN12_GLOBAL__N_135rocblas_gemm_batched_general_kernelIfLi16ELi16ELi32ELi32ELi8ELi32ELi8ELi8ELi32ELc67ELc67EKPKfS3_KPfEEvlllT_PT11_llS8_llS6_PT12_llPT13_lli.has_recursion, 0
	.set _ZN12_GLOBAL__N_135rocblas_gemm_batched_general_kernelIfLi16ELi16ELi32ELi32ELi8ELi32ELi8ELi8ELi32ELc67ELc67EKPKfS3_KPfEEvlllT_PT11_llS8_llS6_PT12_llPT13_lli.has_indirect_call, 0
	.section	.AMDGPU.csdata,"",@progbits
; Kernel info:
; codeLenInByte = 1656
; TotalNumSgprs: 52
; NumVgprs: 54
; NumAgprs: 0
; TotalNumVgprs: 54
; ScratchSize: 0
; MemoryBound: 0
; FloatMode: 240
; IeeeMode: 1
; LDSByteSize: 2048 bytes/workgroup (compile time only)
; SGPRBlocks: 6
; VGPRBlocks: 6
; NumSGPRsForWavesPerEU: 52
; NumVGPRsForWavesPerEU: 54
; AccumOffset: 56
; Occupancy: 8
; WaveLimiterHint : 1
; COMPUTE_PGM_RSRC2:SCRATCH_EN: 0
; COMPUTE_PGM_RSRC2:USER_SGPR: 2
; COMPUTE_PGM_RSRC2:TRAP_HANDLER: 0
; COMPUTE_PGM_RSRC2:TGID_X_EN: 1
; COMPUTE_PGM_RSRC2:TGID_Y_EN: 1
; COMPUTE_PGM_RSRC2:TGID_Z_EN: 1
; COMPUTE_PGM_RSRC2:TIDIG_COMP_CNT: 1
; COMPUTE_PGM_RSRC3_GFX90A:ACCUM_OFFSET: 13
; COMPUTE_PGM_RSRC3_GFX90A:TG_SPLIT: 0
	.section	.text._ZN12_GLOBAL__N_135rocblas_gemm_batched_general_kernelIfLi16ELi16ELi32ELi32ELi8ELi32ELi8ELi8ELi32ELc67ELc78EKPKfS3_KPfEEvlllT_PT11_llS8_llS6_PT12_llPT13_lli,"axG",@progbits,_ZN12_GLOBAL__N_135rocblas_gemm_batched_general_kernelIfLi16ELi16ELi32ELi32ELi8ELi32ELi8ELi8ELi32ELc67ELc78EKPKfS3_KPfEEvlllT_PT11_llS8_llS6_PT12_llPT13_lli,comdat
	.globl	_ZN12_GLOBAL__N_135rocblas_gemm_batched_general_kernelIfLi16ELi16ELi32ELi32ELi8ELi32ELi8ELi8ELi32ELc67ELc78EKPKfS3_KPfEEvlllT_PT11_llS8_llS6_PT12_llPT13_lli ; -- Begin function _ZN12_GLOBAL__N_135rocblas_gemm_batched_general_kernelIfLi16ELi16ELi32ELi32ELi8ELi32ELi8ELi8ELi32ELc67ELc78EKPKfS3_KPfEEvlllT_PT11_llS8_llS6_PT12_llPT13_lli
	.p2align	8
	.type	_ZN12_GLOBAL__N_135rocblas_gemm_batched_general_kernelIfLi16ELi16ELi32ELi32ELi8ELi32ELi8ELi8ELi32ELc67ELc78EKPKfS3_KPfEEvlllT_PT11_llS8_llS6_PT12_llPT13_lli,@function
_ZN12_GLOBAL__N_135rocblas_gemm_batched_general_kernelIfLi16ELi16ELi32ELi32ELi8ELi32ELi8ELi8ELi32ELc67ELc78EKPKfS3_KPfEEvlllT_PT11_llS8_llS6_PT12_llPT13_lli: ; @_ZN12_GLOBAL__N_135rocblas_gemm_batched_general_kernelIfLi16ELi16ELi32ELi32ELi8ELi32ELi8ELi8ELi32ELc67ELc78EKPKfS3_KPfEEvlllT_PT11_llS8_llS6_PT12_llPT13_lli
; %bb.0:
	s_load_dwordx4 s[28:31], s[0:1], 0x0
	s_load_dwordx2 s[34:35], s[0:1], 0x10
	s_load_dwordx4 s[24:27], s[0:1], 0x78
	s_load_dwordx8 s[8:15], s[0:1], 0x58
	s_mov_b32 s5, 0
	s_lshl_b64 s[4:5], s[4:5], 3
	s_mov_b32 s16, s3
	v_mov_b32_e32 v7, 0
	s_waitcnt lgkmcnt(0)
	s_add_u32 s6, s8, s4
	s_addc_u32 s7, s9, s5
	s_add_u32 s8, s14, s4
	s_addc_u32 s9, s15, s5
	s_load_dwordx2 s[6:7], s[6:7], 0x0
	s_ashr_i32 s3, s2, 31
	s_load_dwordx2 s[14:15], s[8:9], 0x0
	s_lshl_b64 s[8:9], s[2:3], 5
	s_ashr_i32 s17, s16, 31
	v_cmp_lt_i64_e64 s[2:3], s[34:35], 1
	v_and_b32_e32 v2, 0x3ff, v0
	v_bfe_u32 v6, v0, 10, 10
	v_mov_b32_e32 v3, v7
	s_lshl_b64 s[40:41], s[16:17], 5
	s_and_b64 vcc, exec, s[2:3]
	v_mov_b32_e32 v5, v7
	v_mov_b32_e32 v4, v7
	;; [unrolled: 1-line block ×4, first 2 shown]
	s_cbranch_vccnz .LBB199_7
; %bb.1:
	s_load_dwordx8 s[16:23], s[0:1], 0x20
	s_load_dwordx4 s[36:39], s[0:1], 0x40
	v_lshl_add_u32 v12, v6, 4, v2
	v_and_b32_e32 v14, 31, v12
	v_lshrrev_b32_e32 v8, 5, v12
	s_waitcnt lgkmcnt(0)
	s_add_u32 s2, s22, s4
	s_addc_u32 s3, s23, s5
	s_load_dwordx2 s[22:23], s[2:3], 0x0
	s_add_u32 s2, s16, s4
	v_mov_b32_e32 v9, 0
	v_and_b32_e32 v10, 7, v2
	s_addc_u32 s3, s17, s5
	v_lshrrev_b32_e32 v0, 3, v12
	v_or_b32_e32 v12, s8, v14
	v_mov_b32_e32 v13, s9
	s_load_dwordx2 s[16:17], s[2:3], 0x0
	v_mov_b32_e32 v1, v9
	v_cmp_gt_i64_e64 s[2:3], s[28:29], v[12:13]
	v_lshlrev_b32_e32 v12, 2, v10
	v_lshl_add_u64 v[4:5], v[0:1], 0, s[40:41]
	v_lshl_or_b32 v0, v0, 5, v12
	v_lshlrev_b32_e32 v1, 2, v14
	v_add_u32_e32 v19, 0x400, v0
	v_mov_b32_e32 v0, 0x400
	v_lshl_or_b32 v18, v8, 7, v1
	v_cmp_gt_i64_e64 s[4:5], s[30:31], v[4:5]
	v_lshl_add_u32 v21, v6, 5, v0
	v_mul_lo_u32 v13, s37, v4
	v_mul_lo_u32 v5, s36, v5
	v_mad_u64_u32 v[0:1], s[36:37], s36, v4, 0
	v_add3_u32 v1, v1, v5, v13
	s_lshl_b64 s[36:37], s[38:39], 2
	v_lshl_add_u64 v[0:1], v[0:1], 2, s[36:37]
	v_mov_b32_e32 v13, v9
	v_mov_b32_e32 v15, v9
	v_lshl_add_u64 v[0:1], v[0:1], 0, v[12:13]
	s_waitcnt lgkmcnt(0)
	v_lshl_add_u64 v[12:13], s[22:23], 0, v[0:1]
	v_lshl_add_u64 v[0:1], s[8:9], 0, v[14:15]
	v_mul_lo_u32 v4, s19, v0
	v_mul_lo_u32 v5, s18, v1
	v_mad_u64_u32 v[0:1], s[18:19], s18, v0, 0
	v_add3_u32 v1, v1, v5, v4
	s_lshl_b64 s[18:19], s[20:21], 2
	v_lshl_add_u64 v[0:1], v[0:1], 2, s[18:19]
	v_lshlrev_b32_e32 v4, 2, v8
	v_mov_b32_e32 v5, v9
	v_lshl_add_u64 v[0:1], v[0:1], 0, v[4:5]
	v_mov_b32_e32 v11, v9
	v_lshlrev_b32_e32 v20, 2, v2
	v_lshl_add_u64 v[14:15], s[16:17], 0, v[0:1]
	s_mov_b64 s[16:17], 0
	v_mov_b64_e32 v[16:17], s[34:35]
	v_mov_b32_e32 v4, v9
	v_mov_b32_e32 v0, v9
	;; [unrolled: 1-line block ×3, first 2 shown]
	s_branch .LBB199_3
.LBB199_2:                              ;   in Loop: Header=BB199_3 Depth=1
	s_or_b64 exec, exec, s[18:19]
	s_waitcnt vmcnt(0) lgkmcnt(0)
	ds_write_b32 v19, v22
	s_waitcnt lgkmcnt(0)
	s_barrier
	ds_read_b128 v[22:25], v21
	ds_read_b128 v[26:29], v21 offset:16
	ds_read2_b32 v[38:39], v20 offset1:16
	ds_read2_b32 v[40:41], v20 offset0:32 offset1:48
	ds_read2_b32 v[42:43], v20 offset0:64 offset1:80
	;; [unrolled: 1-line block ×4, first 2 shown]
	ds_read_b128 v[30:33], v21 offset:512
	ds_read_b128 v[34:37], v21 offset:528
	ds_read2_b32 v[48:49], v20 offset0:160 offset1:176
	ds_read2_b32 v[50:51], v20 offset0:192 offset1:208
	;; [unrolled: 1-line block ×3, first 2 shown]
	s_waitcnt lgkmcnt(9)
	v_pk_fma_f32 v[4:5], v[38:39], v[22:23], v[4:5] op_sel_hi:[1,0,1]
	s_waitcnt lgkmcnt(4)
	v_pk_fma_f32 v[0:1], v[38:39], v[30:31], v[0:1] op_sel_hi:[1,0,1]
	v_pk_fma_f32 v[4:5], v[40:41], v[22:23], v[4:5] op_sel:[0,1,0]
	v_mov_b32_e32 v22, v25
	v_pk_fma_f32 v[4:5], v[42:43], v[24:25], v[4:5] op_sel_hi:[1,0,1]
	v_pk_fma_f32 v[0:1], v[40:41], v[30:31], v[0:1] op_sel:[0,1,0]
	v_pk_fma_f32 v[4:5], v[44:45], v[22:23], v[4:5] op_sel_hi:[1,0,1]
	v_mov_b32_e32 v22, v29
	v_pk_fma_f32 v[4:5], v[46:47], v[26:27], v[4:5] op_sel_hi:[1,0,1]
	v_pk_fma_f32 v[0:1], v[42:43], v[32:33], v[0:1] op_sel_hi:[1,0,1]
	s_waitcnt lgkmcnt(2)
	v_pk_fma_f32 v[4:5], v[48:49], v[26:27], v[4:5] op_sel:[0,1,0]
	s_add_u32 s16, s16, 8
	s_waitcnt lgkmcnt(1)
	v_pk_fma_f32 v[4:5], v[50:51], v[28:29], v[4:5] op_sel_hi:[1,0,1]
	s_addc_u32 s17, s17, 0
	s_waitcnt lgkmcnt(0)
	v_pk_fma_f32 v[4:5], v[52:53], v[22:23], v[4:5] op_sel_hi:[1,0,1]
	v_mov_b32_e32 v22, v33
	v_pk_fma_f32 v[0:1], v[44:45], v[22:23], v[0:1] op_sel_hi:[1,0,1]
	v_mov_b32_e32 v22, v37
	v_pk_fma_f32 v[0:1], v[46:47], v[34:35], v[0:1] op_sel_hi:[1,0,1]
	v_cmp_lt_i64_e32 vcc, s[16:17], v[16:17]
	v_pk_fma_f32 v[0:1], v[48:49], v[34:35], v[0:1] op_sel:[0,1,0]
	v_lshl_add_u64 v[12:13], v[12:13], 0, 32
	v_pk_fma_f32 v[0:1], v[50:51], v[36:37], v[0:1] op_sel_hi:[1,0,1]
	v_lshl_add_u64 v[14:15], v[14:15], 0, 32
	v_pk_fma_f32 v[0:1], v[52:53], v[22:23], v[0:1] op_sel_hi:[1,0,1]
	s_barrier
	s_cbranch_vccz .LBB199_7
.LBB199_3:                              ; =>This Inner Loop Header: Depth=1
	v_lshl_add_u64 v[22:23], v[8:9], 0, s[16:17]
	v_cmp_gt_i64_e32 vcc, s[34:35], v[22:23]
	s_and_b64 s[20:21], s[2:3], vcc
	v_mov_b32_e32 v22, 0
	s_and_saveexec_b64 s[18:19], s[20:21]
	s_cbranch_execz .LBB199_5
; %bb.4:                                ;   in Loop: Header=BB199_3 Depth=1
	flat_load_dword v22, v[14:15]
.LBB199_5:                              ;   in Loop: Header=BB199_3 Depth=1
	s_or_b64 exec, exec, s[18:19]
	s_waitcnt vmcnt(0) lgkmcnt(0)
	ds_write_b32 v18, v22
	v_lshl_add_u64 v[22:23], v[10:11], 0, s[16:17]
	v_cmp_gt_i64_e32 vcc, s[34:35], v[22:23]
	s_and_b64 s[20:21], vcc, s[4:5]
	v_mov_b32_e32 v22, 0
	s_and_saveexec_b64 s[18:19], s[20:21]
	s_cbranch_execz .LBB199_2
; %bb.6:                                ;   in Loop: Header=BB199_3 Depth=1
	flat_load_dword v22, v[12:13]
	s_branch .LBB199_2
.LBB199_7:
	s_load_dword s16, s[0:1], 0x18
	s_load_dword s17, s[0:1], 0x50
	s_lshl_b64 s[0:1], s[26:27], 2
	s_waitcnt lgkmcnt(0)
	s_add_u32 s14, s14, s0
	v_lshl_add_u64 v[6:7], s[40:41], 0, v[6:7]
	s_addc_u32 s15, s15, s1
	v_cmp_neq_f32_e64 s[2:3], s17, 0
	v_cmp_gt_i64_e64 s[0:1], s[30:31], v[6:7]
	s_and_b64 vcc, exec, s[2:3]
	s_cbranch_vccnz .LBB199_20
; %bb.8:
	s_and_saveexec_b64 s[18:19], s[0:1]
	s_cbranch_execz .LBB199_18
; %bb.9:
	v_mul_lo_u32 v12, v7, s24
	v_mul_lo_u32 v13, v6, s25
	v_mad_u64_u32 v[10:11], s[2:3], v6, s24, 0
	v_add3_u32 v11, v11, v13, v12
	v_lshl_add_u64 v[8:9], s[8:9], 0, v[2:3]
	v_lshl_add_u64 v[10:11], v[10:11], 2, s[14:15]
	v_cmp_gt_i64_e32 vcc, s[28:29], v[8:9]
	v_lshl_add_u64 v[12:13], v[8:9], 2, v[10:11]
	s_and_saveexec_b64 s[2:3], vcc
	s_cbranch_execz .LBB199_11
; %bb.10:
	v_mul_f32_e32 v14, s16, v4
	flat_store_dword v[12:13], v14
.LBB199_11:
	s_or_b64 exec, exec, s[2:3]
	v_lshl_add_u64 v[14:15], v[8:9], 0, 16
	v_cmp_gt_i64_e64 s[2:3], s[28:29], v[14:15]
	s_and_saveexec_b64 s[4:5], s[2:3]
	s_cbranch_execz .LBB199_13
; %bb.12:
	v_mul_f32_e32 v14, s16, v5
	flat_store_dword v[12:13], v14 offset:64
.LBB199_13:
	s_or_b64 exec, exec, s[4:5]
	v_lshl_add_u64 v[12:13], v[6:7], 0, 16
	v_cmp_gt_i64_e64 s[4:5], s[30:31], v[12:13]
	s_and_b64 exec, exec, s[4:5]
	s_cbranch_execz .LBB199_18
; %bb.14:
	s_lshl_b64 s[4:5], s[24:25], 6
	v_lshl_add_u64 v[10:11], v[10:11], 0, s[4:5]
	v_lshl_add_u64 v[8:9], v[8:9], 2, v[10:11]
	s_and_saveexec_b64 s[4:5], vcc
	s_cbranch_execz .LBB199_16
; %bb.15:
	v_mul_f32_e32 v10, s16, v0
	flat_store_dword v[8:9], v10
.LBB199_16:
	s_or_b64 exec, exec, s[4:5]
	s_and_b64 exec, exec, s[2:3]
	s_cbranch_execz .LBB199_18
; %bb.17:
	v_mul_f32_e32 v10, s16, v1
	flat_store_dword v[8:9], v10 offset:64
.LBB199_18:
	s_or_b64 exec, exec, s[18:19]
	s_cbranch_execz .LBB199_21
.LBB199_19:
	s_endpgm
.LBB199_20:
.LBB199_21:
	s_and_saveexec_b64 s[2:3], s[0:1]
	s_cbranch_execz .LBB199_19
; %bb.22:
	s_lshl_b64 s[0:1], s[12:13], 2
	v_lshl_add_u64 v[12:13], s[8:9], 0, v[2:3]
	v_mul_lo_u32 v8, v7, s10
	v_mul_lo_u32 v9, v6, s11
	v_mad_u64_u32 v[2:3], s[2:3], v6, s10, 0
	s_add_u32 s0, s6, s0
	v_add3_u32 v3, v3, v9, v8
	v_mul_lo_u32 v10, v7, s24
	v_mul_lo_u32 v11, v6, s25
	v_mad_u64_u32 v[8:9], s[2:3], v6, s24, 0
	s_addc_u32 s1, s7, s1
	v_add3_u32 v9, v9, v11, v10
	v_cmp_gt_i64_e32 vcc, s[28:29], v[12:13]
	v_lshl_add_u64 v[10:11], v[2:3], 2, s[0:1]
	v_lshl_add_u64 v[8:9], v[8:9], 2, s[14:15]
	v_lshlrev_b64 v[2:3], 2, v[12:13]
	s_and_saveexec_b64 s[0:1], vcc
	s_cbranch_execz .LBB199_24
; %bb.23:
	v_lshl_add_u64 v[14:15], v[10:11], 0, v[2:3]
	flat_load_dword v15, v[14:15]
	v_mov_b32_e32 v14, v4
	s_waitcnt vmcnt(0) lgkmcnt(0)
	v_pk_mul_f32 v[14:15], s[16:17], v[14:15]
	s_nop 0
	v_add_f32_e32 v4, v14, v15
	v_lshl_add_u64 v[14:15], v[8:9], 0, v[2:3]
	flat_store_dword v[14:15], v4
.LBB199_24:
	s_or_b64 exec, exec, s[0:1]
	v_lshl_add_u64 v[12:13], v[12:13], 0, 16
	v_cmp_gt_i64_e64 s[0:1], s[28:29], v[12:13]
	s_and_saveexec_b64 s[2:3], s[0:1]
	s_cbranch_execz .LBB199_26
; %bb.25:
	v_lshl_add_u64 v[12:13], v[10:11], 0, v[2:3]
	flat_load_dword v13, v[12:13] offset:64
	v_mov_b32_e32 v12, v5
	s_waitcnt vmcnt(0) lgkmcnt(0)
	v_pk_mul_f32 v[4:5], s[16:17], v[12:13]
	s_nop 0
	v_add_f32_e32 v12, v4, v5
	v_lshl_add_u64 v[4:5], v[8:9], 0, v[2:3]
	flat_store_dword v[4:5], v12 offset:64
.LBB199_26:
	s_or_b64 exec, exec, s[2:3]
	v_lshl_add_u64 v[4:5], v[6:7], 0, 16
	v_cmp_gt_i64_e64 s[2:3], s[30:31], v[4:5]
	s_and_b64 exec, exec, s[2:3]
	s_cbranch_execz .LBB199_19
; %bb.27:
	s_lshl_b64 s[2:3], s[10:11], 6
	v_lshl_add_u64 v[4:5], v[10:11], 0, s[2:3]
	s_lshl_b64 s[2:3], s[24:25], 6
	v_lshl_add_u64 v[6:7], v[8:9], 0, s[2:3]
	v_lshl_add_u64 v[4:5], v[4:5], 0, v[2:3]
	;; [unrolled: 1-line block ×3, first 2 shown]
	s_and_saveexec_b64 s[2:3], vcc
	s_cbranch_execz .LBB199_29
; %bb.28:
	flat_load_dword v7, v[4:5]
	v_mov_b32_e32 v6, v0
	s_waitcnt vmcnt(0) lgkmcnt(0)
	v_pk_mul_f32 v[6:7], s[16:17], v[6:7]
	s_nop 0
	v_add_f32_e32 v0, v6, v7
	flat_store_dword v[2:3], v0
.LBB199_29:
	s_or_b64 exec, exec, s[2:3]
	s_and_b64 exec, exec, s[0:1]
	s_cbranch_execz .LBB199_19
; %bb.30:
	flat_load_dword v5, v[4:5] offset:64
	v_mov_b32_e32 v4, v1
	s_waitcnt vmcnt(0) lgkmcnt(0)
	v_pk_mul_f32 v[0:1], s[16:17], v[4:5]
	s_nop 0
	v_add_f32_e32 v0, v0, v1
	flat_store_dword v[2:3], v0 offset:64
	s_endpgm
	.section	.rodata,"a",@progbits
	.p2align	6, 0x0
	.amdhsa_kernel _ZN12_GLOBAL__N_135rocblas_gemm_batched_general_kernelIfLi16ELi16ELi32ELi32ELi8ELi32ELi8ELi8ELi32ELc67ELc78EKPKfS3_KPfEEvlllT_PT11_llS8_llS6_PT12_llPT13_lli
		.amdhsa_group_segment_fixed_size 2048
		.amdhsa_private_segment_fixed_size 0
		.amdhsa_kernarg_size 140
		.amdhsa_user_sgpr_count 2
		.amdhsa_user_sgpr_dispatch_ptr 0
		.amdhsa_user_sgpr_queue_ptr 0
		.amdhsa_user_sgpr_kernarg_segment_ptr 1
		.amdhsa_user_sgpr_dispatch_id 0
		.amdhsa_user_sgpr_kernarg_preload_length 0
		.amdhsa_user_sgpr_kernarg_preload_offset 0
		.amdhsa_user_sgpr_private_segment_size 0
		.amdhsa_uses_dynamic_stack 0
		.amdhsa_enable_private_segment 0
		.amdhsa_system_sgpr_workgroup_id_x 1
		.amdhsa_system_sgpr_workgroup_id_y 1
		.amdhsa_system_sgpr_workgroup_id_z 1
		.amdhsa_system_sgpr_workgroup_info 0
		.amdhsa_system_vgpr_workitem_id 1
		.amdhsa_next_free_vgpr 54
		.amdhsa_next_free_sgpr 42
		.amdhsa_accum_offset 56
		.amdhsa_reserve_vcc 1
		.amdhsa_float_round_mode_32 0
		.amdhsa_float_round_mode_16_64 0
		.amdhsa_float_denorm_mode_32 3
		.amdhsa_float_denorm_mode_16_64 3
		.amdhsa_dx10_clamp 1
		.amdhsa_ieee_mode 1
		.amdhsa_fp16_overflow 0
		.amdhsa_tg_split 0
		.amdhsa_exception_fp_ieee_invalid_op 0
		.amdhsa_exception_fp_denorm_src 0
		.amdhsa_exception_fp_ieee_div_zero 0
		.amdhsa_exception_fp_ieee_overflow 0
		.amdhsa_exception_fp_ieee_underflow 0
		.amdhsa_exception_fp_ieee_inexact 0
		.amdhsa_exception_int_div_zero 0
	.end_amdhsa_kernel
	.section	.text._ZN12_GLOBAL__N_135rocblas_gemm_batched_general_kernelIfLi16ELi16ELi32ELi32ELi8ELi32ELi8ELi8ELi32ELc67ELc78EKPKfS3_KPfEEvlllT_PT11_llS8_llS6_PT12_llPT13_lli,"axG",@progbits,_ZN12_GLOBAL__N_135rocblas_gemm_batched_general_kernelIfLi16ELi16ELi32ELi32ELi8ELi32ELi8ELi8ELi32ELc67ELc78EKPKfS3_KPfEEvlllT_PT11_llS8_llS6_PT12_llPT13_lli,comdat
.Lfunc_end199:
	.size	_ZN12_GLOBAL__N_135rocblas_gemm_batched_general_kernelIfLi16ELi16ELi32ELi32ELi8ELi32ELi8ELi8ELi32ELc67ELc78EKPKfS3_KPfEEvlllT_PT11_llS8_llS6_PT12_llPT13_lli, .Lfunc_end199-_ZN12_GLOBAL__N_135rocblas_gemm_batched_general_kernelIfLi16ELi16ELi32ELi32ELi8ELi32ELi8ELi8ELi32ELc67ELc78EKPKfS3_KPfEEvlllT_PT11_llS8_llS6_PT12_llPT13_lli
                                        ; -- End function
	.set _ZN12_GLOBAL__N_135rocblas_gemm_batched_general_kernelIfLi16ELi16ELi32ELi32ELi8ELi32ELi8ELi8ELi32ELc67ELc78EKPKfS3_KPfEEvlllT_PT11_llS8_llS6_PT12_llPT13_lli.num_vgpr, 54
	.set _ZN12_GLOBAL__N_135rocblas_gemm_batched_general_kernelIfLi16ELi16ELi32ELi32ELi8ELi32ELi8ELi8ELi32ELc67ELc78EKPKfS3_KPfEEvlllT_PT11_llS8_llS6_PT12_llPT13_lli.num_agpr, 0
	.set _ZN12_GLOBAL__N_135rocblas_gemm_batched_general_kernelIfLi16ELi16ELi32ELi32ELi8ELi32ELi8ELi8ELi32ELc67ELc78EKPKfS3_KPfEEvlllT_PT11_llS8_llS6_PT12_llPT13_lli.numbered_sgpr, 42
	.set _ZN12_GLOBAL__N_135rocblas_gemm_batched_general_kernelIfLi16ELi16ELi32ELi32ELi8ELi32ELi8ELi8ELi32ELc67ELc78EKPKfS3_KPfEEvlllT_PT11_llS8_llS6_PT12_llPT13_lli.num_named_barrier, 0
	.set _ZN12_GLOBAL__N_135rocblas_gemm_batched_general_kernelIfLi16ELi16ELi32ELi32ELi8ELi32ELi8ELi8ELi32ELc67ELc78EKPKfS3_KPfEEvlllT_PT11_llS8_llS6_PT12_llPT13_lli.private_seg_size, 0
	.set _ZN12_GLOBAL__N_135rocblas_gemm_batched_general_kernelIfLi16ELi16ELi32ELi32ELi8ELi32ELi8ELi8ELi32ELc67ELc78EKPKfS3_KPfEEvlllT_PT11_llS8_llS6_PT12_llPT13_lli.uses_vcc, 1
	.set _ZN12_GLOBAL__N_135rocblas_gemm_batched_general_kernelIfLi16ELi16ELi32ELi32ELi8ELi32ELi8ELi8ELi32ELc67ELc78EKPKfS3_KPfEEvlllT_PT11_llS8_llS6_PT12_llPT13_lli.uses_flat_scratch, 0
	.set _ZN12_GLOBAL__N_135rocblas_gemm_batched_general_kernelIfLi16ELi16ELi32ELi32ELi8ELi32ELi8ELi8ELi32ELc67ELc78EKPKfS3_KPfEEvlllT_PT11_llS8_llS6_PT12_llPT13_lli.has_dyn_sized_stack, 0
	.set _ZN12_GLOBAL__N_135rocblas_gemm_batched_general_kernelIfLi16ELi16ELi32ELi32ELi8ELi32ELi8ELi8ELi32ELc67ELc78EKPKfS3_KPfEEvlllT_PT11_llS8_llS6_PT12_llPT13_lli.has_recursion, 0
	.set _ZN12_GLOBAL__N_135rocblas_gemm_batched_general_kernelIfLi16ELi16ELi32ELi32ELi8ELi32ELi8ELi8ELi32ELc67ELc78EKPKfS3_KPfEEvlllT_PT11_llS8_llS6_PT12_llPT13_lli.has_indirect_call, 0
	.section	.AMDGPU.csdata,"",@progbits
; Kernel info:
; codeLenInByte = 1644
; TotalNumSgprs: 48
; NumVgprs: 54
; NumAgprs: 0
; TotalNumVgprs: 54
; ScratchSize: 0
; MemoryBound: 0
; FloatMode: 240
; IeeeMode: 1
; LDSByteSize: 2048 bytes/workgroup (compile time only)
; SGPRBlocks: 5
; VGPRBlocks: 6
; NumSGPRsForWavesPerEU: 48
; NumVGPRsForWavesPerEU: 54
; AccumOffset: 56
; Occupancy: 8
; WaveLimiterHint : 1
; COMPUTE_PGM_RSRC2:SCRATCH_EN: 0
; COMPUTE_PGM_RSRC2:USER_SGPR: 2
; COMPUTE_PGM_RSRC2:TRAP_HANDLER: 0
; COMPUTE_PGM_RSRC2:TGID_X_EN: 1
; COMPUTE_PGM_RSRC2:TGID_Y_EN: 1
; COMPUTE_PGM_RSRC2:TGID_Z_EN: 1
; COMPUTE_PGM_RSRC2:TIDIG_COMP_CNT: 1
; COMPUTE_PGM_RSRC3_GFX90A:ACCUM_OFFSET: 13
; COMPUTE_PGM_RSRC3_GFX90A:TG_SPLIT: 0
	.section	.text._ZN12_GLOBAL__N_135rocblas_gemm_batched_general_kernelIfLi16ELi16ELi32ELi32ELi8ELi32ELi8ELi8ELi32ELc67ELc84EKPKfS3_KPfEEvlllT_PT11_llS8_llS6_PT12_llPT13_lli,"axG",@progbits,_ZN12_GLOBAL__N_135rocblas_gemm_batched_general_kernelIfLi16ELi16ELi32ELi32ELi8ELi32ELi8ELi8ELi32ELc67ELc84EKPKfS3_KPfEEvlllT_PT11_llS8_llS6_PT12_llPT13_lli,comdat
	.globl	_ZN12_GLOBAL__N_135rocblas_gemm_batched_general_kernelIfLi16ELi16ELi32ELi32ELi8ELi32ELi8ELi8ELi32ELc67ELc84EKPKfS3_KPfEEvlllT_PT11_llS8_llS6_PT12_llPT13_lli ; -- Begin function _ZN12_GLOBAL__N_135rocblas_gemm_batched_general_kernelIfLi16ELi16ELi32ELi32ELi8ELi32ELi8ELi8ELi32ELc67ELc84EKPKfS3_KPfEEvlllT_PT11_llS8_llS6_PT12_llPT13_lli
	.p2align	8
	.type	_ZN12_GLOBAL__N_135rocblas_gemm_batched_general_kernelIfLi16ELi16ELi32ELi32ELi8ELi32ELi8ELi8ELi32ELc67ELc84EKPKfS3_KPfEEvlllT_PT11_llS8_llS6_PT12_llPT13_lli,@function
_ZN12_GLOBAL__N_135rocblas_gemm_batched_general_kernelIfLi16ELi16ELi32ELi32ELi8ELi32ELi8ELi8ELi32ELc67ELc84EKPKfS3_KPfEEvlllT_PT11_llS8_llS6_PT12_llPT13_lli: ; @_ZN12_GLOBAL__N_135rocblas_gemm_batched_general_kernelIfLi16ELi16ELi32ELi32ELi8ELi32ELi8ELi8ELi32ELc67ELc84EKPKfS3_KPfEEvlllT_PT11_llS8_llS6_PT12_llPT13_lli
; %bb.0:
	s_load_dwordx4 s[28:31], s[0:1], 0x0
	s_load_dwordx2 s[34:35], s[0:1], 0x10
	s_load_dwordx4 s[24:27], s[0:1], 0x78
	s_load_dwordx8 s[8:15], s[0:1], 0x58
	s_mov_b32 s5, 0
	s_lshl_b64 s[4:5], s[4:5], 3
	s_mov_b32 s42, s3
	v_mov_b32_e32 v7, 0
	s_waitcnt lgkmcnt(0)
	s_add_u32 s6, s8, s4
	s_addc_u32 s7, s9, s5
	s_add_u32 s8, s14, s4
	s_addc_u32 s9, s15, s5
	s_load_dwordx2 s[6:7], s[6:7], 0x0
	s_ashr_i32 s3, s2, 31
	s_load_dwordx2 s[14:15], s[8:9], 0x0
	s_lshl_b64 s[8:9], s[2:3], 5
	s_ashr_i32 s43, s42, 31
	v_cmp_lt_i64_e64 s[2:3], s[34:35], 1
	v_and_b32_e32 v2, 0x3ff, v0
	v_bfe_u32 v6, v0, 10, 10
	v_mov_b32_e32 v3, v7
	s_lshl_b64 s[40:41], s[42:43], 5
	s_and_b64 vcc, exec, s[2:3]
	v_mov_b32_e32 v5, v7
	v_mov_b32_e32 v4, v7
	;; [unrolled: 1-line block ×4, first 2 shown]
	s_cbranch_vccnz .LBB200_7
; %bb.1:
	s_load_dwordx8 s[16:23], s[0:1], 0x20
	s_load_dwordx4 s[36:39], s[0:1], 0x40
	v_lshl_add_u32 v12, v6, 4, v2
	v_mov_b32_e32 v9, 0
	v_lshrrev_b32_e32 v0, 3, v12
	s_waitcnt lgkmcnt(0)
	s_add_u32 s2, s22, s4
	s_addc_u32 s3, s23, s5
	v_mov_b32_e32 v1, v9
	v_and_b32_e32 v10, 7, v2
	s_load_dwordx2 s[22:23], s[2:3], 0x0
	s_add_u32 s2, s16, s4
	v_lshl_add_u64 v[4:5], v[0:1], 0, s[40:41]
	v_and_b32_e32 v14, 31, v12
	v_lshrrev_b32_e32 v8, 5, v12
	s_addc_u32 s3, s17, s5
	v_or_b32_e32 v12, s8, v14
	v_mov_b32_e32 v13, s9
	v_cmp_gt_i64_e64 s[4:5], s[30:31], v[4:5]
	v_mad_u64_u32 v[4:5], s[16:17], s36, v10, 0
	s_load_dwordx2 s[44:45], s[2:3], 0x0
	v_cmp_gt_i64_e64 s[2:3], s[28:29], v[12:13]
	v_mov_b32_e32 v12, v5
	v_lshlrev_b32_e32 v1, 2, v14
	v_mad_u64_u32 v[12:13], s[16:17], s37, v10, v[12:13]
	v_lshl_or_b32 v18, v8, 7, v1
	v_lshlrev_b32_e32 v1, 2, v10
	s_lshl_b64 s[16:17], s[42:43], 7
	s_lshl_b64 s[38:39], s[38:39], 2
	v_lshl_or_b32 v1, v0, 5, v1
	s_add_u32 s16, s38, s16
	v_add_u32_e32 v19, 0x400, v1
	v_mov_b32_e32 v1, 0x400
	v_mov_b32_e32 v5, v12
	s_addc_u32 s17, s39, s17
	v_lshl_add_u32 v21, v6, 5, v1
	v_lshl_add_u64 v[4:5], v[4:5], 2, s[16:17]
	v_lshlrev_b32_e32 v0, 2, v0
	v_mov_b32_e32 v1, v9
	v_mov_b32_e32 v15, v9
	v_lshl_add_u64 v[0:1], v[4:5], 0, v[0:1]
	s_waitcnt lgkmcnt(0)
	v_lshl_add_u64 v[12:13], s[22:23], 0, v[0:1]
	v_lshl_add_u64 v[0:1], s[8:9], 0, v[14:15]
	v_mul_lo_u32 v4, s19, v0
	v_mul_lo_u32 v5, s18, v1
	v_mad_u64_u32 v[0:1], s[18:19], s18, v0, 0
	v_add3_u32 v1, v1, v5, v4
	s_lshl_b64 s[18:19], s[20:21], 2
	v_lshl_add_u64 v[0:1], v[0:1], 2, s[18:19]
	v_lshlrev_b32_e32 v4, 2, v8
	v_mov_b32_e32 v5, v9
	v_lshl_add_u64 v[0:1], v[0:1], 0, v[4:5]
	v_mov_b32_e32 v11, v9
	v_lshlrev_b32_e32 v20, 2, v2
	s_lshl_b64 s[16:17], s[36:37], 5
	v_lshl_add_u64 v[14:15], s[44:45], 0, v[0:1]
	s_mov_b64 s[18:19], 0
	v_mov_b64_e32 v[16:17], s[34:35]
	v_mov_b32_e32 v4, v9
	v_mov_b32_e32 v0, v9
	;; [unrolled: 1-line block ×3, first 2 shown]
	s_branch .LBB200_3
.LBB200_2:                              ;   in Loop: Header=BB200_3 Depth=1
	s_or_b64 exec, exec, s[20:21]
	s_waitcnt vmcnt(0) lgkmcnt(0)
	ds_write_b32 v19, v22
	s_waitcnt lgkmcnt(0)
	s_barrier
	ds_read_b128 v[22:25], v21
	ds_read_b128 v[26:29], v21 offset:16
	ds_read2_b32 v[38:39], v20 offset1:16
	ds_read2_b32 v[40:41], v20 offset0:32 offset1:48
	ds_read2_b32 v[42:43], v20 offset0:64 offset1:80
	;; [unrolled: 1-line block ×4, first 2 shown]
	ds_read_b128 v[30:33], v21 offset:512
	ds_read_b128 v[34:37], v21 offset:528
	ds_read2_b32 v[48:49], v20 offset0:160 offset1:176
	ds_read2_b32 v[50:51], v20 offset0:192 offset1:208
	;; [unrolled: 1-line block ×3, first 2 shown]
	s_waitcnt lgkmcnt(9)
	v_pk_fma_f32 v[4:5], v[38:39], v[22:23], v[4:5] op_sel_hi:[1,0,1]
	s_waitcnt lgkmcnt(4)
	v_pk_fma_f32 v[0:1], v[38:39], v[30:31], v[0:1] op_sel_hi:[1,0,1]
	v_pk_fma_f32 v[4:5], v[40:41], v[22:23], v[4:5] op_sel:[0,1,0]
	v_mov_b32_e32 v22, v25
	v_pk_fma_f32 v[4:5], v[42:43], v[24:25], v[4:5] op_sel_hi:[1,0,1]
	v_pk_fma_f32 v[0:1], v[40:41], v[30:31], v[0:1] op_sel:[0,1,0]
	v_pk_fma_f32 v[4:5], v[44:45], v[22:23], v[4:5] op_sel_hi:[1,0,1]
	v_mov_b32_e32 v22, v29
	v_pk_fma_f32 v[4:5], v[46:47], v[26:27], v[4:5] op_sel_hi:[1,0,1]
	v_pk_fma_f32 v[0:1], v[42:43], v[32:33], v[0:1] op_sel_hi:[1,0,1]
	s_waitcnt lgkmcnt(2)
	v_pk_fma_f32 v[4:5], v[48:49], v[26:27], v[4:5] op_sel:[0,1,0]
	s_add_u32 s18, s18, 8
	s_waitcnt lgkmcnt(1)
	v_pk_fma_f32 v[4:5], v[50:51], v[28:29], v[4:5] op_sel_hi:[1,0,1]
	s_addc_u32 s19, s19, 0
	s_waitcnt lgkmcnt(0)
	v_pk_fma_f32 v[4:5], v[52:53], v[22:23], v[4:5] op_sel_hi:[1,0,1]
	v_mov_b32_e32 v22, v33
	v_pk_fma_f32 v[0:1], v[44:45], v[22:23], v[0:1] op_sel_hi:[1,0,1]
	v_mov_b32_e32 v22, v37
	v_pk_fma_f32 v[0:1], v[46:47], v[34:35], v[0:1] op_sel_hi:[1,0,1]
	v_cmp_lt_i64_e32 vcc, s[18:19], v[16:17]
	v_pk_fma_f32 v[0:1], v[48:49], v[34:35], v[0:1] op_sel:[0,1,0]
	v_lshl_add_u64 v[12:13], v[12:13], 0, s[16:17]
	v_pk_fma_f32 v[0:1], v[50:51], v[36:37], v[0:1] op_sel_hi:[1,0,1]
	v_lshl_add_u64 v[14:15], v[14:15], 0, 32
	v_pk_fma_f32 v[0:1], v[52:53], v[22:23], v[0:1] op_sel_hi:[1,0,1]
	s_barrier
	s_cbranch_vccz .LBB200_7
.LBB200_3:                              ; =>This Inner Loop Header: Depth=1
	v_lshl_add_u64 v[22:23], v[8:9], 0, s[18:19]
	v_cmp_gt_i64_e32 vcc, s[34:35], v[22:23]
	s_and_b64 s[22:23], s[2:3], vcc
	v_mov_b32_e32 v22, 0
	s_and_saveexec_b64 s[20:21], s[22:23]
	s_cbranch_execz .LBB200_5
; %bb.4:                                ;   in Loop: Header=BB200_3 Depth=1
	flat_load_dword v22, v[14:15]
.LBB200_5:                              ;   in Loop: Header=BB200_3 Depth=1
	s_or_b64 exec, exec, s[20:21]
	s_waitcnt vmcnt(0) lgkmcnt(0)
	ds_write_b32 v18, v22
	v_lshl_add_u64 v[22:23], v[10:11], 0, s[18:19]
	v_cmp_gt_i64_e32 vcc, s[34:35], v[22:23]
	s_and_b64 s[22:23], vcc, s[4:5]
	v_mov_b32_e32 v22, 0
	s_and_saveexec_b64 s[20:21], s[22:23]
	s_cbranch_execz .LBB200_2
; %bb.6:                                ;   in Loop: Header=BB200_3 Depth=1
	flat_load_dword v22, v[12:13]
	s_branch .LBB200_2
.LBB200_7:
	s_load_dword s16, s[0:1], 0x18
	s_load_dword s17, s[0:1], 0x50
	s_lshl_b64 s[0:1], s[26:27], 2
	s_waitcnt lgkmcnt(0)
	s_add_u32 s14, s14, s0
	v_lshl_add_u64 v[6:7], s[40:41], 0, v[6:7]
	s_addc_u32 s15, s15, s1
	v_cmp_neq_f32_e64 s[2:3], s17, 0
	v_cmp_gt_i64_e64 s[0:1], s[30:31], v[6:7]
	s_and_b64 vcc, exec, s[2:3]
	s_cbranch_vccnz .LBB200_20
; %bb.8:
	s_and_saveexec_b64 s[18:19], s[0:1]
	s_cbranch_execz .LBB200_18
; %bb.9:
	v_mul_lo_u32 v12, v7, s24
	v_mul_lo_u32 v13, v6, s25
	v_mad_u64_u32 v[10:11], s[2:3], v6, s24, 0
	v_add3_u32 v11, v11, v13, v12
	v_lshl_add_u64 v[8:9], s[8:9], 0, v[2:3]
	v_lshl_add_u64 v[10:11], v[10:11], 2, s[14:15]
	v_cmp_gt_i64_e32 vcc, s[28:29], v[8:9]
	v_lshl_add_u64 v[12:13], v[8:9], 2, v[10:11]
	s_and_saveexec_b64 s[2:3], vcc
	s_cbranch_execz .LBB200_11
; %bb.10:
	v_mul_f32_e32 v14, s16, v4
	flat_store_dword v[12:13], v14
.LBB200_11:
	s_or_b64 exec, exec, s[2:3]
	v_lshl_add_u64 v[14:15], v[8:9], 0, 16
	v_cmp_gt_i64_e64 s[2:3], s[28:29], v[14:15]
	s_and_saveexec_b64 s[4:5], s[2:3]
	s_cbranch_execz .LBB200_13
; %bb.12:
	v_mul_f32_e32 v14, s16, v5
	flat_store_dword v[12:13], v14 offset:64
.LBB200_13:
	s_or_b64 exec, exec, s[4:5]
	v_lshl_add_u64 v[12:13], v[6:7], 0, 16
	v_cmp_gt_i64_e64 s[4:5], s[30:31], v[12:13]
	s_and_b64 exec, exec, s[4:5]
	s_cbranch_execz .LBB200_18
; %bb.14:
	s_lshl_b64 s[4:5], s[24:25], 6
	v_lshl_add_u64 v[10:11], v[10:11], 0, s[4:5]
	v_lshl_add_u64 v[8:9], v[8:9], 2, v[10:11]
	s_and_saveexec_b64 s[4:5], vcc
	s_cbranch_execz .LBB200_16
; %bb.15:
	v_mul_f32_e32 v10, s16, v0
	flat_store_dword v[8:9], v10
.LBB200_16:
	s_or_b64 exec, exec, s[4:5]
	s_and_b64 exec, exec, s[2:3]
	s_cbranch_execz .LBB200_18
; %bb.17:
	v_mul_f32_e32 v10, s16, v1
	flat_store_dword v[8:9], v10 offset:64
.LBB200_18:
	s_or_b64 exec, exec, s[18:19]
	s_cbranch_execz .LBB200_21
.LBB200_19:
	s_endpgm
.LBB200_20:
.LBB200_21:
	s_and_saveexec_b64 s[2:3], s[0:1]
	s_cbranch_execz .LBB200_19
; %bb.22:
	s_lshl_b64 s[0:1], s[12:13], 2
	v_lshl_add_u64 v[12:13], s[8:9], 0, v[2:3]
	v_mul_lo_u32 v8, v7, s10
	v_mul_lo_u32 v9, v6, s11
	v_mad_u64_u32 v[2:3], s[2:3], v6, s10, 0
	s_add_u32 s0, s6, s0
	v_add3_u32 v3, v3, v9, v8
	v_mul_lo_u32 v10, v7, s24
	v_mul_lo_u32 v11, v6, s25
	v_mad_u64_u32 v[8:9], s[2:3], v6, s24, 0
	s_addc_u32 s1, s7, s1
	v_add3_u32 v9, v9, v11, v10
	v_cmp_gt_i64_e32 vcc, s[28:29], v[12:13]
	v_lshl_add_u64 v[10:11], v[2:3], 2, s[0:1]
	v_lshl_add_u64 v[8:9], v[8:9], 2, s[14:15]
	v_lshlrev_b64 v[2:3], 2, v[12:13]
	s_and_saveexec_b64 s[0:1], vcc
	s_cbranch_execz .LBB200_24
; %bb.23:
	v_lshl_add_u64 v[14:15], v[10:11], 0, v[2:3]
	flat_load_dword v15, v[14:15]
	v_mov_b32_e32 v14, v4
	s_waitcnt vmcnt(0) lgkmcnt(0)
	v_pk_mul_f32 v[14:15], s[16:17], v[14:15]
	s_nop 0
	v_add_f32_e32 v4, v14, v15
	v_lshl_add_u64 v[14:15], v[8:9], 0, v[2:3]
	flat_store_dword v[14:15], v4
.LBB200_24:
	s_or_b64 exec, exec, s[0:1]
	v_lshl_add_u64 v[12:13], v[12:13], 0, 16
	v_cmp_gt_i64_e64 s[0:1], s[28:29], v[12:13]
	s_and_saveexec_b64 s[2:3], s[0:1]
	s_cbranch_execz .LBB200_26
; %bb.25:
	v_lshl_add_u64 v[12:13], v[10:11], 0, v[2:3]
	flat_load_dword v13, v[12:13] offset:64
	v_mov_b32_e32 v12, v5
	s_waitcnt vmcnt(0) lgkmcnt(0)
	v_pk_mul_f32 v[4:5], s[16:17], v[12:13]
	s_nop 0
	v_add_f32_e32 v12, v4, v5
	v_lshl_add_u64 v[4:5], v[8:9], 0, v[2:3]
	flat_store_dword v[4:5], v12 offset:64
.LBB200_26:
	s_or_b64 exec, exec, s[2:3]
	v_lshl_add_u64 v[4:5], v[6:7], 0, 16
	v_cmp_gt_i64_e64 s[2:3], s[30:31], v[4:5]
	s_and_b64 exec, exec, s[2:3]
	s_cbranch_execz .LBB200_19
; %bb.27:
	s_lshl_b64 s[2:3], s[10:11], 6
	v_lshl_add_u64 v[4:5], v[10:11], 0, s[2:3]
	s_lshl_b64 s[2:3], s[24:25], 6
	v_lshl_add_u64 v[6:7], v[8:9], 0, s[2:3]
	v_lshl_add_u64 v[4:5], v[4:5], 0, v[2:3]
	;; [unrolled: 1-line block ×3, first 2 shown]
	s_and_saveexec_b64 s[2:3], vcc
	s_cbranch_execz .LBB200_29
; %bb.28:
	flat_load_dword v7, v[4:5]
	v_mov_b32_e32 v6, v0
	s_waitcnt vmcnt(0) lgkmcnt(0)
	v_pk_mul_f32 v[6:7], s[16:17], v[6:7]
	s_nop 0
	v_add_f32_e32 v0, v6, v7
	flat_store_dword v[2:3], v0
.LBB200_29:
	s_or_b64 exec, exec, s[2:3]
	s_and_b64 exec, exec, s[0:1]
	s_cbranch_execz .LBB200_19
; %bb.30:
	flat_load_dword v5, v[4:5] offset:64
	v_mov_b32_e32 v4, v1
	s_waitcnt vmcnt(0) lgkmcnt(0)
	v_pk_mul_f32 v[0:1], s[16:17], v[4:5]
	s_nop 0
	v_add_f32_e32 v0, v0, v1
	flat_store_dword v[2:3], v0 offset:64
	s_endpgm
	.section	.rodata,"a",@progbits
	.p2align	6, 0x0
	.amdhsa_kernel _ZN12_GLOBAL__N_135rocblas_gemm_batched_general_kernelIfLi16ELi16ELi32ELi32ELi8ELi32ELi8ELi8ELi32ELc67ELc84EKPKfS3_KPfEEvlllT_PT11_llS8_llS6_PT12_llPT13_lli
		.amdhsa_group_segment_fixed_size 2048
		.amdhsa_private_segment_fixed_size 0
		.amdhsa_kernarg_size 140
		.amdhsa_user_sgpr_count 2
		.amdhsa_user_sgpr_dispatch_ptr 0
		.amdhsa_user_sgpr_queue_ptr 0
		.amdhsa_user_sgpr_kernarg_segment_ptr 1
		.amdhsa_user_sgpr_dispatch_id 0
		.amdhsa_user_sgpr_kernarg_preload_length 0
		.amdhsa_user_sgpr_kernarg_preload_offset 0
		.amdhsa_user_sgpr_private_segment_size 0
		.amdhsa_uses_dynamic_stack 0
		.amdhsa_enable_private_segment 0
		.amdhsa_system_sgpr_workgroup_id_x 1
		.amdhsa_system_sgpr_workgroup_id_y 1
		.amdhsa_system_sgpr_workgroup_id_z 1
		.amdhsa_system_sgpr_workgroup_info 0
		.amdhsa_system_vgpr_workitem_id 1
		.amdhsa_next_free_vgpr 54
		.amdhsa_next_free_sgpr 46
		.amdhsa_accum_offset 56
		.amdhsa_reserve_vcc 1
		.amdhsa_float_round_mode_32 0
		.amdhsa_float_round_mode_16_64 0
		.amdhsa_float_denorm_mode_32 3
		.amdhsa_float_denorm_mode_16_64 3
		.amdhsa_dx10_clamp 1
		.amdhsa_ieee_mode 1
		.amdhsa_fp16_overflow 0
		.amdhsa_tg_split 0
		.amdhsa_exception_fp_ieee_invalid_op 0
		.amdhsa_exception_fp_denorm_src 0
		.amdhsa_exception_fp_ieee_div_zero 0
		.amdhsa_exception_fp_ieee_overflow 0
		.amdhsa_exception_fp_ieee_underflow 0
		.amdhsa_exception_fp_ieee_inexact 0
		.amdhsa_exception_int_div_zero 0
	.end_amdhsa_kernel
	.section	.text._ZN12_GLOBAL__N_135rocblas_gemm_batched_general_kernelIfLi16ELi16ELi32ELi32ELi8ELi32ELi8ELi8ELi32ELc67ELc84EKPKfS3_KPfEEvlllT_PT11_llS8_llS6_PT12_llPT13_lli,"axG",@progbits,_ZN12_GLOBAL__N_135rocblas_gemm_batched_general_kernelIfLi16ELi16ELi32ELi32ELi8ELi32ELi8ELi8ELi32ELc67ELc84EKPKfS3_KPfEEvlllT_PT11_llS8_llS6_PT12_llPT13_lli,comdat
.Lfunc_end200:
	.size	_ZN12_GLOBAL__N_135rocblas_gemm_batched_general_kernelIfLi16ELi16ELi32ELi32ELi8ELi32ELi8ELi8ELi32ELc67ELc84EKPKfS3_KPfEEvlllT_PT11_llS8_llS6_PT12_llPT13_lli, .Lfunc_end200-_ZN12_GLOBAL__N_135rocblas_gemm_batched_general_kernelIfLi16ELi16ELi32ELi32ELi8ELi32ELi8ELi8ELi32ELc67ELc84EKPKfS3_KPfEEvlllT_PT11_llS8_llS6_PT12_llPT13_lli
                                        ; -- End function
	.set _ZN12_GLOBAL__N_135rocblas_gemm_batched_general_kernelIfLi16ELi16ELi32ELi32ELi8ELi32ELi8ELi8ELi32ELc67ELc84EKPKfS3_KPfEEvlllT_PT11_llS8_llS6_PT12_llPT13_lli.num_vgpr, 54
	.set _ZN12_GLOBAL__N_135rocblas_gemm_batched_general_kernelIfLi16ELi16ELi32ELi32ELi8ELi32ELi8ELi8ELi32ELc67ELc84EKPKfS3_KPfEEvlllT_PT11_llS8_llS6_PT12_llPT13_lli.num_agpr, 0
	.set _ZN12_GLOBAL__N_135rocblas_gemm_batched_general_kernelIfLi16ELi16ELi32ELi32ELi8ELi32ELi8ELi8ELi32ELc67ELc84EKPKfS3_KPfEEvlllT_PT11_llS8_llS6_PT12_llPT13_lli.numbered_sgpr, 46
	.set _ZN12_GLOBAL__N_135rocblas_gemm_batched_general_kernelIfLi16ELi16ELi32ELi32ELi8ELi32ELi8ELi8ELi32ELc67ELc84EKPKfS3_KPfEEvlllT_PT11_llS8_llS6_PT12_llPT13_lli.num_named_barrier, 0
	.set _ZN12_GLOBAL__N_135rocblas_gemm_batched_general_kernelIfLi16ELi16ELi32ELi32ELi8ELi32ELi8ELi8ELi32ELc67ELc84EKPKfS3_KPfEEvlllT_PT11_llS8_llS6_PT12_llPT13_lli.private_seg_size, 0
	.set _ZN12_GLOBAL__N_135rocblas_gemm_batched_general_kernelIfLi16ELi16ELi32ELi32ELi8ELi32ELi8ELi8ELi32ELc67ELc84EKPKfS3_KPfEEvlllT_PT11_llS8_llS6_PT12_llPT13_lli.uses_vcc, 1
	.set _ZN12_GLOBAL__N_135rocblas_gemm_batched_general_kernelIfLi16ELi16ELi32ELi32ELi8ELi32ELi8ELi8ELi32ELc67ELc84EKPKfS3_KPfEEvlllT_PT11_llS8_llS6_PT12_llPT13_lli.uses_flat_scratch, 0
	.set _ZN12_GLOBAL__N_135rocblas_gemm_batched_general_kernelIfLi16ELi16ELi32ELi32ELi8ELi32ELi8ELi8ELi32ELc67ELc84EKPKfS3_KPfEEvlllT_PT11_llS8_llS6_PT12_llPT13_lli.has_dyn_sized_stack, 0
	.set _ZN12_GLOBAL__N_135rocblas_gemm_batched_general_kernelIfLi16ELi16ELi32ELi32ELi8ELi32ELi8ELi8ELi32ELc67ELc84EKPKfS3_KPfEEvlllT_PT11_llS8_llS6_PT12_llPT13_lli.has_recursion, 0
	.set _ZN12_GLOBAL__N_135rocblas_gemm_batched_general_kernelIfLi16ELi16ELi32ELi32ELi8ELi32ELi8ELi8ELi32ELc67ELc84EKPKfS3_KPfEEvlllT_PT11_llS8_llS6_PT12_llPT13_lli.has_indirect_call, 0
	.section	.AMDGPU.csdata,"",@progbits
; Kernel info:
; codeLenInByte = 1656
; TotalNumSgprs: 52
; NumVgprs: 54
; NumAgprs: 0
; TotalNumVgprs: 54
; ScratchSize: 0
; MemoryBound: 0
; FloatMode: 240
; IeeeMode: 1
; LDSByteSize: 2048 bytes/workgroup (compile time only)
; SGPRBlocks: 6
; VGPRBlocks: 6
; NumSGPRsForWavesPerEU: 52
; NumVGPRsForWavesPerEU: 54
; AccumOffset: 56
; Occupancy: 8
; WaveLimiterHint : 1
; COMPUTE_PGM_RSRC2:SCRATCH_EN: 0
; COMPUTE_PGM_RSRC2:USER_SGPR: 2
; COMPUTE_PGM_RSRC2:TRAP_HANDLER: 0
; COMPUTE_PGM_RSRC2:TGID_X_EN: 1
; COMPUTE_PGM_RSRC2:TGID_Y_EN: 1
; COMPUTE_PGM_RSRC2:TGID_Z_EN: 1
; COMPUTE_PGM_RSRC2:TIDIG_COMP_CNT: 1
; COMPUTE_PGM_RSRC3_GFX90A:ACCUM_OFFSET: 13
; COMPUTE_PGM_RSRC3_GFX90A:TG_SPLIT: 0
	.section	.text._ZN12_GLOBAL__N_135rocblas_gemm_batched_general_kernelIfLi16ELi16ELi32ELi32ELi8ELi32ELi8ELi8ELi32ELc78ELc67EKPKfS3_KPfEEvlllT_PT11_llS8_llS6_PT12_llPT13_lli,"axG",@progbits,_ZN12_GLOBAL__N_135rocblas_gemm_batched_general_kernelIfLi16ELi16ELi32ELi32ELi8ELi32ELi8ELi8ELi32ELc78ELc67EKPKfS3_KPfEEvlllT_PT11_llS8_llS6_PT12_llPT13_lli,comdat
	.globl	_ZN12_GLOBAL__N_135rocblas_gemm_batched_general_kernelIfLi16ELi16ELi32ELi32ELi8ELi32ELi8ELi8ELi32ELc78ELc67EKPKfS3_KPfEEvlllT_PT11_llS8_llS6_PT12_llPT13_lli ; -- Begin function _ZN12_GLOBAL__N_135rocblas_gemm_batched_general_kernelIfLi16ELi16ELi32ELi32ELi8ELi32ELi8ELi8ELi32ELc78ELc67EKPKfS3_KPfEEvlllT_PT11_llS8_llS6_PT12_llPT13_lli
	.p2align	8
	.type	_ZN12_GLOBAL__N_135rocblas_gemm_batched_general_kernelIfLi16ELi16ELi32ELi32ELi8ELi32ELi8ELi8ELi32ELc78ELc67EKPKfS3_KPfEEvlllT_PT11_llS8_llS6_PT12_llPT13_lli,@function
_ZN12_GLOBAL__N_135rocblas_gemm_batched_general_kernelIfLi16ELi16ELi32ELi32ELi8ELi32ELi8ELi8ELi32ELc78ELc67EKPKfS3_KPfEEvlllT_PT11_llS8_llS6_PT12_llPT13_lli: ; @_ZN12_GLOBAL__N_135rocblas_gemm_batched_general_kernelIfLi16ELi16ELi32ELi32ELi8ELi32ELi8ELi8ELi32ELc78ELc67EKPKfS3_KPfEEvlllT_PT11_llS8_llS6_PT12_llPT13_lli
; %bb.0:
	s_load_dwordx4 s[28:31], s[0:1], 0x0
	s_load_dwordx2 s[34:35], s[0:1], 0x10
	s_load_dwordx4 s[24:27], s[0:1], 0x78
	s_load_dwordx8 s[8:15], s[0:1], 0x58
	s_mov_b32 s5, 0
	s_lshl_b64 s[4:5], s[4:5], 3
	s_mov_b32 s44, s3
	v_mov_b32_e32 v7, 0
	s_waitcnt lgkmcnt(0)
	s_add_u32 s6, s8, s4
	s_addc_u32 s7, s9, s5
	s_load_dwordx2 s[8:9], s[6:7], 0x0
	s_add_u32 s6, s14, s4
	s_addc_u32 s7, s15, s5
	s_load_dwordx2 s[40:41], s[6:7], 0x0
	s_ashr_i32 s3, s2, 31
	s_ashr_i32 s45, s44, 31
	v_cmp_lt_i64_e64 s[6:7], s[34:35], 1
	v_and_b32_e32 v2, 0x3ff, v0
	v_bfe_u32 v6, v0, 10, 10
	v_mov_b32_e32 v3, v7
	s_lshl_b64 s[14:15], s[2:3], 5
	s_lshl_b64 s[42:43], s[44:45], 5
	s_and_b64 vcc, exec, s[6:7]
	v_mov_b32_e32 v5, v7
	v_mov_b32_e32 v4, v7
	;; [unrolled: 1-line block ×4, first 2 shown]
	s_cbranch_vccnz .LBB201_7
; %bb.1:
	s_load_dwordx8 s[16:23], s[0:1], 0x20
	s_load_dwordx4 s[36:39], s[0:1], 0x40
	v_lshl_add_u32 v12, v6, 4, v2
	v_mov_b32_e32 v9, 0
	v_lshrrev_b32_e32 v0, 3, v12
	s_waitcnt lgkmcnt(0)
	s_add_u32 s6, s22, s4
	s_addc_u32 s7, s23, s5
	s_add_u32 s4, s16, s4
	v_mov_b32_e32 v1, v9
	v_and_b32_e32 v10, 7, v2
	s_addc_u32 s5, s17, s5
	v_lshl_add_u64 v[4:5], v[0:1], 0, s[42:43]
	v_and_b32_e32 v1, 31, v12
	v_lshrrev_b32_e32 v8, 5, v12
	s_load_dwordx2 s[46:47], s[4:5], 0x0
	v_or_b32_e32 v12, s14, v1
	v_mov_b32_e32 v13, s15
	v_cmp_gt_i64_e64 s[4:5], s[30:31], v[4:5]
	v_mad_u64_u32 v[4:5], s[16:17], s36, v10, 0
	s_load_dwordx2 s[22:23], s[6:7], 0x0
	v_cmp_gt_i64_e64 s[6:7], s[28:29], v[12:13]
	v_mov_b32_e32 v12, v5
	v_mad_u64_u32 v[12:13], s[16:17], s37, v10, v[12:13]
	v_lshlrev_b32_e32 v14, 2, v1
	v_lshlrev_b32_e32 v1, 2, v10
	s_lshl_b64 s[16:17], s[44:45], 7
	s_lshl_b64 s[38:39], s[38:39], 2
	v_lshl_or_b32 v1, v0, 5, v1
	s_add_u32 s16, s38, s16
	v_add_u32_e32 v19, 0x400, v1
	v_mov_b32_e32 v1, 0x400
	v_mov_b32_e32 v5, v12
	s_addc_u32 s17, s39, s17
	v_lshl_add_u32 v21, v6, 5, v1
	v_lshl_add_u64 v[4:5], v[4:5], 2, s[16:17]
	v_lshlrev_b32_e32 v0, 2, v0
	v_mov_b32_e32 v1, v9
	v_lshl_add_u64 v[0:1], v[4:5], 0, v[0:1]
	s_waitcnt lgkmcnt(0)
	v_lshl_add_u64 v[12:13], s[22:23], 0, v[0:1]
	v_mad_u64_u32 v[0:1], s[22:23], s18, v8, 0
	s_lshl_b64 s[16:17], s[36:37], 5
	v_mov_b32_e32 v4, v1
	s_lshl_b64 s[2:3], s[2:3], 7
	s_lshl_b64 s[20:21], s[20:21], 2
	v_mad_u64_u32 v[4:5], s[22:23], s19, v8, v[4:5]
	s_add_u32 s2, s20, s2
	v_mov_b32_e32 v1, v4
	s_addc_u32 s3, s21, s3
	v_lshl_add_u64 v[0:1], v[0:1], 2, s[2:3]
	v_mov_b32_e32 v15, v9
	v_lshl_add_u64 v[0:1], v[0:1], 0, v[14:15]
	v_mov_b32_e32 v11, v9
	v_lshl_or_b32 v18, v8, 7, v14
	v_lshlrev_b32_e32 v20, 2, v2
	v_lshl_add_u64 v[14:15], s[46:47], 0, v[0:1]
	s_lshl_b64 s[2:3], s[18:19], 5
	s_mov_b64 s[18:19], 0
	v_mov_b64_e32 v[16:17], s[34:35]
	v_mov_b32_e32 v4, v9
	v_mov_b32_e32 v5, v9
	;; [unrolled: 1-line block ×4, first 2 shown]
	s_branch .LBB201_3
.LBB201_2:                              ;   in Loop: Header=BB201_3 Depth=1
	s_or_b64 exec, exec, s[20:21]
	s_waitcnt vmcnt(0) lgkmcnt(0)
	ds_write_b32 v19, v22
	s_waitcnt lgkmcnt(0)
	s_barrier
	ds_read_b128 v[22:25], v21
	ds_read_b128 v[26:29], v21 offset:16
	ds_read2_b32 v[38:39], v20 offset1:16
	ds_read2_b32 v[40:41], v20 offset0:32 offset1:48
	ds_read2_b32 v[42:43], v20 offset0:64 offset1:80
	ds_read2_b32 v[44:45], v20 offset0:96 offset1:112
	ds_read2_b32 v[46:47], v20 offset0:128 offset1:144
	ds_read_b128 v[30:33], v21 offset:512
	ds_read_b128 v[34:37], v21 offset:528
	ds_read2_b32 v[48:49], v20 offset0:160 offset1:176
	ds_read2_b32 v[50:51], v20 offset0:192 offset1:208
	;; [unrolled: 1-line block ×3, first 2 shown]
	s_waitcnt lgkmcnt(9)
	v_pk_fma_f32 v[4:5], v[38:39], v[22:23], v[4:5] op_sel_hi:[1,0,1]
	s_waitcnt lgkmcnt(4)
	v_pk_fma_f32 v[0:1], v[38:39], v[30:31], v[0:1] op_sel_hi:[1,0,1]
	v_pk_fma_f32 v[4:5], v[40:41], v[22:23], v[4:5] op_sel:[0,1,0]
	v_mov_b32_e32 v22, v25
	v_pk_fma_f32 v[4:5], v[42:43], v[24:25], v[4:5] op_sel_hi:[1,0,1]
	v_pk_fma_f32 v[0:1], v[40:41], v[30:31], v[0:1] op_sel:[0,1,0]
	v_pk_fma_f32 v[4:5], v[44:45], v[22:23], v[4:5] op_sel_hi:[1,0,1]
	v_mov_b32_e32 v22, v29
	v_pk_fma_f32 v[4:5], v[46:47], v[26:27], v[4:5] op_sel_hi:[1,0,1]
	v_pk_fma_f32 v[0:1], v[42:43], v[32:33], v[0:1] op_sel_hi:[1,0,1]
	s_waitcnt lgkmcnt(2)
	v_pk_fma_f32 v[4:5], v[48:49], v[26:27], v[4:5] op_sel:[0,1,0]
	s_add_u32 s18, s18, 8
	s_waitcnt lgkmcnt(1)
	v_pk_fma_f32 v[4:5], v[50:51], v[28:29], v[4:5] op_sel_hi:[1,0,1]
	s_addc_u32 s19, s19, 0
	s_waitcnt lgkmcnt(0)
	v_pk_fma_f32 v[4:5], v[52:53], v[22:23], v[4:5] op_sel_hi:[1,0,1]
	v_mov_b32_e32 v22, v33
	v_pk_fma_f32 v[0:1], v[44:45], v[22:23], v[0:1] op_sel_hi:[1,0,1]
	v_mov_b32_e32 v22, v37
	v_pk_fma_f32 v[0:1], v[46:47], v[34:35], v[0:1] op_sel_hi:[1,0,1]
	v_cmp_lt_i64_e32 vcc, s[18:19], v[16:17]
	v_pk_fma_f32 v[0:1], v[48:49], v[34:35], v[0:1] op_sel:[0,1,0]
	v_lshl_add_u64 v[12:13], v[12:13], 0, s[16:17]
	v_pk_fma_f32 v[0:1], v[50:51], v[36:37], v[0:1] op_sel_hi:[1,0,1]
	v_lshl_add_u64 v[14:15], v[14:15], 0, s[2:3]
	v_pk_fma_f32 v[0:1], v[52:53], v[22:23], v[0:1] op_sel_hi:[1,0,1]
	s_barrier
	s_cbranch_vccz .LBB201_7
.LBB201_3:                              ; =>This Inner Loop Header: Depth=1
	v_lshl_add_u64 v[22:23], v[8:9], 0, s[18:19]
	v_cmp_gt_i64_e32 vcc, s[34:35], v[22:23]
	s_and_b64 s[22:23], s[6:7], vcc
	v_mov_b32_e32 v22, 0
	s_and_saveexec_b64 s[20:21], s[22:23]
	s_cbranch_execz .LBB201_5
; %bb.4:                                ;   in Loop: Header=BB201_3 Depth=1
	flat_load_dword v22, v[14:15]
.LBB201_5:                              ;   in Loop: Header=BB201_3 Depth=1
	s_or_b64 exec, exec, s[20:21]
	s_waitcnt vmcnt(0) lgkmcnt(0)
	ds_write_b32 v18, v22
	v_lshl_add_u64 v[22:23], v[10:11], 0, s[18:19]
	v_cmp_gt_i64_e32 vcc, s[34:35], v[22:23]
	s_and_b64 s[22:23], vcc, s[4:5]
	v_mov_b32_e32 v22, 0
	s_and_saveexec_b64 s[20:21], s[22:23]
	s_cbranch_execz .LBB201_2
; %bb.6:                                ;   in Loop: Header=BB201_3 Depth=1
	flat_load_dword v22, v[12:13]
	s_branch .LBB201_2
.LBB201_7:
	s_load_dword s6, s[0:1], 0x18
	s_load_dword s7, s[0:1], 0x50
	s_lshl_b64 s[0:1], s[26:27], 2
	s_waitcnt lgkmcnt(0)
	s_add_u32 s16, s40, s0
	v_lshl_add_u64 v[6:7], s[42:43], 0, v[6:7]
	s_addc_u32 s17, s41, s1
	v_cmp_neq_f32_e64 s[2:3], s7, 0
	v_cmp_gt_i64_e64 s[0:1], s[30:31], v[6:7]
	s_and_b64 vcc, exec, s[2:3]
	s_cbranch_vccnz .LBB201_20
; %bb.8:
	s_and_saveexec_b64 s[18:19], s[0:1]
	s_cbranch_execz .LBB201_18
; %bb.9:
	v_mul_lo_u32 v12, v7, s24
	v_mul_lo_u32 v13, v6, s25
	v_mad_u64_u32 v[10:11], s[2:3], v6, s24, 0
	v_add3_u32 v11, v11, v13, v12
	v_lshl_add_u64 v[8:9], s[14:15], 0, v[2:3]
	v_lshl_add_u64 v[10:11], v[10:11], 2, s[16:17]
	v_cmp_gt_i64_e32 vcc, s[28:29], v[8:9]
	v_lshl_add_u64 v[12:13], v[8:9], 2, v[10:11]
	s_and_saveexec_b64 s[2:3], vcc
	s_cbranch_execz .LBB201_11
; %bb.10:
	v_mul_f32_e32 v14, s6, v4
	flat_store_dword v[12:13], v14
.LBB201_11:
	s_or_b64 exec, exec, s[2:3]
	v_lshl_add_u64 v[14:15], v[8:9], 0, 16
	v_cmp_gt_i64_e64 s[2:3], s[28:29], v[14:15]
	s_and_saveexec_b64 s[4:5], s[2:3]
	s_cbranch_execz .LBB201_13
; %bb.12:
	v_mul_f32_e32 v14, s6, v5
	flat_store_dword v[12:13], v14 offset:64
.LBB201_13:
	s_or_b64 exec, exec, s[4:5]
	v_lshl_add_u64 v[12:13], v[6:7], 0, 16
	v_cmp_gt_i64_e64 s[4:5], s[30:31], v[12:13]
	s_and_b64 exec, exec, s[4:5]
	s_cbranch_execz .LBB201_18
; %bb.14:
	s_lshl_b64 s[4:5], s[24:25], 6
	v_lshl_add_u64 v[10:11], v[10:11], 0, s[4:5]
	v_lshl_add_u64 v[8:9], v[8:9], 2, v[10:11]
	s_and_saveexec_b64 s[4:5], vcc
	s_cbranch_execz .LBB201_16
; %bb.15:
	v_mul_f32_e32 v10, s6, v0
	flat_store_dword v[8:9], v10
.LBB201_16:
	s_or_b64 exec, exec, s[4:5]
	s_and_b64 exec, exec, s[2:3]
	s_cbranch_execz .LBB201_18
; %bb.17:
	v_mul_f32_e32 v10, s6, v1
	flat_store_dword v[8:9], v10 offset:64
.LBB201_18:
	s_or_b64 exec, exec, s[18:19]
	s_cbranch_execz .LBB201_21
.LBB201_19:
	s_endpgm
.LBB201_20:
.LBB201_21:
	s_and_saveexec_b64 s[2:3], s[0:1]
	s_cbranch_execz .LBB201_19
; %bb.22:
	s_lshl_b64 s[0:1], s[12:13], 2
	v_lshl_add_u64 v[12:13], s[14:15], 0, v[2:3]
	v_mul_lo_u32 v8, v7, s10
	v_mul_lo_u32 v9, v6, s11
	v_mad_u64_u32 v[2:3], s[2:3], v6, s10, 0
	s_add_u32 s0, s8, s0
	v_add3_u32 v3, v3, v9, v8
	v_mul_lo_u32 v10, v7, s24
	v_mul_lo_u32 v11, v6, s25
	v_mad_u64_u32 v[8:9], s[2:3], v6, s24, 0
	s_addc_u32 s1, s9, s1
	v_add3_u32 v9, v9, v11, v10
	v_cmp_gt_i64_e32 vcc, s[28:29], v[12:13]
	v_lshl_add_u64 v[10:11], v[2:3], 2, s[0:1]
	v_lshl_add_u64 v[8:9], v[8:9], 2, s[16:17]
	v_lshlrev_b64 v[2:3], 2, v[12:13]
	s_and_saveexec_b64 s[0:1], vcc
	s_cbranch_execz .LBB201_24
; %bb.23:
	v_lshl_add_u64 v[14:15], v[10:11], 0, v[2:3]
	flat_load_dword v15, v[14:15]
	v_mov_b32_e32 v14, v4
	s_waitcnt vmcnt(0) lgkmcnt(0)
	v_pk_mul_f32 v[14:15], s[6:7], v[14:15]
	s_nop 0
	v_add_f32_e32 v4, v14, v15
	v_lshl_add_u64 v[14:15], v[8:9], 0, v[2:3]
	flat_store_dword v[14:15], v4
.LBB201_24:
	s_or_b64 exec, exec, s[0:1]
	v_lshl_add_u64 v[12:13], v[12:13], 0, 16
	v_cmp_gt_i64_e64 s[0:1], s[28:29], v[12:13]
	s_and_saveexec_b64 s[2:3], s[0:1]
	s_cbranch_execz .LBB201_26
; %bb.25:
	v_lshl_add_u64 v[12:13], v[10:11], 0, v[2:3]
	flat_load_dword v13, v[12:13] offset:64
	v_mov_b32_e32 v12, v5
	s_waitcnt vmcnt(0) lgkmcnt(0)
	v_pk_mul_f32 v[4:5], s[6:7], v[12:13]
	s_nop 0
	v_add_f32_e32 v12, v4, v5
	v_lshl_add_u64 v[4:5], v[8:9], 0, v[2:3]
	flat_store_dword v[4:5], v12 offset:64
.LBB201_26:
	s_or_b64 exec, exec, s[2:3]
	v_lshl_add_u64 v[4:5], v[6:7], 0, 16
	v_cmp_gt_i64_e64 s[2:3], s[30:31], v[4:5]
	s_and_b64 exec, exec, s[2:3]
	s_cbranch_execz .LBB201_19
; %bb.27:
	s_lshl_b64 s[2:3], s[10:11], 6
	v_lshl_add_u64 v[4:5], v[10:11], 0, s[2:3]
	s_lshl_b64 s[2:3], s[24:25], 6
	v_lshl_add_u64 v[6:7], v[8:9], 0, s[2:3]
	v_lshl_add_u64 v[4:5], v[4:5], 0, v[2:3]
	;; [unrolled: 1-line block ×3, first 2 shown]
	s_and_saveexec_b64 s[2:3], vcc
	s_cbranch_execz .LBB201_29
; %bb.28:
	flat_load_dword v7, v[4:5]
	v_mov_b32_e32 v6, v0
	s_waitcnt vmcnt(0) lgkmcnt(0)
	v_pk_mul_f32 v[6:7], s[6:7], v[6:7]
	s_nop 0
	v_add_f32_e32 v0, v6, v7
	flat_store_dword v[2:3], v0
.LBB201_29:
	s_or_b64 exec, exec, s[2:3]
	s_and_b64 exec, exec, s[0:1]
	s_cbranch_execz .LBB201_19
; %bb.30:
	flat_load_dword v5, v[4:5] offset:64
	v_mov_b32_e32 v4, v1
	s_waitcnt vmcnt(0) lgkmcnt(0)
	v_pk_mul_f32 v[0:1], s[6:7], v[4:5]
	s_nop 0
	v_add_f32_e32 v0, v0, v1
	flat_store_dword v[2:3], v0 offset:64
	s_endpgm
	.section	.rodata,"a",@progbits
	.p2align	6, 0x0
	.amdhsa_kernel _ZN12_GLOBAL__N_135rocblas_gemm_batched_general_kernelIfLi16ELi16ELi32ELi32ELi8ELi32ELi8ELi8ELi32ELc78ELc67EKPKfS3_KPfEEvlllT_PT11_llS8_llS6_PT12_llPT13_lli
		.amdhsa_group_segment_fixed_size 2048
		.amdhsa_private_segment_fixed_size 0
		.amdhsa_kernarg_size 140
		.amdhsa_user_sgpr_count 2
		.amdhsa_user_sgpr_dispatch_ptr 0
		.amdhsa_user_sgpr_queue_ptr 0
		.amdhsa_user_sgpr_kernarg_segment_ptr 1
		.amdhsa_user_sgpr_dispatch_id 0
		.amdhsa_user_sgpr_kernarg_preload_length 0
		.amdhsa_user_sgpr_kernarg_preload_offset 0
		.amdhsa_user_sgpr_private_segment_size 0
		.amdhsa_uses_dynamic_stack 0
		.amdhsa_enable_private_segment 0
		.amdhsa_system_sgpr_workgroup_id_x 1
		.amdhsa_system_sgpr_workgroup_id_y 1
		.amdhsa_system_sgpr_workgroup_id_z 1
		.amdhsa_system_sgpr_workgroup_info 0
		.amdhsa_system_vgpr_workitem_id 1
		.amdhsa_next_free_vgpr 54
		.amdhsa_next_free_sgpr 48
		.amdhsa_accum_offset 56
		.amdhsa_reserve_vcc 1
		.amdhsa_float_round_mode_32 0
		.amdhsa_float_round_mode_16_64 0
		.amdhsa_float_denorm_mode_32 3
		.amdhsa_float_denorm_mode_16_64 3
		.amdhsa_dx10_clamp 1
		.amdhsa_ieee_mode 1
		.amdhsa_fp16_overflow 0
		.amdhsa_tg_split 0
		.amdhsa_exception_fp_ieee_invalid_op 0
		.amdhsa_exception_fp_denorm_src 0
		.amdhsa_exception_fp_ieee_div_zero 0
		.amdhsa_exception_fp_ieee_overflow 0
		.amdhsa_exception_fp_ieee_underflow 0
		.amdhsa_exception_fp_ieee_inexact 0
		.amdhsa_exception_int_div_zero 0
	.end_amdhsa_kernel
	.section	.text._ZN12_GLOBAL__N_135rocblas_gemm_batched_general_kernelIfLi16ELi16ELi32ELi32ELi8ELi32ELi8ELi8ELi32ELc78ELc67EKPKfS3_KPfEEvlllT_PT11_llS8_llS6_PT12_llPT13_lli,"axG",@progbits,_ZN12_GLOBAL__N_135rocblas_gemm_batched_general_kernelIfLi16ELi16ELi32ELi32ELi8ELi32ELi8ELi8ELi32ELc78ELc67EKPKfS3_KPfEEvlllT_PT11_llS8_llS6_PT12_llPT13_lli,comdat
.Lfunc_end201:
	.size	_ZN12_GLOBAL__N_135rocblas_gemm_batched_general_kernelIfLi16ELi16ELi32ELi32ELi8ELi32ELi8ELi8ELi32ELc78ELc67EKPKfS3_KPfEEvlllT_PT11_llS8_llS6_PT12_llPT13_lli, .Lfunc_end201-_ZN12_GLOBAL__N_135rocblas_gemm_batched_general_kernelIfLi16ELi16ELi32ELi32ELi8ELi32ELi8ELi8ELi32ELc78ELc67EKPKfS3_KPfEEvlllT_PT11_llS8_llS6_PT12_llPT13_lli
                                        ; -- End function
	.set _ZN12_GLOBAL__N_135rocblas_gemm_batched_general_kernelIfLi16ELi16ELi32ELi32ELi8ELi32ELi8ELi8ELi32ELc78ELc67EKPKfS3_KPfEEvlllT_PT11_llS8_llS6_PT12_llPT13_lli.num_vgpr, 54
	.set _ZN12_GLOBAL__N_135rocblas_gemm_batched_general_kernelIfLi16ELi16ELi32ELi32ELi8ELi32ELi8ELi8ELi32ELc78ELc67EKPKfS3_KPfEEvlllT_PT11_llS8_llS6_PT12_llPT13_lli.num_agpr, 0
	.set _ZN12_GLOBAL__N_135rocblas_gemm_batched_general_kernelIfLi16ELi16ELi32ELi32ELi8ELi32ELi8ELi8ELi32ELc78ELc67EKPKfS3_KPfEEvlllT_PT11_llS8_llS6_PT12_llPT13_lli.numbered_sgpr, 48
	.set _ZN12_GLOBAL__N_135rocblas_gemm_batched_general_kernelIfLi16ELi16ELi32ELi32ELi8ELi32ELi8ELi8ELi32ELc78ELc67EKPKfS3_KPfEEvlllT_PT11_llS8_llS6_PT12_llPT13_lli.num_named_barrier, 0
	.set _ZN12_GLOBAL__N_135rocblas_gemm_batched_general_kernelIfLi16ELi16ELi32ELi32ELi8ELi32ELi8ELi8ELi32ELc78ELc67EKPKfS3_KPfEEvlllT_PT11_llS8_llS6_PT12_llPT13_lli.private_seg_size, 0
	.set _ZN12_GLOBAL__N_135rocblas_gemm_batched_general_kernelIfLi16ELi16ELi32ELi32ELi8ELi32ELi8ELi8ELi32ELc78ELc67EKPKfS3_KPfEEvlllT_PT11_llS8_llS6_PT12_llPT13_lli.uses_vcc, 1
	.set _ZN12_GLOBAL__N_135rocblas_gemm_batched_general_kernelIfLi16ELi16ELi32ELi32ELi8ELi32ELi8ELi8ELi32ELc78ELc67EKPKfS3_KPfEEvlllT_PT11_llS8_llS6_PT12_llPT13_lli.uses_flat_scratch, 0
	.set _ZN12_GLOBAL__N_135rocblas_gemm_batched_general_kernelIfLi16ELi16ELi32ELi32ELi8ELi32ELi8ELi8ELi32ELc78ELc67EKPKfS3_KPfEEvlllT_PT11_llS8_llS6_PT12_llPT13_lli.has_dyn_sized_stack, 0
	.set _ZN12_GLOBAL__N_135rocblas_gemm_batched_general_kernelIfLi16ELi16ELi32ELi32ELi8ELi32ELi8ELi8ELi32ELc78ELc67EKPKfS3_KPfEEvlllT_PT11_llS8_llS6_PT12_llPT13_lli.has_recursion, 0
	.set _ZN12_GLOBAL__N_135rocblas_gemm_batched_general_kernelIfLi16ELi16ELi32ELi32ELi8ELi32ELi8ELi8ELi32ELc78ELc67EKPKfS3_KPfEEvlllT_PT11_llS8_llS6_PT12_llPT13_lli.has_indirect_call, 0
	.section	.AMDGPU.csdata,"",@progbits
; Kernel info:
; codeLenInByte = 1652
; TotalNumSgprs: 54
; NumVgprs: 54
; NumAgprs: 0
; TotalNumVgprs: 54
; ScratchSize: 0
; MemoryBound: 0
; FloatMode: 240
; IeeeMode: 1
; LDSByteSize: 2048 bytes/workgroup (compile time only)
; SGPRBlocks: 6
; VGPRBlocks: 6
; NumSGPRsForWavesPerEU: 54
; NumVGPRsForWavesPerEU: 54
; AccumOffset: 56
; Occupancy: 8
; WaveLimiterHint : 1
; COMPUTE_PGM_RSRC2:SCRATCH_EN: 0
; COMPUTE_PGM_RSRC2:USER_SGPR: 2
; COMPUTE_PGM_RSRC2:TRAP_HANDLER: 0
; COMPUTE_PGM_RSRC2:TGID_X_EN: 1
; COMPUTE_PGM_RSRC2:TGID_Y_EN: 1
; COMPUTE_PGM_RSRC2:TGID_Z_EN: 1
; COMPUTE_PGM_RSRC2:TIDIG_COMP_CNT: 1
; COMPUTE_PGM_RSRC3_GFX90A:ACCUM_OFFSET: 13
; COMPUTE_PGM_RSRC3_GFX90A:TG_SPLIT: 0
	.section	.text._ZN12_GLOBAL__N_135rocblas_gemm_batched_general_kernelIfLi16ELi16ELi32ELi32ELi8ELi32ELi8ELi8ELi32ELc84ELc67EKPKfS3_KPfEEvlllT_PT11_llS8_llS6_PT12_llPT13_lli,"axG",@progbits,_ZN12_GLOBAL__N_135rocblas_gemm_batched_general_kernelIfLi16ELi16ELi32ELi32ELi8ELi32ELi8ELi8ELi32ELc84ELc67EKPKfS3_KPfEEvlllT_PT11_llS8_llS6_PT12_llPT13_lli,comdat
	.globl	_ZN12_GLOBAL__N_135rocblas_gemm_batched_general_kernelIfLi16ELi16ELi32ELi32ELi8ELi32ELi8ELi8ELi32ELc84ELc67EKPKfS3_KPfEEvlllT_PT11_llS8_llS6_PT12_llPT13_lli ; -- Begin function _ZN12_GLOBAL__N_135rocblas_gemm_batched_general_kernelIfLi16ELi16ELi32ELi32ELi8ELi32ELi8ELi8ELi32ELc84ELc67EKPKfS3_KPfEEvlllT_PT11_llS8_llS6_PT12_llPT13_lli
	.p2align	8
	.type	_ZN12_GLOBAL__N_135rocblas_gemm_batched_general_kernelIfLi16ELi16ELi32ELi32ELi8ELi32ELi8ELi8ELi32ELc84ELc67EKPKfS3_KPfEEvlllT_PT11_llS8_llS6_PT12_llPT13_lli,@function
_ZN12_GLOBAL__N_135rocblas_gemm_batched_general_kernelIfLi16ELi16ELi32ELi32ELi8ELi32ELi8ELi8ELi32ELc84ELc67EKPKfS3_KPfEEvlllT_PT11_llS8_llS6_PT12_llPT13_lli: ; @_ZN12_GLOBAL__N_135rocblas_gemm_batched_general_kernelIfLi16ELi16ELi32ELi32ELi8ELi32ELi8ELi8ELi32ELc84ELc67EKPKfS3_KPfEEvlllT_PT11_llS8_llS6_PT12_llPT13_lli
; %bb.0:
	s_load_dwordx4 s[28:31], s[0:1], 0x0
	s_load_dwordx2 s[34:35], s[0:1], 0x10
	s_load_dwordx4 s[24:27], s[0:1], 0x78
	s_load_dwordx8 s[8:15], s[0:1], 0x58
	s_mov_b32 s5, 0
	s_lshl_b64 s[4:5], s[4:5], 3
	s_mov_b32 s42, s3
	v_mov_b32_e32 v7, 0
	s_waitcnt lgkmcnt(0)
	s_add_u32 s6, s8, s4
	s_addc_u32 s7, s9, s5
	s_add_u32 s8, s14, s4
	s_addc_u32 s9, s15, s5
	s_load_dwordx2 s[6:7], s[6:7], 0x0
	s_ashr_i32 s3, s2, 31
	s_load_dwordx2 s[14:15], s[8:9], 0x0
	s_lshl_b64 s[8:9], s[2:3], 5
	s_ashr_i32 s43, s42, 31
	v_cmp_lt_i64_e64 s[2:3], s[34:35], 1
	v_and_b32_e32 v2, 0x3ff, v0
	v_bfe_u32 v6, v0, 10, 10
	v_mov_b32_e32 v3, v7
	s_lshl_b64 s[40:41], s[42:43], 5
	s_and_b64 vcc, exec, s[2:3]
	v_mov_b32_e32 v5, v7
	v_mov_b32_e32 v4, v7
	;; [unrolled: 1-line block ×4, first 2 shown]
	s_cbranch_vccnz .LBB202_7
; %bb.1:
	s_load_dwordx8 s[16:23], s[0:1], 0x20
	s_load_dwordx4 s[36:39], s[0:1], 0x40
	v_lshl_add_u32 v12, v6, 4, v2
	v_mov_b32_e32 v9, 0
	v_lshrrev_b32_e32 v0, 3, v12
	s_waitcnt lgkmcnt(0)
	s_add_u32 s2, s22, s4
	s_addc_u32 s3, s23, s5
	v_mov_b32_e32 v1, v9
	v_and_b32_e32 v10, 7, v2
	s_load_dwordx2 s[22:23], s[2:3], 0x0
	s_add_u32 s2, s16, s4
	v_lshl_add_u64 v[4:5], v[0:1], 0, s[40:41]
	v_and_b32_e32 v14, 31, v12
	v_lshrrev_b32_e32 v8, 5, v12
	s_addc_u32 s3, s17, s5
	v_or_b32_e32 v12, s8, v14
	v_mov_b32_e32 v13, s9
	v_cmp_gt_i64_e64 s[4:5], s[30:31], v[4:5]
	v_mad_u64_u32 v[4:5], s[16:17], s36, v10, 0
	s_load_dwordx2 s[44:45], s[2:3], 0x0
	v_cmp_gt_i64_e64 s[2:3], s[28:29], v[12:13]
	v_mov_b32_e32 v12, v5
	v_lshlrev_b32_e32 v1, 2, v14
	v_mad_u64_u32 v[12:13], s[16:17], s37, v10, v[12:13]
	v_lshl_or_b32 v18, v8, 7, v1
	v_lshlrev_b32_e32 v1, 2, v10
	s_lshl_b64 s[16:17], s[42:43], 7
	s_lshl_b64 s[38:39], s[38:39], 2
	v_lshl_or_b32 v1, v0, 5, v1
	s_add_u32 s16, s38, s16
	v_add_u32_e32 v19, 0x400, v1
	v_mov_b32_e32 v1, 0x400
	v_mov_b32_e32 v5, v12
	s_addc_u32 s17, s39, s17
	v_lshl_add_u32 v21, v6, 5, v1
	v_lshl_add_u64 v[4:5], v[4:5], 2, s[16:17]
	v_lshlrev_b32_e32 v0, 2, v0
	v_mov_b32_e32 v1, v9
	v_mov_b32_e32 v15, v9
	v_lshl_add_u64 v[0:1], v[4:5], 0, v[0:1]
	s_waitcnt lgkmcnt(0)
	v_lshl_add_u64 v[12:13], s[22:23], 0, v[0:1]
	v_lshl_add_u64 v[0:1], s[8:9], 0, v[14:15]
	v_mul_lo_u32 v4, s19, v0
	v_mul_lo_u32 v5, s18, v1
	v_mad_u64_u32 v[0:1], s[18:19], s18, v0, 0
	v_add3_u32 v1, v1, v5, v4
	s_lshl_b64 s[18:19], s[20:21], 2
	v_lshl_add_u64 v[0:1], v[0:1], 2, s[18:19]
	v_lshlrev_b32_e32 v4, 2, v8
	v_mov_b32_e32 v5, v9
	v_lshl_add_u64 v[0:1], v[0:1], 0, v[4:5]
	v_mov_b32_e32 v11, v9
	v_lshlrev_b32_e32 v20, 2, v2
	s_lshl_b64 s[16:17], s[36:37], 5
	v_lshl_add_u64 v[14:15], s[44:45], 0, v[0:1]
	s_mov_b64 s[18:19], 0
	v_mov_b64_e32 v[16:17], s[34:35]
	v_mov_b32_e32 v4, v9
	v_mov_b32_e32 v0, v9
	;; [unrolled: 1-line block ×3, first 2 shown]
	s_branch .LBB202_3
.LBB202_2:                              ;   in Loop: Header=BB202_3 Depth=1
	s_or_b64 exec, exec, s[20:21]
	s_waitcnt vmcnt(0) lgkmcnt(0)
	ds_write_b32 v19, v22
	s_waitcnt lgkmcnt(0)
	s_barrier
	ds_read_b128 v[22:25], v21
	ds_read_b128 v[26:29], v21 offset:16
	ds_read2_b32 v[38:39], v20 offset1:16
	ds_read2_b32 v[40:41], v20 offset0:32 offset1:48
	ds_read2_b32 v[42:43], v20 offset0:64 offset1:80
	;; [unrolled: 1-line block ×4, first 2 shown]
	ds_read_b128 v[30:33], v21 offset:512
	ds_read_b128 v[34:37], v21 offset:528
	ds_read2_b32 v[48:49], v20 offset0:160 offset1:176
	ds_read2_b32 v[50:51], v20 offset0:192 offset1:208
	;; [unrolled: 1-line block ×3, first 2 shown]
	s_waitcnt lgkmcnt(9)
	v_pk_fma_f32 v[4:5], v[38:39], v[22:23], v[4:5] op_sel_hi:[1,0,1]
	s_waitcnt lgkmcnt(4)
	v_pk_fma_f32 v[0:1], v[38:39], v[30:31], v[0:1] op_sel_hi:[1,0,1]
	v_pk_fma_f32 v[4:5], v[40:41], v[22:23], v[4:5] op_sel:[0,1,0]
	v_mov_b32_e32 v22, v25
	v_pk_fma_f32 v[4:5], v[42:43], v[24:25], v[4:5] op_sel_hi:[1,0,1]
	v_pk_fma_f32 v[0:1], v[40:41], v[30:31], v[0:1] op_sel:[0,1,0]
	v_pk_fma_f32 v[4:5], v[44:45], v[22:23], v[4:5] op_sel_hi:[1,0,1]
	v_mov_b32_e32 v22, v29
	v_pk_fma_f32 v[4:5], v[46:47], v[26:27], v[4:5] op_sel_hi:[1,0,1]
	v_pk_fma_f32 v[0:1], v[42:43], v[32:33], v[0:1] op_sel_hi:[1,0,1]
	s_waitcnt lgkmcnt(2)
	v_pk_fma_f32 v[4:5], v[48:49], v[26:27], v[4:5] op_sel:[0,1,0]
	s_add_u32 s18, s18, 8
	s_waitcnt lgkmcnt(1)
	v_pk_fma_f32 v[4:5], v[50:51], v[28:29], v[4:5] op_sel_hi:[1,0,1]
	s_addc_u32 s19, s19, 0
	s_waitcnt lgkmcnt(0)
	v_pk_fma_f32 v[4:5], v[52:53], v[22:23], v[4:5] op_sel_hi:[1,0,1]
	v_mov_b32_e32 v22, v33
	v_pk_fma_f32 v[0:1], v[44:45], v[22:23], v[0:1] op_sel_hi:[1,0,1]
	v_mov_b32_e32 v22, v37
	v_pk_fma_f32 v[0:1], v[46:47], v[34:35], v[0:1] op_sel_hi:[1,0,1]
	v_cmp_lt_i64_e32 vcc, s[18:19], v[16:17]
	v_pk_fma_f32 v[0:1], v[48:49], v[34:35], v[0:1] op_sel:[0,1,0]
	v_lshl_add_u64 v[12:13], v[12:13], 0, s[16:17]
	v_pk_fma_f32 v[0:1], v[50:51], v[36:37], v[0:1] op_sel_hi:[1,0,1]
	v_lshl_add_u64 v[14:15], v[14:15], 0, 32
	v_pk_fma_f32 v[0:1], v[52:53], v[22:23], v[0:1] op_sel_hi:[1,0,1]
	s_barrier
	s_cbranch_vccz .LBB202_7
.LBB202_3:                              ; =>This Inner Loop Header: Depth=1
	v_lshl_add_u64 v[22:23], v[8:9], 0, s[18:19]
	v_cmp_gt_i64_e32 vcc, s[34:35], v[22:23]
	s_and_b64 s[22:23], s[2:3], vcc
	v_mov_b32_e32 v22, 0
	s_and_saveexec_b64 s[20:21], s[22:23]
	s_cbranch_execz .LBB202_5
; %bb.4:                                ;   in Loop: Header=BB202_3 Depth=1
	flat_load_dword v22, v[14:15]
.LBB202_5:                              ;   in Loop: Header=BB202_3 Depth=1
	s_or_b64 exec, exec, s[20:21]
	s_waitcnt vmcnt(0) lgkmcnt(0)
	ds_write_b32 v18, v22
	v_lshl_add_u64 v[22:23], v[10:11], 0, s[18:19]
	v_cmp_gt_i64_e32 vcc, s[34:35], v[22:23]
	s_and_b64 s[22:23], vcc, s[4:5]
	v_mov_b32_e32 v22, 0
	s_and_saveexec_b64 s[20:21], s[22:23]
	s_cbranch_execz .LBB202_2
; %bb.6:                                ;   in Loop: Header=BB202_3 Depth=1
	flat_load_dword v22, v[12:13]
	s_branch .LBB202_2
.LBB202_7:
	s_load_dword s16, s[0:1], 0x18
	s_load_dword s17, s[0:1], 0x50
	s_lshl_b64 s[0:1], s[26:27], 2
	s_waitcnt lgkmcnt(0)
	s_add_u32 s14, s14, s0
	v_lshl_add_u64 v[6:7], s[40:41], 0, v[6:7]
	s_addc_u32 s15, s15, s1
	v_cmp_neq_f32_e64 s[2:3], s17, 0
	v_cmp_gt_i64_e64 s[0:1], s[30:31], v[6:7]
	s_and_b64 vcc, exec, s[2:3]
	s_cbranch_vccnz .LBB202_20
; %bb.8:
	s_and_saveexec_b64 s[18:19], s[0:1]
	s_cbranch_execz .LBB202_18
; %bb.9:
	v_mul_lo_u32 v12, v7, s24
	v_mul_lo_u32 v13, v6, s25
	v_mad_u64_u32 v[10:11], s[2:3], v6, s24, 0
	v_add3_u32 v11, v11, v13, v12
	v_lshl_add_u64 v[8:9], s[8:9], 0, v[2:3]
	v_lshl_add_u64 v[10:11], v[10:11], 2, s[14:15]
	v_cmp_gt_i64_e32 vcc, s[28:29], v[8:9]
	v_lshl_add_u64 v[12:13], v[8:9], 2, v[10:11]
	s_and_saveexec_b64 s[2:3], vcc
	s_cbranch_execz .LBB202_11
; %bb.10:
	v_mul_f32_e32 v14, s16, v4
	flat_store_dword v[12:13], v14
.LBB202_11:
	s_or_b64 exec, exec, s[2:3]
	v_lshl_add_u64 v[14:15], v[8:9], 0, 16
	v_cmp_gt_i64_e64 s[2:3], s[28:29], v[14:15]
	s_and_saveexec_b64 s[4:5], s[2:3]
	s_cbranch_execz .LBB202_13
; %bb.12:
	v_mul_f32_e32 v14, s16, v5
	flat_store_dword v[12:13], v14 offset:64
.LBB202_13:
	s_or_b64 exec, exec, s[4:5]
	v_lshl_add_u64 v[12:13], v[6:7], 0, 16
	v_cmp_gt_i64_e64 s[4:5], s[30:31], v[12:13]
	s_and_b64 exec, exec, s[4:5]
	s_cbranch_execz .LBB202_18
; %bb.14:
	s_lshl_b64 s[4:5], s[24:25], 6
	v_lshl_add_u64 v[10:11], v[10:11], 0, s[4:5]
	v_lshl_add_u64 v[8:9], v[8:9], 2, v[10:11]
	s_and_saveexec_b64 s[4:5], vcc
	s_cbranch_execz .LBB202_16
; %bb.15:
	v_mul_f32_e32 v10, s16, v0
	flat_store_dword v[8:9], v10
.LBB202_16:
	s_or_b64 exec, exec, s[4:5]
	s_and_b64 exec, exec, s[2:3]
	s_cbranch_execz .LBB202_18
; %bb.17:
	v_mul_f32_e32 v10, s16, v1
	flat_store_dword v[8:9], v10 offset:64
.LBB202_18:
	s_or_b64 exec, exec, s[18:19]
	s_cbranch_execz .LBB202_21
.LBB202_19:
	s_endpgm
.LBB202_20:
.LBB202_21:
	s_and_saveexec_b64 s[2:3], s[0:1]
	s_cbranch_execz .LBB202_19
; %bb.22:
	s_lshl_b64 s[0:1], s[12:13], 2
	v_lshl_add_u64 v[12:13], s[8:9], 0, v[2:3]
	v_mul_lo_u32 v8, v7, s10
	v_mul_lo_u32 v9, v6, s11
	v_mad_u64_u32 v[2:3], s[2:3], v6, s10, 0
	s_add_u32 s0, s6, s0
	v_add3_u32 v3, v3, v9, v8
	v_mul_lo_u32 v10, v7, s24
	v_mul_lo_u32 v11, v6, s25
	v_mad_u64_u32 v[8:9], s[2:3], v6, s24, 0
	s_addc_u32 s1, s7, s1
	v_add3_u32 v9, v9, v11, v10
	v_cmp_gt_i64_e32 vcc, s[28:29], v[12:13]
	v_lshl_add_u64 v[10:11], v[2:3], 2, s[0:1]
	v_lshl_add_u64 v[8:9], v[8:9], 2, s[14:15]
	v_lshlrev_b64 v[2:3], 2, v[12:13]
	s_and_saveexec_b64 s[0:1], vcc
	s_cbranch_execz .LBB202_24
; %bb.23:
	v_lshl_add_u64 v[14:15], v[10:11], 0, v[2:3]
	flat_load_dword v15, v[14:15]
	v_mov_b32_e32 v14, v4
	s_waitcnt vmcnt(0) lgkmcnt(0)
	v_pk_mul_f32 v[14:15], s[16:17], v[14:15]
	s_nop 0
	v_add_f32_e32 v4, v14, v15
	v_lshl_add_u64 v[14:15], v[8:9], 0, v[2:3]
	flat_store_dword v[14:15], v4
.LBB202_24:
	s_or_b64 exec, exec, s[0:1]
	v_lshl_add_u64 v[12:13], v[12:13], 0, 16
	v_cmp_gt_i64_e64 s[0:1], s[28:29], v[12:13]
	s_and_saveexec_b64 s[2:3], s[0:1]
	s_cbranch_execz .LBB202_26
; %bb.25:
	v_lshl_add_u64 v[12:13], v[10:11], 0, v[2:3]
	flat_load_dword v13, v[12:13] offset:64
	v_mov_b32_e32 v12, v5
	s_waitcnt vmcnt(0) lgkmcnt(0)
	v_pk_mul_f32 v[4:5], s[16:17], v[12:13]
	s_nop 0
	v_add_f32_e32 v12, v4, v5
	v_lshl_add_u64 v[4:5], v[8:9], 0, v[2:3]
	flat_store_dword v[4:5], v12 offset:64
.LBB202_26:
	s_or_b64 exec, exec, s[2:3]
	v_lshl_add_u64 v[4:5], v[6:7], 0, 16
	v_cmp_gt_i64_e64 s[2:3], s[30:31], v[4:5]
	s_and_b64 exec, exec, s[2:3]
	s_cbranch_execz .LBB202_19
; %bb.27:
	s_lshl_b64 s[2:3], s[10:11], 6
	v_lshl_add_u64 v[4:5], v[10:11], 0, s[2:3]
	s_lshl_b64 s[2:3], s[24:25], 6
	v_lshl_add_u64 v[6:7], v[8:9], 0, s[2:3]
	v_lshl_add_u64 v[4:5], v[4:5], 0, v[2:3]
	;; [unrolled: 1-line block ×3, first 2 shown]
	s_and_saveexec_b64 s[2:3], vcc
	s_cbranch_execz .LBB202_29
; %bb.28:
	flat_load_dword v7, v[4:5]
	v_mov_b32_e32 v6, v0
	s_waitcnt vmcnt(0) lgkmcnt(0)
	v_pk_mul_f32 v[6:7], s[16:17], v[6:7]
	s_nop 0
	v_add_f32_e32 v0, v6, v7
	flat_store_dword v[2:3], v0
.LBB202_29:
	s_or_b64 exec, exec, s[2:3]
	s_and_b64 exec, exec, s[0:1]
	s_cbranch_execz .LBB202_19
; %bb.30:
	flat_load_dword v5, v[4:5] offset:64
	v_mov_b32_e32 v4, v1
	s_waitcnt vmcnt(0) lgkmcnt(0)
	v_pk_mul_f32 v[0:1], s[16:17], v[4:5]
	s_nop 0
	v_add_f32_e32 v0, v0, v1
	flat_store_dword v[2:3], v0 offset:64
	s_endpgm
	.section	.rodata,"a",@progbits
	.p2align	6, 0x0
	.amdhsa_kernel _ZN12_GLOBAL__N_135rocblas_gemm_batched_general_kernelIfLi16ELi16ELi32ELi32ELi8ELi32ELi8ELi8ELi32ELc84ELc67EKPKfS3_KPfEEvlllT_PT11_llS8_llS6_PT12_llPT13_lli
		.amdhsa_group_segment_fixed_size 2048
		.amdhsa_private_segment_fixed_size 0
		.amdhsa_kernarg_size 140
		.amdhsa_user_sgpr_count 2
		.amdhsa_user_sgpr_dispatch_ptr 0
		.amdhsa_user_sgpr_queue_ptr 0
		.amdhsa_user_sgpr_kernarg_segment_ptr 1
		.amdhsa_user_sgpr_dispatch_id 0
		.amdhsa_user_sgpr_kernarg_preload_length 0
		.amdhsa_user_sgpr_kernarg_preload_offset 0
		.amdhsa_user_sgpr_private_segment_size 0
		.amdhsa_uses_dynamic_stack 0
		.amdhsa_enable_private_segment 0
		.amdhsa_system_sgpr_workgroup_id_x 1
		.amdhsa_system_sgpr_workgroup_id_y 1
		.amdhsa_system_sgpr_workgroup_id_z 1
		.amdhsa_system_sgpr_workgroup_info 0
		.amdhsa_system_vgpr_workitem_id 1
		.amdhsa_next_free_vgpr 54
		.amdhsa_next_free_sgpr 46
		.amdhsa_accum_offset 56
		.amdhsa_reserve_vcc 1
		.amdhsa_float_round_mode_32 0
		.amdhsa_float_round_mode_16_64 0
		.amdhsa_float_denorm_mode_32 3
		.amdhsa_float_denorm_mode_16_64 3
		.amdhsa_dx10_clamp 1
		.amdhsa_ieee_mode 1
		.amdhsa_fp16_overflow 0
		.amdhsa_tg_split 0
		.amdhsa_exception_fp_ieee_invalid_op 0
		.amdhsa_exception_fp_denorm_src 0
		.amdhsa_exception_fp_ieee_div_zero 0
		.amdhsa_exception_fp_ieee_overflow 0
		.amdhsa_exception_fp_ieee_underflow 0
		.amdhsa_exception_fp_ieee_inexact 0
		.amdhsa_exception_int_div_zero 0
	.end_amdhsa_kernel
	.section	.text._ZN12_GLOBAL__N_135rocblas_gemm_batched_general_kernelIfLi16ELi16ELi32ELi32ELi8ELi32ELi8ELi8ELi32ELc84ELc67EKPKfS3_KPfEEvlllT_PT11_llS8_llS6_PT12_llPT13_lli,"axG",@progbits,_ZN12_GLOBAL__N_135rocblas_gemm_batched_general_kernelIfLi16ELi16ELi32ELi32ELi8ELi32ELi8ELi8ELi32ELc84ELc67EKPKfS3_KPfEEvlllT_PT11_llS8_llS6_PT12_llPT13_lli,comdat
.Lfunc_end202:
	.size	_ZN12_GLOBAL__N_135rocblas_gemm_batched_general_kernelIfLi16ELi16ELi32ELi32ELi8ELi32ELi8ELi8ELi32ELc84ELc67EKPKfS3_KPfEEvlllT_PT11_llS8_llS6_PT12_llPT13_lli, .Lfunc_end202-_ZN12_GLOBAL__N_135rocblas_gemm_batched_general_kernelIfLi16ELi16ELi32ELi32ELi8ELi32ELi8ELi8ELi32ELc84ELc67EKPKfS3_KPfEEvlllT_PT11_llS8_llS6_PT12_llPT13_lli
                                        ; -- End function
	.set _ZN12_GLOBAL__N_135rocblas_gemm_batched_general_kernelIfLi16ELi16ELi32ELi32ELi8ELi32ELi8ELi8ELi32ELc84ELc67EKPKfS3_KPfEEvlllT_PT11_llS8_llS6_PT12_llPT13_lli.num_vgpr, 54
	.set _ZN12_GLOBAL__N_135rocblas_gemm_batched_general_kernelIfLi16ELi16ELi32ELi32ELi8ELi32ELi8ELi8ELi32ELc84ELc67EKPKfS3_KPfEEvlllT_PT11_llS8_llS6_PT12_llPT13_lli.num_agpr, 0
	.set _ZN12_GLOBAL__N_135rocblas_gemm_batched_general_kernelIfLi16ELi16ELi32ELi32ELi8ELi32ELi8ELi8ELi32ELc84ELc67EKPKfS3_KPfEEvlllT_PT11_llS8_llS6_PT12_llPT13_lli.numbered_sgpr, 46
	.set _ZN12_GLOBAL__N_135rocblas_gemm_batched_general_kernelIfLi16ELi16ELi32ELi32ELi8ELi32ELi8ELi8ELi32ELc84ELc67EKPKfS3_KPfEEvlllT_PT11_llS8_llS6_PT12_llPT13_lli.num_named_barrier, 0
	.set _ZN12_GLOBAL__N_135rocblas_gemm_batched_general_kernelIfLi16ELi16ELi32ELi32ELi8ELi32ELi8ELi8ELi32ELc84ELc67EKPKfS3_KPfEEvlllT_PT11_llS8_llS6_PT12_llPT13_lli.private_seg_size, 0
	.set _ZN12_GLOBAL__N_135rocblas_gemm_batched_general_kernelIfLi16ELi16ELi32ELi32ELi8ELi32ELi8ELi8ELi32ELc84ELc67EKPKfS3_KPfEEvlllT_PT11_llS8_llS6_PT12_llPT13_lli.uses_vcc, 1
	.set _ZN12_GLOBAL__N_135rocblas_gemm_batched_general_kernelIfLi16ELi16ELi32ELi32ELi8ELi32ELi8ELi8ELi32ELc84ELc67EKPKfS3_KPfEEvlllT_PT11_llS8_llS6_PT12_llPT13_lli.uses_flat_scratch, 0
	.set _ZN12_GLOBAL__N_135rocblas_gemm_batched_general_kernelIfLi16ELi16ELi32ELi32ELi8ELi32ELi8ELi8ELi32ELc84ELc67EKPKfS3_KPfEEvlllT_PT11_llS8_llS6_PT12_llPT13_lli.has_dyn_sized_stack, 0
	.set _ZN12_GLOBAL__N_135rocblas_gemm_batched_general_kernelIfLi16ELi16ELi32ELi32ELi8ELi32ELi8ELi8ELi32ELc84ELc67EKPKfS3_KPfEEvlllT_PT11_llS8_llS6_PT12_llPT13_lli.has_recursion, 0
	.set _ZN12_GLOBAL__N_135rocblas_gemm_batched_general_kernelIfLi16ELi16ELi32ELi32ELi8ELi32ELi8ELi8ELi32ELc84ELc67EKPKfS3_KPfEEvlllT_PT11_llS8_llS6_PT12_llPT13_lli.has_indirect_call, 0
	.section	.AMDGPU.csdata,"",@progbits
; Kernel info:
; codeLenInByte = 1656
; TotalNumSgprs: 52
; NumVgprs: 54
; NumAgprs: 0
; TotalNumVgprs: 54
; ScratchSize: 0
; MemoryBound: 0
; FloatMode: 240
; IeeeMode: 1
; LDSByteSize: 2048 bytes/workgroup (compile time only)
; SGPRBlocks: 6
; VGPRBlocks: 6
; NumSGPRsForWavesPerEU: 52
; NumVGPRsForWavesPerEU: 54
; AccumOffset: 56
; Occupancy: 8
; WaveLimiterHint : 1
; COMPUTE_PGM_RSRC2:SCRATCH_EN: 0
; COMPUTE_PGM_RSRC2:USER_SGPR: 2
; COMPUTE_PGM_RSRC2:TRAP_HANDLER: 0
; COMPUTE_PGM_RSRC2:TGID_X_EN: 1
; COMPUTE_PGM_RSRC2:TGID_Y_EN: 1
; COMPUTE_PGM_RSRC2:TGID_Z_EN: 1
; COMPUTE_PGM_RSRC2:TIDIG_COMP_CNT: 1
; COMPUTE_PGM_RSRC3_GFX90A:ACCUM_OFFSET: 13
; COMPUTE_PGM_RSRC3_GFX90A:TG_SPLIT: 0
	.section	.text._ZN12_GLOBAL__N_125rocblas_gemm_scale_kernelILi32ELi32EdPKPdEEviiT1_T2_llli,"axG",@progbits,_ZN12_GLOBAL__N_125rocblas_gemm_scale_kernelILi32ELi32EdPKPdEEviiT1_T2_llli,comdat
	.globl	_ZN12_GLOBAL__N_125rocblas_gemm_scale_kernelILi32ELi32EdPKPdEEviiT1_T2_llli ; -- Begin function _ZN12_GLOBAL__N_125rocblas_gemm_scale_kernelILi32ELi32EdPKPdEEviiT1_T2_llli
	.p2align	8
	.type	_ZN12_GLOBAL__N_125rocblas_gemm_scale_kernelILi32ELi32EdPKPdEEviiT1_T2_llli,@function
_ZN12_GLOBAL__N_125rocblas_gemm_scale_kernelILi32ELi32EdPKPdEEviiT1_T2_llli: ; @_ZN12_GLOBAL__N_125rocblas_gemm_scale_kernelILi32ELi32EdPKPdEEviiT1_T2_llli
; %bb.0:
	s_load_dwordx2 s[6:7], s[0:1], 0x0
	v_and_b32_e32 v1, 0x3ff, v0
	v_bfe_u32 v0, v0, 10, 10
	v_lshl_add_u32 v2, s2, 5, v1
	v_lshl_add_u32 v3, s3, 5, v0
	s_waitcnt lgkmcnt(0)
	v_cmp_gt_u32_e32 vcc, s6, v2
	v_cmp_gt_u32_e64 s[2:3], s7, v3
	s_and_b64 s[2:3], vcc, s[2:3]
	s_and_saveexec_b64 s[6:7], s[2:3]
	s_cbranch_execz .LBB203_4
; %bb.1:
	s_load_dwordx8 s[8:15], s[0:1], 0x8
	s_mov_b32 s5, 0
	s_lshl_b64 s[0:1], s[4:5], 3
	v_mov_b64_e32 v[0:1], 0
	s_waitcnt lgkmcnt(0)
	s_add_u32 s0, s10, s0
	s_addc_u32 s1, s11, s1
	s_load_dwordx2 s[0:1], s[0:1], 0x0
	v_mad_u64_u32 v[4:5], s[4:5], s14, v3, 0
	s_lshl_b64 s[4:5], s[12:13], 3
	v_mov_b32_e32 v6, v5
	s_waitcnt lgkmcnt(0)
	s_add_u32 s0, s0, s4
	s_addc_u32 s1, s1, s5
	v_mad_u64_u32 v[6:7], s[4:5], s15, v3, v[6:7]
	v_cmp_eq_f64_e64 s[2:3], s[8:9], 0
	v_mov_b32_e32 v5, v6
	v_mov_b32_e32 v3, 0
	s_and_b64 vcc, exec, s[2:3]
	v_lshl_add_u64 v[4:5], v[4:5], 3, s[0:1]
	s_cbranch_vccnz .LBB203_3
; %bb.2:
	v_lshl_add_u64 v[0:1], v[2:3], 3, v[4:5]
	flat_load_dwordx2 v[0:1], v[0:1]
	s_waitcnt vmcnt(0) lgkmcnt(0)
	v_mul_f64 v[0:1], s[8:9], v[0:1]
.LBB203_3:
	v_lshl_add_u64 v[2:3], v[2:3], 3, v[4:5]
	flat_store_dwordx2 v[2:3], v[0:1]
.LBB203_4:
	s_endpgm
	.section	.rodata,"a",@progbits
	.p2align	6, 0x0
	.amdhsa_kernel _ZN12_GLOBAL__N_125rocblas_gemm_scale_kernelILi32ELi32EdPKPdEEviiT1_T2_llli
		.amdhsa_group_segment_fixed_size 0
		.amdhsa_private_segment_fixed_size 0
		.amdhsa_kernarg_size 52
		.amdhsa_user_sgpr_count 2
		.amdhsa_user_sgpr_dispatch_ptr 0
		.amdhsa_user_sgpr_queue_ptr 0
		.amdhsa_user_sgpr_kernarg_segment_ptr 1
		.amdhsa_user_sgpr_dispatch_id 0
		.amdhsa_user_sgpr_kernarg_preload_length 0
		.amdhsa_user_sgpr_kernarg_preload_offset 0
		.amdhsa_user_sgpr_private_segment_size 0
		.amdhsa_uses_dynamic_stack 0
		.amdhsa_enable_private_segment 0
		.amdhsa_system_sgpr_workgroup_id_x 1
		.amdhsa_system_sgpr_workgroup_id_y 1
		.amdhsa_system_sgpr_workgroup_id_z 1
		.amdhsa_system_sgpr_workgroup_info 0
		.amdhsa_system_vgpr_workitem_id 1
		.amdhsa_next_free_vgpr 8
		.amdhsa_next_free_sgpr 16
		.amdhsa_accum_offset 8
		.amdhsa_reserve_vcc 1
		.amdhsa_float_round_mode_32 0
		.amdhsa_float_round_mode_16_64 0
		.amdhsa_float_denorm_mode_32 3
		.amdhsa_float_denorm_mode_16_64 3
		.amdhsa_dx10_clamp 1
		.amdhsa_ieee_mode 1
		.amdhsa_fp16_overflow 0
		.amdhsa_tg_split 0
		.amdhsa_exception_fp_ieee_invalid_op 0
		.amdhsa_exception_fp_denorm_src 0
		.amdhsa_exception_fp_ieee_div_zero 0
		.amdhsa_exception_fp_ieee_overflow 0
		.amdhsa_exception_fp_ieee_underflow 0
		.amdhsa_exception_fp_ieee_inexact 0
		.amdhsa_exception_int_div_zero 0
	.end_amdhsa_kernel
	.section	.text._ZN12_GLOBAL__N_125rocblas_gemm_scale_kernelILi32ELi32EdPKPdEEviiT1_T2_llli,"axG",@progbits,_ZN12_GLOBAL__N_125rocblas_gemm_scale_kernelILi32ELi32EdPKPdEEviiT1_T2_llli,comdat
.Lfunc_end203:
	.size	_ZN12_GLOBAL__N_125rocblas_gemm_scale_kernelILi32ELi32EdPKPdEEviiT1_T2_llli, .Lfunc_end203-_ZN12_GLOBAL__N_125rocblas_gemm_scale_kernelILi32ELi32EdPKPdEEviiT1_T2_llli
                                        ; -- End function
	.set _ZN12_GLOBAL__N_125rocblas_gemm_scale_kernelILi32ELi32EdPKPdEEviiT1_T2_llli.num_vgpr, 8
	.set _ZN12_GLOBAL__N_125rocblas_gemm_scale_kernelILi32ELi32EdPKPdEEviiT1_T2_llli.num_agpr, 0
	.set _ZN12_GLOBAL__N_125rocblas_gemm_scale_kernelILi32ELi32EdPKPdEEviiT1_T2_llli.numbered_sgpr, 16
	.set _ZN12_GLOBAL__N_125rocblas_gemm_scale_kernelILi32ELi32EdPKPdEEviiT1_T2_llli.num_named_barrier, 0
	.set _ZN12_GLOBAL__N_125rocblas_gemm_scale_kernelILi32ELi32EdPKPdEEviiT1_T2_llli.private_seg_size, 0
	.set _ZN12_GLOBAL__N_125rocblas_gemm_scale_kernelILi32ELi32EdPKPdEEviiT1_T2_llli.uses_vcc, 1
	.set _ZN12_GLOBAL__N_125rocblas_gemm_scale_kernelILi32ELi32EdPKPdEEviiT1_T2_llli.uses_flat_scratch, 0
	.set _ZN12_GLOBAL__N_125rocblas_gemm_scale_kernelILi32ELi32EdPKPdEEviiT1_T2_llli.has_dyn_sized_stack, 0
	.set _ZN12_GLOBAL__N_125rocblas_gemm_scale_kernelILi32ELi32EdPKPdEEviiT1_T2_llli.has_recursion, 0
	.set _ZN12_GLOBAL__N_125rocblas_gemm_scale_kernelILi32ELi32EdPKPdEEviiT1_T2_llli.has_indirect_call, 0
	.section	.AMDGPU.csdata,"",@progbits
; Kernel info:
; codeLenInByte = 224
; TotalNumSgprs: 22
; NumVgprs: 8
; NumAgprs: 0
; TotalNumVgprs: 8
; ScratchSize: 0
; MemoryBound: 0
; FloatMode: 240
; IeeeMode: 1
; LDSByteSize: 0 bytes/workgroup (compile time only)
; SGPRBlocks: 2
; VGPRBlocks: 0
; NumSGPRsForWavesPerEU: 22
; NumVGPRsForWavesPerEU: 8
; AccumOffset: 8
; Occupancy: 8
; WaveLimiterHint : 1
; COMPUTE_PGM_RSRC2:SCRATCH_EN: 0
; COMPUTE_PGM_RSRC2:USER_SGPR: 2
; COMPUTE_PGM_RSRC2:TRAP_HANDLER: 0
; COMPUTE_PGM_RSRC2:TGID_X_EN: 1
; COMPUTE_PGM_RSRC2:TGID_Y_EN: 1
; COMPUTE_PGM_RSRC2:TGID_Z_EN: 1
; COMPUTE_PGM_RSRC2:TIDIG_COMP_CNT: 1
; COMPUTE_PGM_RSRC3_GFX90A:ACCUM_OFFSET: 1
; COMPUTE_PGM_RSRC3_GFX90A:TG_SPLIT: 0
	.section	.text._ZN12_GLOBAL__N_120gemm_ex_scale_kernelILi32ELi32EdPKPKdPKPdEEviiT1_T2_lllT3_llli,"axG",@progbits,_ZN12_GLOBAL__N_120gemm_ex_scale_kernelILi32ELi32EdPKPKdPKPdEEviiT1_T2_lllT3_llli,comdat
	.globl	_ZN12_GLOBAL__N_120gemm_ex_scale_kernelILi32ELi32EdPKPKdPKPdEEviiT1_T2_lllT3_llli ; -- Begin function _ZN12_GLOBAL__N_120gemm_ex_scale_kernelILi32ELi32EdPKPKdPKPdEEviiT1_T2_lllT3_llli
	.p2align	8
	.type	_ZN12_GLOBAL__N_120gemm_ex_scale_kernelILi32ELi32EdPKPKdPKPdEEviiT1_T2_lllT3_llli,@function
_ZN12_GLOBAL__N_120gemm_ex_scale_kernelILi32ELi32EdPKPKdPKPdEEviiT1_T2_lllT3_llli: ; @_ZN12_GLOBAL__N_120gemm_ex_scale_kernelILi32ELi32EdPKPKdPKPdEEviiT1_T2_lllT3_llli
; %bb.0:
	s_load_dwordx8 s[8:15], s[0:1], 0x8
	s_mov_b64 s[6:7], 0
	s_mov_b32 s5, 0
	s_waitcnt lgkmcnt(0)
	v_cmp_eq_f64_e64 s[20:21], s[8:9], 0
	s_and_b64 vcc, exec, s[20:21]
	s_cbranch_vccnz .LBB204_2
; %bb.1:
	s_lshl_b64 s[6:7], s[4:5], 3
	s_add_u32 s6, s10, s6
	s_addc_u32 s7, s11, s7
	s_load_dwordx2 s[6:7], s[6:7], 0x0
	s_lshl_b64 s[10:11], s[12:13], 3
	s_waitcnt lgkmcnt(0)
	s_add_u32 s6, s6, s10
	s_addc_u32 s7, s7, s11
.LBB204_2:
	s_load_dwordx2 s[10:11], s[0:1], 0x0
	v_and_b32_e32 v1, 0x3ff, v0
	v_bfe_u32 v2, v0, 10, 10
	v_lshl_add_u32 v0, s2, 5, v1
	v_lshl_add_u32 v4, s3, 5, v2
	s_waitcnt lgkmcnt(0)
	v_cmp_gt_u32_e32 vcc, s10, v0
	v_cmp_gt_u32_e64 s[2:3], s11, v4
	s_and_b64 s[2:3], vcc, s[2:3]
	s_and_saveexec_b64 s[10:11], s[2:3]
	s_cbranch_execz .LBB204_8
; %bb.3:
	s_load_dwordx4 s[16:19], s[0:1], 0x30
	s_load_dwordx2 s[2:3], s[0:1], 0x40
	s_lshl_b64 s[0:1], s[4:5], 3
	v_mov_b32_e32 v1, 0
	s_waitcnt lgkmcnt(0)
	s_add_u32 s0, s16, s0
	s_addc_u32 s1, s17, s1
	s_load_dwordx2 s[0:1], s[0:1], 0x0
	s_andn2_b64 vcc, exec, s[20:21]
	s_cbranch_vccnz .LBB204_5
; %bb.4:
	v_mov_b64_e32 v[2:3], 0
	s_cbranch_execz .LBB204_6
	s_branch .LBB204_7
.LBB204_5:
	v_mov_b64_e32 v[2:3], 0
.LBB204_6:
	v_mad_u64_u32 v[2:3], s[4:5], s14, v4, 0
	v_mov_b32_e32 v6, v3
	v_mad_u64_u32 v[6:7], s[4:5], s15, v4, v[6:7]
	v_mov_b32_e32 v3, v6
	v_lshl_add_u64 v[2:3], v[2:3], 3, s[6:7]
	v_lshl_add_u64 v[2:3], v[0:1], 3, v[2:3]
	flat_load_dwordx2 v[2:3], v[2:3]
	s_waitcnt vmcnt(0) lgkmcnt(0)
	v_mul_f64 v[2:3], s[8:9], v[2:3]
.LBB204_7:
	s_lshl_b64 s[4:5], s[18:19], 3
	s_waitcnt lgkmcnt(0)
	s_add_u32 s0, s0, s4
	s_addc_u32 s1, s1, s5
	v_mad_u64_u32 v[6:7], s[4:5], s2, v4, 0
	v_mov_b32_e32 v8, v7
	v_mad_u64_u32 v[4:5], s[2:3], s3, v4, v[8:9]
	v_mov_b32_e32 v7, v4
	v_lshl_add_u64 v[4:5], v[6:7], 3, s[0:1]
	v_lshl_add_u64 v[0:1], v[0:1], 3, v[4:5]
	flat_store_dwordx2 v[0:1], v[2:3]
.LBB204_8:
	s_endpgm
	.section	.rodata,"a",@progbits
	.p2align	6, 0x0
	.amdhsa_kernel _ZN12_GLOBAL__N_120gemm_ex_scale_kernelILi32ELi32EdPKPKdPKPdEEviiT1_T2_lllT3_llli
		.amdhsa_group_segment_fixed_size 0
		.amdhsa_private_segment_fixed_size 0
		.amdhsa_kernarg_size 84
		.amdhsa_user_sgpr_count 2
		.amdhsa_user_sgpr_dispatch_ptr 0
		.amdhsa_user_sgpr_queue_ptr 0
		.amdhsa_user_sgpr_kernarg_segment_ptr 1
		.amdhsa_user_sgpr_dispatch_id 0
		.amdhsa_user_sgpr_kernarg_preload_length 0
		.amdhsa_user_sgpr_kernarg_preload_offset 0
		.amdhsa_user_sgpr_private_segment_size 0
		.amdhsa_uses_dynamic_stack 0
		.amdhsa_enable_private_segment 0
		.amdhsa_system_sgpr_workgroup_id_x 1
		.amdhsa_system_sgpr_workgroup_id_y 1
		.amdhsa_system_sgpr_workgroup_id_z 1
		.amdhsa_system_sgpr_workgroup_info 0
		.amdhsa_system_vgpr_workitem_id 1
		.amdhsa_next_free_vgpr 10
		.amdhsa_next_free_sgpr 22
		.amdhsa_accum_offset 12
		.amdhsa_reserve_vcc 1
		.amdhsa_float_round_mode_32 0
		.amdhsa_float_round_mode_16_64 0
		.amdhsa_float_denorm_mode_32 3
		.amdhsa_float_denorm_mode_16_64 3
		.amdhsa_dx10_clamp 1
		.amdhsa_ieee_mode 1
		.amdhsa_fp16_overflow 0
		.amdhsa_tg_split 0
		.amdhsa_exception_fp_ieee_invalid_op 0
		.amdhsa_exception_fp_denorm_src 0
		.amdhsa_exception_fp_ieee_div_zero 0
		.amdhsa_exception_fp_ieee_overflow 0
		.amdhsa_exception_fp_ieee_underflow 0
		.amdhsa_exception_fp_ieee_inexact 0
		.amdhsa_exception_int_div_zero 0
	.end_amdhsa_kernel
	.section	.text._ZN12_GLOBAL__N_120gemm_ex_scale_kernelILi32ELi32EdPKPKdPKPdEEviiT1_T2_lllT3_llli,"axG",@progbits,_ZN12_GLOBAL__N_120gemm_ex_scale_kernelILi32ELi32EdPKPKdPKPdEEviiT1_T2_lllT3_llli,comdat
.Lfunc_end204:
	.size	_ZN12_GLOBAL__N_120gemm_ex_scale_kernelILi32ELi32EdPKPKdPKPdEEviiT1_T2_lllT3_llli, .Lfunc_end204-_ZN12_GLOBAL__N_120gemm_ex_scale_kernelILi32ELi32EdPKPKdPKPdEEviiT1_T2_lllT3_llli
                                        ; -- End function
	.set _ZN12_GLOBAL__N_120gemm_ex_scale_kernelILi32ELi32EdPKPKdPKPdEEviiT1_T2_lllT3_llli.num_vgpr, 10
	.set _ZN12_GLOBAL__N_120gemm_ex_scale_kernelILi32ELi32EdPKPKdPKPdEEviiT1_T2_lllT3_llli.num_agpr, 0
	.set _ZN12_GLOBAL__N_120gemm_ex_scale_kernelILi32ELi32EdPKPKdPKPdEEviiT1_T2_lllT3_llli.numbered_sgpr, 22
	.set _ZN12_GLOBAL__N_120gemm_ex_scale_kernelILi32ELi32EdPKPKdPKPdEEviiT1_T2_lllT3_llli.num_named_barrier, 0
	.set _ZN12_GLOBAL__N_120gemm_ex_scale_kernelILi32ELi32EdPKPKdPKPdEEviiT1_T2_lllT3_llli.private_seg_size, 0
	.set _ZN12_GLOBAL__N_120gemm_ex_scale_kernelILi32ELi32EdPKPKdPKPdEEviiT1_T2_lllT3_llli.uses_vcc, 1
	.set _ZN12_GLOBAL__N_120gemm_ex_scale_kernelILi32ELi32EdPKPKdPKPdEEviiT1_T2_lllT3_llli.uses_flat_scratch, 0
	.set _ZN12_GLOBAL__N_120gemm_ex_scale_kernelILi32ELi32EdPKPKdPKPdEEviiT1_T2_lllT3_llli.has_dyn_sized_stack, 0
	.set _ZN12_GLOBAL__N_120gemm_ex_scale_kernelILi32ELi32EdPKPKdPKPdEEviiT1_T2_lllT3_llli.has_recursion, 0
	.set _ZN12_GLOBAL__N_120gemm_ex_scale_kernelILi32ELi32EdPKPKdPKPdEEviiT1_T2_lllT3_llli.has_indirect_call, 0
	.section	.AMDGPU.csdata,"",@progbits
; Kernel info:
; codeLenInByte = 336
; TotalNumSgprs: 28
; NumVgprs: 10
; NumAgprs: 0
; TotalNumVgprs: 10
; ScratchSize: 0
; MemoryBound: 0
; FloatMode: 240
; IeeeMode: 1
; LDSByteSize: 0 bytes/workgroup (compile time only)
; SGPRBlocks: 3
; VGPRBlocks: 1
; NumSGPRsForWavesPerEU: 28
; NumVGPRsForWavesPerEU: 10
; AccumOffset: 12
; Occupancy: 8
; WaveLimiterHint : 1
; COMPUTE_PGM_RSRC2:SCRATCH_EN: 0
; COMPUTE_PGM_RSRC2:USER_SGPR: 2
; COMPUTE_PGM_RSRC2:TRAP_HANDLER: 0
; COMPUTE_PGM_RSRC2:TGID_X_EN: 1
; COMPUTE_PGM_RSRC2:TGID_Y_EN: 1
; COMPUTE_PGM_RSRC2:TGID_Z_EN: 1
; COMPUTE_PGM_RSRC2:TIDIG_COMP_CNT: 1
; COMPUTE_PGM_RSRC3_GFX90A:ACCUM_OFFSET: 2
; COMPUTE_PGM_RSRC3_GFX90A:TG_SPLIT: 0
	.section	.text._ZN12_GLOBAL__N_127rocblas_gemm_batched_kernelIdLi16ELi16ELi64ELi64ELi4ELi64ELi4ELi4ELi64ELc78ELc78EKPKdS3_KPdEEvlllT_PT11_llS8_llS6_PT12_llPT13_lli,"axG",@progbits,_ZN12_GLOBAL__N_127rocblas_gemm_batched_kernelIdLi16ELi16ELi64ELi64ELi4ELi64ELi4ELi4ELi64ELc78ELc78EKPKdS3_KPdEEvlllT_PT11_llS8_llS6_PT12_llPT13_lli,comdat
	.globl	_ZN12_GLOBAL__N_127rocblas_gemm_batched_kernelIdLi16ELi16ELi64ELi64ELi4ELi64ELi4ELi4ELi64ELc78ELc78EKPKdS3_KPdEEvlllT_PT11_llS8_llS6_PT12_llPT13_lli ; -- Begin function _ZN12_GLOBAL__N_127rocblas_gemm_batched_kernelIdLi16ELi16ELi64ELi64ELi4ELi64ELi4ELi4ELi64ELc78ELc78EKPKdS3_KPdEEvlllT_PT11_llS8_llS6_PT12_llPT13_lli
	.p2align	8
	.type	_ZN12_GLOBAL__N_127rocblas_gemm_batched_kernelIdLi16ELi16ELi64ELi64ELi4ELi64ELi4ELi4ELi64ELc78ELc78EKPKdS3_KPdEEvlllT_PT11_llS8_llS6_PT12_llPT13_lli,@function
_ZN12_GLOBAL__N_127rocblas_gemm_batched_kernelIdLi16ELi16ELi64ELi64ELi4ELi64ELi4ELi4ELi64ELc78ELc78EKPKdS3_KPdEEvlllT_PT11_llS8_llS6_PT12_llPT13_lli: ; @_ZN12_GLOBAL__N_127rocblas_gemm_batched_kernelIdLi16ELi16ELi64ELi64ELi4ELi64ELi4ELi4ELi64ELc78ELc78EKPKdS3_KPdEEvlllT_PT11_llS8_llS6_PT12_llPT13_lli
; %bb.0:
	s_load_dwordx16 s[8:23], s[0:1], 0x10
	s_load_dwordx8 s[36:43], s[0:1], 0x70
	s_load_dwordx8 s[24:31], s[0:1], 0x50
	s_mov_b32 s5, 0
	s_lshl_b64 s[34:35], s[4:5], 3
	s_mov_b32 s6, s3
	v_mov_b32_e32 v27, 0
	s_waitcnt lgkmcnt(0)
	s_add_u32 s0, s26, s34
	s_addc_u32 s1, s27, s35
	s_add_u32 s4, s36, s34
	s_addc_u32 s5, s37, s35
	s_load_dwordx2 s[0:1], s[0:1], 0x0
	s_ashr_i32 s3, s2, 31
	s_load_dwordx2 s[4:5], s[4:5], 0x0
	s_ashr_i32 s7, s6, 31
	v_cmp_lt_i64_e64 s[26:27], s[8:9], 1
	v_bfe_u32 v26, v0, 10, 10
	v_and_b32_e32 v28, 0x3ff, v0
	v_mov_b32_e32 v29, v27
	s_lshl_b64 s[2:3], s[2:3], 6
	s_lshl_b64 s[6:7], s[6:7], 6
	s_and_b64 vcc, exec, s[26:27]
	s_cbranch_vccnz .LBB205_3
; %bb.1:
	v_lshl_add_u32 v6, v26, 4, v28
	s_add_u32 s12, s12, s34
	v_lshrrev_b32_e32 v0, 2, v6
	v_mov_b32_e32 v1, v27
	v_and_b32_e32 v4, 63, v6
	s_addc_u32 s13, s13, s35
	v_lshl_add_u64 v[2:3], v[0:1], 0, s[6:7]
	v_and_b32_e32 v1, 3, v28
	v_lshrrev_b32_e32 v8, 6, v6
	v_lshlrev_b32_e32 v6, 3, v4
	s_add_u32 s18, s18, s34
	v_lshl_or_b32 v42, v8, 9, v6
	v_lshlrev_b32_e32 v6, 3, v1
	s_addc_u32 s19, s19, s35
	v_lshl_or_b32 v0, v0, 5, v6
	s_load_dwordx2 s[18:19], s[18:19], 0x0
	v_add_u32_e32 v43, 0x800, v0
	v_mov_b32_e32 v0, 0x800
	v_lshl_add_u32 v45, v26, 5, v0
	v_mul_lo_u32 v7, s21, v2
	v_mul_lo_u32 v3, s20, v3
	v_mad_u64_u32 v[0:1], s[20:21], s20, v2, 0
	v_add3_u32 v1, v1, v3, v7
	s_lshl_b64 s[20:21], s[22:23], 3
	v_lshl_add_u64 v[0:1], v[0:1], 3, s[20:21]
	v_mov_b32_e32 v7, v27
	s_load_dwordx2 s[12:13], s[12:13], 0x0
	v_lshl_add_u64 v[0:1], v[0:1], 0, v[6:7]
	s_waitcnt lgkmcnt(0)
	v_lshl_add_u64 v[36:37], s[18:19], 0, v[0:1]
	v_mov_b64_e32 v[0:1], s[2:3]
	v_mad_u64_u32 v[0:1], s[18:19], s14, v8, v[0:1]
	v_mov_b32_e32 v2, v1
	s_lshl_b64 s[16:17], s[16:17], 3
	v_mad_u64_u32 v[2:3], s[18:19], s15, v8, v[2:3]
	v_mov_b32_e32 v5, v27
	v_mov_b32_e32 v1, v2
	s_add_u32 s12, s12, s16
	v_lshl_add_u64 v[0:1], v[0:1], 0, v[4:5]
	s_addc_u32 s13, s13, s17
	v_lshlrev_b32_e32 v44, 3, v28
	v_lshl_add_u64 v[38:39], v[0:1], 3, s[12:13]
	s_lshl_b64 s[12:13], s[14:15], 5
	s_mov_b64 s[14:15], 0
	v_mov_b64_e32 v[0:1], 0
	v_mov_b64_e32 v[40:41], s[8:9]
	;; [unrolled: 1-line block ×17, first 2 shown]
.LBB205_2:                              ; =>This Inner Loop Header: Depth=1
	flat_load_dwordx2 v[46:47], v[38:39]
	s_add_u32 s14, s14, 4
	s_addc_u32 s15, s15, 0
	v_cmp_lt_i64_e32 vcc, s[14:15], v[40:41]
	v_lshl_add_u64 v[38:39], v[38:39], 0, s[12:13]
	s_and_b64 vcc, exec, vcc
	s_waitcnt vmcnt(0) lgkmcnt(0)
	ds_write_b64 v42, v[46:47]
	flat_load_dwordx2 v[46:47], v[36:37]
	v_lshl_add_u64 v[36:37], v[36:37], 0, 32
	s_waitcnt vmcnt(0) lgkmcnt(0)
	ds_write_b64 v43, v[46:47]
	s_waitcnt lgkmcnt(0)
	s_barrier
	ds_read2_b64 v[46:49], v44 offset1:16
	ds_read_b128 v[50:53], v45 offset:1536
	ds_read_b128 v[54:57], v45
	ds_read_b128 v[58:61], v45 offset:16
	ds_read_b128 v[62:65], v45 offset:512
	;; [unrolled: 1-line block ×5, first 2 shown]
	s_waitcnt lgkmcnt(5)
	v_fmac_f64_e32 v[34:35], v[46:47], v[54:55]
	v_fmac_f64_e32 v[32:33], v[48:49], v[54:55]
	s_waitcnt lgkmcnt(3)
	v_fmac_f64_e32 v[22:23], v[46:47], v[62:63]
	v_fmac_f64_e32 v[20:21], v[48:49], v[62:63]
	;; [unrolled: 3-line block ×3, first 2 shown]
	v_fmac_f64_e32 v[6:7], v[46:47], v[50:51]
	v_fmac_f64_e32 v[4:5], v[48:49], v[50:51]
	ds_read2_b64 v[46:49], v44 offset0:32 offset1:48
	ds_read2_b64 v[82:85], v44 offset0:96 offset1:112
	ds_read_b128 v[78:81], v45 offset:1552
	s_waitcnt lgkmcnt(2)
	v_fmac_f64_e32 v[30:31], v[46:47], v[54:55]
	v_fmac_f64_e32 v[24:25], v[48:49], v[54:55]
	;; [unrolled: 1-line block ×8, first 2 shown]
	ds_read2_b64 v[46:49], v44 offset0:64 offset1:80
	s_waitcnt lgkmcnt(2)
	v_fmac_f64_e32 v[30:31], v[82:83], v[56:57]
	v_fmac_f64_e32 v[24:25], v[84:85], v[56:57]
	;; [unrolled: 1-line block ×4, first 2 shown]
	s_waitcnt lgkmcnt(0)
	v_fmac_f64_e32 v[34:35], v[46:47], v[56:57]
	v_fmac_f64_e32 v[32:33], v[48:49], v[56:57]
	;; [unrolled: 1-line block ×6, first 2 shown]
	ds_read2_b64 v[54:57], v44 offset0:128 offset1:144
	v_fmac_f64_e32 v[6:7], v[46:47], v[52:53]
	v_fmac_f64_e32 v[4:5], v[48:49], v[52:53]
	ds_read2_b64 v[46:49], v44 offset0:160 offset1:176
	v_fmac_f64_e32 v[2:3], v[82:83], v[52:53]
	v_fmac_f64_e32 v[0:1], v[84:85], v[52:53]
	ds_read2_b64 v[50:53], v44 offset0:192 offset1:208
	ds_read2_b64 v[62:65], v44 offset0:224 offset1:240
	v_fmac_f64_e32 v[10:11], v[82:83], v[72:73]
	v_fmac_f64_e32 v[8:9], v[84:85], v[72:73]
	s_waitcnt lgkmcnt(3)
	v_fmac_f64_e32 v[34:35], v[54:55], v[58:59]
	v_fmac_f64_e32 v[32:33], v[56:57], v[58:59]
	;; [unrolled: 1-line block ×8, first 2 shown]
	s_waitcnt lgkmcnt(2)
	v_fmac_f64_e32 v[30:31], v[46:47], v[58:59]
	v_fmac_f64_e32 v[24:25], v[48:49], v[58:59]
	;; [unrolled: 1-line block ×8, first 2 shown]
	s_waitcnt lgkmcnt(1)
	v_fmac_f64_e32 v[34:35], v[50:51], v[60:61]
	v_fmac_f64_e32 v[32:33], v[52:53], v[60:61]
	s_waitcnt lgkmcnt(0)
	v_fmac_f64_e32 v[30:31], v[62:63], v[60:61]
	v_fmac_f64_e32 v[24:25], v[64:65], v[60:61]
	;; [unrolled: 1-line block ×14, first 2 shown]
	s_barrier
	s_cbranch_vccnz .LBB205_2
	s_branch .LBB205_4
.LBB205_3:
	v_mov_b64_e32 v[34:35], 0
	v_mov_b64_e32 v[32:33], 0
	;; [unrolled: 1-line block ×16, first 2 shown]
.LBB205_4:
	s_lshl_b64 s[8:9], s[40:41], 3
	s_waitcnt lgkmcnt(0)
	s_add_u32 s4, s4, s8
	s_addc_u32 s5, s5, s9
	v_lshl_add_u64 v[36:37], s[6:7], 0, v[26:27]
	v_cmp_neq_f64_e64 s[8:9], s[24:25], 0
	v_lshl_add_u64 v[26:27], s[2:3], 0, v[28:29]
	s_mov_b64 s[6:7], 0
	s_and_b64 vcc, exec, s[8:9]
	v_mul_lo_u32 v28, v37, s38
	v_mul_lo_u32 v29, v36, s39
	v_lshlrev_b64 v[26:27], 3, v[26:27]
	s_cbranch_vccnz .LBB205_8
; %bb.5:
	v_mad_u64_u32 v[38:39], s[2:3], v36, s38, 0
	v_add3_u32 v39, v39, v29, v28
	v_lshl_add_u64 v[38:39], v[38:39], 3, s[4:5]
	v_mul_f64 v[40:41], s[10:11], v[34:35]
	v_lshl_add_u64 v[42:43], v[38:39], 0, v[26:27]
	flat_store_dwordx2 v[42:43], v[40:41]
	v_mul_f64 v[40:41], s[10:11], v[32:33]
	flat_store_dwordx2 v[42:43], v[40:41] offset:128
	v_mul_f64 v[40:41], s[10:11], v[30:31]
	s_lshl_b64 s[2:3], s[38:39], 7
	flat_store_dwordx2 v[42:43], v[40:41] offset:256
	v_mul_f64 v[40:41], s[10:11], v[24:25]
	v_lshl_add_u64 v[38:39], v[38:39], 0, s[2:3]
	flat_store_dwordx2 v[42:43], v[40:41] offset:384
	v_mul_f64 v[40:41], s[10:11], v[22:23]
	v_lshl_add_u64 v[42:43], v[38:39], 0, v[26:27]
	flat_store_dwordx2 v[42:43], v[40:41]
	v_mul_f64 v[40:41], s[10:11], v[20:21]
	flat_store_dwordx2 v[42:43], v[40:41] offset:128
	v_mul_f64 v[40:41], s[10:11], v[18:19]
	flat_store_dwordx2 v[42:43], v[40:41] offset:256
	v_mul_f64 v[40:41], s[10:11], v[16:17]
	v_lshl_add_u64 v[38:39], v[38:39], 0, s[2:3]
	flat_store_dwordx2 v[42:43], v[40:41] offset:384
	v_mul_f64 v[40:41], s[10:11], v[14:15]
	v_lshl_add_u64 v[42:43], v[38:39], 0, v[26:27]
	flat_store_dwordx2 v[42:43], v[40:41]
	v_mul_f64 v[40:41], s[10:11], v[12:13]
	flat_store_dwordx2 v[42:43], v[40:41] offset:128
	v_mul_f64 v[40:41], s[10:11], v[10:11]
	;; [unrolled: 10-line block ×3, first 2 shown]
	flat_store_dwordx2 v[38:39], v[40:41] offset:256
	v_mul_f64 v[40:41], s[10:11], v[0:1]
	flat_store_dwordx2 v[38:39], v[40:41] offset:384
	s_andn2_b64 vcc, exec, s[6:7]
	s_cbranch_vccnz .LBB205_7
.LBB205_6:
	s_lshl_b64 s[2:3], s[30:31], 3
	s_add_u32 s0, s0, s2
	s_addc_u32 s1, s1, s3
	v_mul_lo_u32 v37, v37, s28
	v_mul_lo_u32 v40, v36, s29
	v_mad_u64_u32 v[38:39], s[2:3], v36, s28, 0
	v_add3_u32 v39, v39, v40, v37
	v_lshl_add_u64 v[38:39], v[38:39], 3, s[0:1]
	v_lshl_add_u64 v[40:41], v[38:39], 0, v[26:27]
	flat_load_dwordx2 v[42:43], v[40:41]
	v_mad_u64_u32 v[36:37], s[0:1], v36, s38, 0
	v_add3_u32 v37, v37, v29, v28
	v_lshl_add_u64 v[28:29], v[36:37], 3, s[4:5]
	v_lshl_add_u64 v[36:37], v[28:29], 0, v[26:27]
	s_lshl_b64 s[0:1], s[28:29], 7
	s_lshl_b64 s[2:3], s[38:39], 7
	v_lshl_add_u64 v[28:29], v[28:29], 0, s[2:3]
	s_waitcnt vmcnt(0) lgkmcnt(0)
	v_mul_f64 v[42:43], s[24:25], v[42:43]
	v_fmac_f64_e32 v[42:43], s[10:11], v[34:35]
	flat_store_dwordx2 v[36:37], v[42:43]
	flat_load_dwordx2 v[34:35], v[40:41] offset:128
	s_waitcnt vmcnt(0) lgkmcnt(0)
	v_mul_f64 v[34:35], s[24:25], v[34:35]
	v_fmac_f64_e32 v[34:35], s[10:11], v[32:33]
	flat_store_dwordx2 v[36:37], v[34:35] offset:128
	flat_load_dwordx2 v[32:33], v[40:41] offset:256
	s_waitcnt vmcnt(0) lgkmcnt(0)
	v_mul_f64 v[32:33], s[24:25], v[32:33]
	v_fmac_f64_e32 v[32:33], s[10:11], v[30:31]
	flat_store_dwordx2 v[36:37], v[32:33] offset:256
	flat_load_dwordx2 v[30:31], v[40:41] offset:384
	v_lshl_add_u64 v[32:33], v[38:39], 0, s[0:1]
	v_lshl_add_u64 v[34:35], v[32:33], 0, v[26:27]
	s_waitcnt vmcnt(0) lgkmcnt(0)
	v_mul_f64 v[30:31], s[24:25], v[30:31]
	v_fmac_f64_e32 v[30:31], s[10:11], v[24:25]
	flat_store_dwordx2 v[36:37], v[30:31] offset:384
	flat_load_dwordx2 v[24:25], v[34:35]
	v_lshl_add_u64 v[30:31], v[28:29], 0, v[26:27]
	s_waitcnt vmcnt(0) lgkmcnt(0)
	v_mul_f64 v[24:25], s[24:25], v[24:25]
	v_fmac_f64_e32 v[24:25], s[10:11], v[22:23]
	flat_store_dwordx2 v[30:31], v[24:25]
	flat_load_dwordx2 v[22:23], v[34:35] offset:128
	s_waitcnt vmcnt(0) lgkmcnt(0)
	v_mul_f64 v[22:23], s[24:25], v[22:23]
	v_fmac_f64_e32 v[22:23], s[10:11], v[20:21]
	flat_store_dwordx2 v[30:31], v[22:23] offset:128
	flat_load_dwordx2 v[20:21], v[34:35] offset:256
	s_waitcnt vmcnt(0) lgkmcnt(0)
	v_mul_f64 v[20:21], s[24:25], v[20:21]
	v_fmac_f64_e32 v[20:21], s[10:11], v[18:19]
	flat_store_dwordx2 v[30:31], v[20:21] offset:256
	flat_load_dwordx2 v[18:19], v[34:35] offset:384
	v_lshl_add_u64 v[20:21], v[32:33], 0, s[0:1]
	v_lshl_add_u64 v[22:23], v[20:21], 0, v[26:27]
	s_waitcnt vmcnt(0) lgkmcnt(0)
	v_mul_f64 v[18:19], s[24:25], v[18:19]
	v_fmac_f64_e32 v[18:19], s[10:11], v[16:17]
	flat_store_dwordx2 v[30:31], v[18:19] offset:384
	flat_load_dwordx2 v[16:17], v[22:23]
	v_lshl_add_u64 v[18:19], v[28:29], 0, s[2:3]
	v_lshl_add_u64 v[24:25], v[18:19], 0, v[26:27]
	s_waitcnt vmcnt(0) lgkmcnt(0)
	v_mul_f64 v[16:17], s[24:25], v[16:17]
	v_fmac_f64_e32 v[16:17], s[10:11], v[14:15]
	flat_store_dwordx2 v[24:25], v[16:17]
	flat_load_dwordx2 v[14:15], v[22:23] offset:128
	s_waitcnt vmcnt(0) lgkmcnt(0)
	v_mul_f64 v[14:15], s[24:25], v[14:15]
	v_fmac_f64_e32 v[14:15], s[10:11], v[12:13]
	flat_store_dwordx2 v[24:25], v[14:15] offset:128
	flat_load_dwordx2 v[12:13], v[22:23] offset:256
	s_waitcnt vmcnt(0) lgkmcnt(0)
	v_mul_f64 v[12:13], s[24:25], v[12:13]
	v_fmac_f64_e32 v[12:13], s[10:11], v[10:11]
	flat_store_dwordx2 v[24:25], v[12:13] offset:256
	flat_load_dwordx2 v[10:11], v[22:23] offset:384
	v_lshl_add_u64 v[12:13], v[20:21], 0, s[0:1]
	v_lshl_add_u64 v[12:13], v[12:13], 0, v[26:27]
	s_waitcnt vmcnt(0) lgkmcnt(0)
	v_mul_f64 v[10:11], s[24:25], v[10:11]
	v_fmac_f64_e32 v[10:11], s[10:11], v[8:9]
	flat_store_dwordx2 v[24:25], v[10:11] offset:384
	flat_load_dwordx2 v[8:9], v[12:13]
	v_lshl_add_u64 v[10:11], v[18:19], 0, s[2:3]
	s_waitcnt vmcnt(0) lgkmcnt(0)
	v_mul_f64 v[8:9], s[24:25], v[8:9]
	v_fmac_f64_e32 v[8:9], s[10:11], v[6:7]
	v_lshl_add_u64 v[6:7], v[10:11], 0, v[26:27]
	flat_store_dwordx2 v[6:7], v[8:9]
	flat_load_dwordx2 v[8:9], v[12:13] offset:128
	s_waitcnt vmcnt(0) lgkmcnt(0)
	v_mul_f64 v[8:9], s[24:25], v[8:9]
	v_fmac_f64_e32 v[8:9], s[10:11], v[4:5]
	flat_store_dwordx2 v[6:7], v[8:9] offset:128
	flat_load_dwordx2 v[4:5], v[12:13] offset:256
	s_waitcnt vmcnt(0) lgkmcnt(0)
	v_mul_f64 v[4:5], s[24:25], v[4:5]
	v_fmac_f64_e32 v[4:5], s[10:11], v[2:3]
	flat_store_dwordx2 v[6:7], v[4:5] offset:256
	flat_load_dwordx2 v[2:3], v[12:13] offset:384
	s_waitcnt vmcnt(0) lgkmcnt(0)
	v_mul_f64 v[2:3], s[24:25], v[2:3]
	v_fmac_f64_e32 v[2:3], s[10:11], v[0:1]
	flat_store_dwordx2 v[6:7], v[2:3] offset:384
.LBB205_7:
	s_endpgm
.LBB205_8:
	s_branch .LBB205_6
	.section	.rodata,"a",@progbits
	.p2align	6, 0x0
	.amdhsa_kernel _ZN12_GLOBAL__N_127rocblas_gemm_batched_kernelIdLi16ELi16ELi64ELi64ELi4ELi64ELi4ELi4ELi64ELc78ELc78EKPKdS3_KPdEEvlllT_PT11_llS8_llS6_PT12_llPT13_lli
		.amdhsa_group_segment_fixed_size 4096
		.amdhsa_private_segment_fixed_size 0
		.amdhsa_kernarg_size 140
		.amdhsa_user_sgpr_count 2
		.amdhsa_user_sgpr_dispatch_ptr 0
		.amdhsa_user_sgpr_queue_ptr 0
		.amdhsa_user_sgpr_kernarg_segment_ptr 1
		.amdhsa_user_sgpr_dispatch_id 0
		.amdhsa_user_sgpr_kernarg_preload_length 0
		.amdhsa_user_sgpr_kernarg_preload_offset 0
		.amdhsa_user_sgpr_private_segment_size 0
		.amdhsa_uses_dynamic_stack 0
		.amdhsa_enable_private_segment 0
		.amdhsa_system_sgpr_workgroup_id_x 1
		.amdhsa_system_sgpr_workgroup_id_y 1
		.amdhsa_system_sgpr_workgroup_id_z 1
		.amdhsa_system_sgpr_workgroup_info 0
		.amdhsa_system_vgpr_workitem_id 1
		.amdhsa_next_free_vgpr 86
		.amdhsa_next_free_sgpr 44
		.amdhsa_accum_offset 88
		.amdhsa_reserve_vcc 1
		.amdhsa_float_round_mode_32 0
		.amdhsa_float_round_mode_16_64 0
		.amdhsa_float_denorm_mode_32 3
		.amdhsa_float_denorm_mode_16_64 3
		.amdhsa_dx10_clamp 1
		.amdhsa_ieee_mode 1
		.amdhsa_fp16_overflow 0
		.amdhsa_tg_split 0
		.amdhsa_exception_fp_ieee_invalid_op 0
		.amdhsa_exception_fp_denorm_src 0
		.amdhsa_exception_fp_ieee_div_zero 0
		.amdhsa_exception_fp_ieee_overflow 0
		.amdhsa_exception_fp_ieee_underflow 0
		.amdhsa_exception_fp_ieee_inexact 0
		.amdhsa_exception_int_div_zero 0
	.end_amdhsa_kernel
	.section	.text._ZN12_GLOBAL__N_127rocblas_gemm_batched_kernelIdLi16ELi16ELi64ELi64ELi4ELi64ELi4ELi4ELi64ELc78ELc78EKPKdS3_KPdEEvlllT_PT11_llS8_llS6_PT12_llPT13_lli,"axG",@progbits,_ZN12_GLOBAL__N_127rocblas_gemm_batched_kernelIdLi16ELi16ELi64ELi64ELi4ELi64ELi4ELi4ELi64ELc78ELc78EKPKdS3_KPdEEvlllT_PT11_llS8_llS6_PT12_llPT13_lli,comdat
.Lfunc_end205:
	.size	_ZN12_GLOBAL__N_127rocblas_gemm_batched_kernelIdLi16ELi16ELi64ELi64ELi4ELi64ELi4ELi4ELi64ELc78ELc78EKPKdS3_KPdEEvlllT_PT11_llS8_llS6_PT12_llPT13_lli, .Lfunc_end205-_ZN12_GLOBAL__N_127rocblas_gemm_batched_kernelIdLi16ELi16ELi64ELi64ELi4ELi64ELi4ELi4ELi64ELc78ELc78EKPKdS3_KPdEEvlllT_PT11_llS8_llS6_PT12_llPT13_lli
                                        ; -- End function
	.set _ZN12_GLOBAL__N_127rocblas_gemm_batched_kernelIdLi16ELi16ELi64ELi64ELi4ELi64ELi4ELi4ELi64ELc78ELc78EKPKdS3_KPdEEvlllT_PT11_llS8_llS6_PT12_llPT13_lli.num_vgpr, 86
	.set _ZN12_GLOBAL__N_127rocblas_gemm_batched_kernelIdLi16ELi16ELi64ELi64ELi4ELi64ELi4ELi4ELi64ELc78ELc78EKPKdS3_KPdEEvlllT_PT11_llS8_llS6_PT12_llPT13_lli.num_agpr, 0
	.set _ZN12_GLOBAL__N_127rocblas_gemm_batched_kernelIdLi16ELi16ELi64ELi64ELi4ELi64ELi4ELi4ELi64ELc78ELc78EKPKdS3_KPdEEvlllT_PT11_llS8_llS6_PT12_llPT13_lli.numbered_sgpr, 44
	.set _ZN12_GLOBAL__N_127rocblas_gemm_batched_kernelIdLi16ELi16ELi64ELi64ELi4ELi64ELi4ELi4ELi64ELc78ELc78EKPKdS3_KPdEEvlllT_PT11_llS8_llS6_PT12_llPT13_lli.num_named_barrier, 0
	.set _ZN12_GLOBAL__N_127rocblas_gemm_batched_kernelIdLi16ELi16ELi64ELi64ELi4ELi64ELi4ELi4ELi64ELc78ELc78EKPKdS3_KPdEEvlllT_PT11_llS8_llS6_PT12_llPT13_lli.private_seg_size, 0
	.set _ZN12_GLOBAL__N_127rocblas_gemm_batched_kernelIdLi16ELi16ELi64ELi64ELi4ELi64ELi4ELi4ELi64ELc78ELc78EKPKdS3_KPdEEvlllT_PT11_llS8_llS6_PT12_llPT13_lli.uses_vcc, 1
	.set _ZN12_GLOBAL__N_127rocblas_gemm_batched_kernelIdLi16ELi16ELi64ELi64ELi4ELi64ELi4ELi4ELi64ELc78ELc78EKPKdS3_KPdEEvlllT_PT11_llS8_llS6_PT12_llPT13_lli.uses_flat_scratch, 0
	.set _ZN12_GLOBAL__N_127rocblas_gemm_batched_kernelIdLi16ELi16ELi64ELi64ELi4ELi64ELi4ELi4ELi64ELc78ELc78EKPKdS3_KPdEEvlllT_PT11_llS8_llS6_PT12_llPT13_lli.has_dyn_sized_stack, 0
	.set _ZN12_GLOBAL__N_127rocblas_gemm_batched_kernelIdLi16ELi16ELi64ELi64ELi4ELi64ELi4ELi4ELi64ELc78ELc78EKPKdS3_KPdEEvlllT_PT11_llS8_llS6_PT12_llPT13_lli.has_recursion, 0
	.set _ZN12_GLOBAL__N_127rocblas_gemm_batched_kernelIdLi16ELi16ELi64ELi64ELi4ELi64ELi4ELi4ELi64ELc78ELc78EKPKdS3_KPdEEvlllT_PT11_llS8_llS6_PT12_llPT13_lli.has_indirect_call, 0
	.section	.AMDGPU.csdata,"",@progbits
; Kernel info:
; codeLenInByte = 2172
; TotalNumSgprs: 50
; NumVgprs: 86
; NumAgprs: 0
; TotalNumVgprs: 86
; ScratchSize: 0
; MemoryBound: 0
; FloatMode: 240
; IeeeMode: 1
; LDSByteSize: 4096 bytes/workgroup (compile time only)
; SGPRBlocks: 6
; VGPRBlocks: 10
; NumSGPRsForWavesPerEU: 50
; NumVGPRsForWavesPerEU: 86
; AccumOffset: 88
; Occupancy: 5
; WaveLimiterHint : 1
; COMPUTE_PGM_RSRC2:SCRATCH_EN: 0
; COMPUTE_PGM_RSRC2:USER_SGPR: 2
; COMPUTE_PGM_RSRC2:TRAP_HANDLER: 0
; COMPUTE_PGM_RSRC2:TGID_X_EN: 1
; COMPUTE_PGM_RSRC2:TGID_Y_EN: 1
; COMPUTE_PGM_RSRC2:TGID_Z_EN: 1
; COMPUTE_PGM_RSRC2:TIDIG_COMP_CNT: 1
; COMPUTE_PGM_RSRC3_GFX90A:ACCUM_OFFSET: 21
; COMPUTE_PGM_RSRC3_GFX90A:TG_SPLIT: 0
	.section	.text._ZN12_GLOBAL__N_127rocblas_gemm_batched_kernelIdLi16ELi16ELi64ELi64ELi4ELi64ELi4ELi4ELi64ELc84ELc78EKPKdS3_KPdEEvlllT_PT11_llS8_llS6_PT12_llPT13_lli,"axG",@progbits,_ZN12_GLOBAL__N_127rocblas_gemm_batched_kernelIdLi16ELi16ELi64ELi64ELi4ELi64ELi4ELi4ELi64ELc84ELc78EKPKdS3_KPdEEvlllT_PT11_llS8_llS6_PT12_llPT13_lli,comdat
	.globl	_ZN12_GLOBAL__N_127rocblas_gemm_batched_kernelIdLi16ELi16ELi64ELi64ELi4ELi64ELi4ELi4ELi64ELc84ELc78EKPKdS3_KPdEEvlllT_PT11_llS8_llS6_PT12_llPT13_lli ; -- Begin function _ZN12_GLOBAL__N_127rocblas_gemm_batched_kernelIdLi16ELi16ELi64ELi64ELi4ELi64ELi4ELi4ELi64ELc84ELc78EKPKdS3_KPdEEvlllT_PT11_llS8_llS6_PT12_llPT13_lli
	.p2align	8
	.type	_ZN12_GLOBAL__N_127rocblas_gemm_batched_kernelIdLi16ELi16ELi64ELi64ELi4ELi64ELi4ELi4ELi64ELc84ELc78EKPKdS3_KPdEEvlllT_PT11_llS8_llS6_PT12_llPT13_lli,@function
_ZN12_GLOBAL__N_127rocblas_gemm_batched_kernelIdLi16ELi16ELi64ELi64ELi4ELi64ELi4ELi4ELi64ELc84ELc78EKPKdS3_KPdEEvlllT_PT11_llS8_llS6_PT12_llPT13_lli: ; @_ZN12_GLOBAL__N_127rocblas_gemm_batched_kernelIdLi16ELi16ELi64ELi64ELi4ELi64ELi4ELi4ELi64ELc84ELc78EKPKdS3_KPdEEvlllT_PT11_llS8_llS6_PT12_llPT13_lli
; %bb.0:
	s_load_dwordx16 s[8:23], s[0:1], 0x10
	s_load_dwordx8 s[36:43], s[0:1], 0x70
	s_load_dwordx8 s[24:31], s[0:1], 0x50
	s_mov_b32 s5, 0
	s_lshl_b64 s[34:35], s[4:5], 3
	s_mov_b32 s6, s3
	v_mov_b32_e32 v27, 0
	s_waitcnt lgkmcnt(0)
	s_add_u32 s0, s26, s34
	s_addc_u32 s1, s27, s35
	s_add_u32 s4, s36, s34
	s_addc_u32 s5, s37, s35
	s_load_dwordx2 s[0:1], s[0:1], 0x0
	s_ashr_i32 s3, s2, 31
	s_load_dwordx2 s[4:5], s[4:5], 0x0
	s_ashr_i32 s7, s6, 31
	v_cmp_lt_i64_e64 s[26:27], s[8:9], 1
	v_bfe_u32 v26, v0, 10, 10
	v_and_b32_e32 v28, 0x3ff, v0
	v_mov_b32_e32 v29, v27
	s_lshl_b64 s[2:3], s[2:3], 6
	s_lshl_b64 s[6:7], s[6:7], 6
	s_and_b64 vcc, exec, s[26:27]
	s_cbranch_vccnz .LBB206_3
; %bb.1:
	v_lshl_add_u32 v6, v26, 4, v28
	s_add_u32 s12, s12, s34
	v_lshrrev_b32_e32 v0, 2, v6
	v_mov_b32_e32 v1, v27
	v_and_b32_e32 v4, 63, v6
	s_addc_u32 s13, s13, s35
	v_lshl_add_u64 v[2:3], v[0:1], 0, s[6:7]
	v_and_b32_e32 v1, 3, v28
	v_lshrrev_b32_e32 v8, 6, v6
	v_lshlrev_b32_e32 v6, 3, v4
	s_add_u32 s18, s18, s34
	v_lshl_or_b32 v42, v8, 9, v6
	v_lshlrev_b32_e32 v6, 3, v1
	s_addc_u32 s19, s19, s35
	v_lshl_or_b32 v0, v0, 5, v6
	s_load_dwordx2 s[18:19], s[18:19], 0x0
	v_add_u32_e32 v43, 0x800, v0
	v_mov_b32_e32 v0, 0x800
	v_lshl_add_u32 v45, v26, 5, v0
	v_mul_lo_u32 v7, s21, v2
	v_mul_lo_u32 v3, s20, v3
	v_mad_u64_u32 v[0:1], s[20:21], s20, v2, 0
	v_add3_u32 v1, v1, v3, v7
	s_lshl_b64 s[20:21], s[22:23], 3
	v_lshl_add_u64 v[0:1], v[0:1], 3, s[20:21]
	v_mov_b32_e32 v7, v27
	v_mov_b32_e32 v5, v27
	v_lshl_add_u64 v[0:1], v[0:1], 0, v[6:7]
	s_load_dwordx2 s[12:13], s[12:13], 0x0
	s_waitcnt lgkmcnt(0)
	v_lshl_add_u64 v[36:37], s[18:19], 0, v[0:1]
	v_lshl_add_u64 v[0:1], s[2:3], 0, v[4:5]
	v_mul_lo_u32 v2, s15, v0
	v_mul_lo_u32 v3, s14, v1
	v_mad_u64_u32 v[0:1], s[14:15], s14, v0, 0
	v_add3_u32 v1, v1, v3, v2
	s_lshl_b64 s[14:15], s[16:17], 3
	v_lshl_add_u64 v[0:1], v[0:1], 3, s[14:15]
	v_lshlrev_b32_e32 v2, 3, v8
	v_mov_b32_e32 v3, v27
	v_lshl_add_u64 v[0:1], v[0:1], 0, v[2:3]
	v_lshlrev_b32_e32 v44, 3, v28
	v_lshl_add_u64 v[38:39], s[12:13], 0, v[0:1]
	s_mov_b64 s[12:13], 0
	v_mov_b64_e32 v[0:1], 0
	v_mov_b64_e32 v[40:41], s[8:9]
	;; [unrolled: 1-line block ×17, first 2 shown]
.LBB206_2:                              ; =>This Inner Loop Header: Depth=1
	flat_load_dwordx2 v[46:47], v[38:39]
	s_add_u32 s12, s12, 4
	s_addc_u32 s13, s13, 0
	v_cmp_lt_i64_e32 vcc, s[12:13], v[40:41]
	v_lshl_add_u64 v[38:39], v[38:39], 0, 32
	s_and_b64 vcc, exec, vcc
	s_waitcnt vmcnt(0) lgkmcnt(0)
	ds_write_b64 v42, v[46:47]
	flat_load_dwordx2 v[46:47], v[36:37]
	v_lshl_add_u64 v[36:37], v[36:37], 0, 32
	s_waitcnt vmcnt(0) lgkmcnt(0)
	ds_write_b64 v43, v[46:47]
	s_waitcnt lgkmcnt(0)
	s_barrier
	ds_read2_b64 v[46:49], v44 offset1:16
	ds_read_b128 v[50:53], v45 offset:1536
	ds_read_b128 v[54:57], v45
	ds_read_b128 v[58:61], v45 offset:16
	ds_read_b128 v[62:65], v45 offset:512
	ds_read_b128 v[66:69], v45 offset:528
	ds_read_b128 v[70:73], v45 offset:1024
	ds_read_b128 v[74:77], v45 offset:1040
	s_waitcnt lgkmcnt(5)
	v_fmac_f64_e32 v[34:35], v[46:47], v[54:55]
	v_fmac_f64_e32 v[32:33], v[48:49], v[54:55]
	s_waitcnt lgkmcnt(3)
	v_fmac_f64_e32 v[22:23], v[46:47], v[62:63]
	v_fmac_f64_e32 v[20:21], v[48:49], v[62:63]
	;; [unrolled: 3-line block ×3, first 2 shown]
	v_fmac_f64_e32 v[6:7], v[46:47], v[50:51]
	v_fmac_f64_e32 v[4:5], v[48:49], v[50:51]
	ds_read2_b64 v[46:49], v44 offset0:32 offset1:48
	ds_read2_b64 v[82:85], v44 offset0:96 offset1:112
	ds_read_b128 v[78:81], v45 offset:1552
	s_waitcnt lgkmcnt(2)
	v_fmac_f64_e32 v[30:31], v[46:47], v[54:55]
	v_fmac_f64_e32 v[24:25], v[48:49], v[54:55]
	;; [unrolled: 1-line block ×8, first 2 shown]
	ds_read2_b64 v[46:49], v44 offset0:64 offset1:80
	s_waitcnt lgkmcnt(2)
	v_fmac_f64_e32 v[30:31], v[82:83], v[56:57]
	v_fmac_f64_e32 v[24:25], v[84:85], v[56:57]
	;; [unrolled: 1-line block ×4, first 2 shown]
	s_waitcnt lgkmcnt(0)
	v_fmac_f64_e32 v[34:35], v[46:47], v[56:57]
	v_fmac_f64_e32 v[32:33], v[48:49], v[56:57]
	;; [unrolled: 1-line block ×6, first 2 shown]
	ds_read2_b64 v[54:57], v44 offset0:128 offset1:144
	v_fmac_f64_e32 v[6:7], v[46:47], v[52:53]
	v_fmac_f64_e32 v[4:5], v[48:49], v[52:53]
	ds_read2_b64 v[46:49], v44 offset0:160 offset1:176
	v_fmac_f64_e32 v[2:3], v[82:83], v[52:53]
	v_fmac_f64_e32 v[0:1], v[84:85], v[52:53]
	ds_read2_b64 v[50:53], v44 offset0:192 offset1:208
	ds_read2_b64 v[62:65], v44 offset0:224 offset1:240
	v_fmac_f64_e32 v[10:11], v[82:83], v[72:73]
	v_fmac_f64_e32 v[8:9], v[84:85], v[72:73]
	s_waitcnt lgkmcnt(3)
	v_fmac_f64_e32 v[34:35], v[54:55], v[58:59]
	v_fmac_f64_e32 v[32:33], v[56:57], v[58:59]
	;; [unrolled: 1-line block ×8, first 2 shown]
	s_waitcnt lgkmcnt(2)
	v_fmac_f64_e32 v[30:31], v[46:47], v[58:59]
	v_fmac_f64_e32 v[24:25], v[48:49], v[58:59]
	;; [unrolled: 1-line block ×8, first 2 shown]
	s_waitcnt lgkmcnt(1)
	v_fmac_f64_e32 v[34:35], v[50:51], v[60:61]
	v_fmac_f64_e32 v[32:33], v[52:53], v[60:61]
	s_waitcnt lgkmcnt(0)
	v_fmac_f64_e32 v[30:31], v[62:63], v[60:61]
	v_fmac_f64_e32 v[24:25], v[64:65], v[60:61]
	;; [unrolled: 1-line block ×14, first 2 shown]
	s_barrier
	s_cbranch_vccnz .LBB206_2
	s_branch .LBB206_4
.LBB206_3:
	v_mov_b64_e32 v[34:35], 0
	v_mov_b64_e32 v[32:33], 0
	;; [unrolled: 1-line block ×16, first 2 shown]
.LBB206_4:
	s_lshl_b64 s[8:9], s[40:41], 3
	s_waitcnt lgkmcnt(0)
	s_add_u32 s4, s4, s8
	s_addc_u32 s5, s5, s9
	v_lshl_add_u64 v[36:37], s[6:7], 0, v[26:27]
	v_cmp_neq_f64_e64 s[8:9], s[24:25], 0
	v_lshl_add_u64 v[26:27], s[2:3], 0, v[28:29]
	s_mov_b64 s[6:7], 0
	s_and_b64 vcc, exec, s[8:9]
	v_mul_lo_u32 v28, v37, s38
	v_mul_lo_u32 v29, v36, s39
	v_lshlrev_b64 v[26:27], 3, v[26:27]
	s_cbranch_vccnz .LBB206_8
; %bb.5:
	v_mad_u64_u32 v[38:39], s[2:3], v36, s38, 0
	v_add3_u32 v39, v39, v29, v28
	v_lshl_add_u64 v[38:39], v[38:39], 3, s[4:5]
	v_mul_f64 v[40:41], s[10:11], v[34:35]
	v_lshl_add_u64 v[42:43], v[38:39], 0, v[26:27]
	flat_store_dwordx2 v[42:43], v[40:41]
	v_mul_f64 v[40:41], s[10:11], v[32:33]
	flat_store_dwordx2 v[42:43], v[40:41] offset:128
	v_mul_f64 v[40:41], s[10:11], v[30:31]
	s_lshl_b64 s[2:3], s[38:39], 7
	flat_store_dwordx2 v[42:43], v[40:41] offset:256
	v_mul_f64 v[40:41], s[10:11], v[24:25]
	v_lshl_add_u64 v[38:39], v[38:39], 0, s[2:3]
	flat_store_dwordx2 v[42:43], v[40:41] offset:384
	v_mul_f64 v[40:41], s[10:11], v[22:23]
	v_lshl_add_u64 v[42:43], v[38:39], 0, v[26:27]
	flat_store_dwordx2 v[42:43], v[40:41]
	v_mul_f64 v[40:41], s[10:11], v[20:21]
	flat_store_dwordx2 v[42:43], v[40:41] offset:128
	v_mul_f64 v[40:41], s[10:11], v[18:19]
	flat_store_dwordx2 v[42:43], v[40:41] offset:256
	v_mul_f64 v[40:41], s[10:11], v[16:17]
	v_lshl_add_u64 v[38:39], v[38:39], 0, s[2:3]
	flat_store_dwordx2 v[42:43], v[40:41] offset:384
	v_mul_f64 v[40:41], s[10:11], v[14:15]
	v_lshl_add_u64 v[42:43], v[38:39], 0, v[26:27]
	flat_store_dwordx2 v[42:43], v[40:41]
	v_mul_f64 v[40:41], s[10:11], v[12:13]
	flat_store_dwordx2 v[42:43], v[40:41] offset:128
	v_mul_f64 v[40:41], s[10:11], v[10:11]
	;; [unrolled: 10-line block ×3, first 2 shown]
	flat_store_dwordx2 v[38:39], v[40:41] offset:256
	v_mul_f64 v[40:41], s[10:11], v[0:1]
	flat_store_dwordx2 v[38:39], v[40:41] offset:384
	s_andn2_b64 vcc, exec, s[6:7]
	s_cbranch_vccnz .LBB206_7
.LBB206_6:
	s_lshl_b64 s[2:3], s[30:31], 3
	s_add_u32 s0, s0, s2
	s_addc_u32 s1, s1, s3
	v_mul_lo_u32 v37, v37, s28
	v_mul_lo_u32 v40, v36, s29
	v_mad_u64_u32 v[38:39], s[2:3], v36, s28, 0
	v_add3_u32 v39, v39, v40, v37
	v_lshl_add_u64 v[38:39], v[38:39], 3, s[0:1]
	v_lshl_add_u64 v[40:41], v[38:39], 0, v[26:27]
	flat_load_dwordx2 v[42:43], v[40:41]
	v_mad_u64_u32 v[36:37], s[0:1], v36, s38, 0
	v_add3_u32 v37, v37, v29, v28
	v_lshl_add_u64 v[28:29], v[36:37], 3, s[4:5]
	v_lshl_add_u64 v[36:37], v[28:29], 0, v[26:27]
	s_lshl_b64 s[0:1], s[28:29], 7
	s_lshl_b64 s[2:3], s[38:39], 7
	v_lshl_add_u64 v[28:29], v[28:29], 0, s[2:3]
	s_waitcnt vmcnt(0) lgkmcnt(0)
	v_mul_f64 v[42:43], s[24:25], v[42:43]
	v_fmac_f64_e32 v[42:43], s[10:11], v[34:35]
	flat_store_dwordx2 v[36:37], v[42:43]
	flat_load_dwordx2 v[34:35], v[40:41] offset:128
	s_waitcnt vmcnt(0) lgkmcnt(0)
	v_mul_f64 v[34:35], s[24:25], v[34:35]
	v_fmac_f64_e32 v[34:35], s[10:11], v[32:33]
	flat_store_dwordx2 v[36:37], v[34:35] offset:128
	flat_load_dwordx2 v[32:33], v[40:41] offset:256
	s_waitcnt vmcnt(0) lgkmcnt(0)
	v_mul_f64 v[32:33], s[24:25], v[32:33]
	v_fmac_f64_e32 v[32:33], s[10:11], v[30:31]
	flat_store_dwordx2 v[36:37], v[32:33] offset:256
	flat_load_dwordx2 v[30:31], v[40:41] offset:384
	v_lshl_add_u64 v[32:33], v[38:39], 0, s[0:1]
	v_lshl_add_u64 v[34:35], v[32:33], 0, v[26:27]
	s_waitcnt vmcnt(0) lgkmcnt(0)
	v_mul_f64 v[30:31], s[24:25], v[30:31]
	v_fmac_f64_e32 v[30:31], s[10:11], v[24:25]
	flat_store_dwordx2 v[36:37], v[30:31] offset:384
	flat_load_dwordx2 v[24:25], v[34:35]
	v_lshl_add_u64 v[30:31], v[28:29], 0, v[26:27]
	s_waitcnt vmcnt(0) lgkmcnt(0)
	v_mul_f64 v[24:25], s[24:25], v[24:25]
	v_fmac_f64_e32 v[24:25], s[10:11], v[22:23]
	flat_store_dwordx2 v[30:31], v[24:25]
	flat_load_dwordx2 v[22:23], v[34:35] offset:128
	s_waitcnt vmcnt(0) lgkmcnt(0)
	v_mul_f64 v[22:23], s[24:25], v[22:23]
	v_fmac_f64_e32 v[22:23], s[10:11], v[20:21]
	flat_store_dwordx2 v[30:31], v[22:23] offset:128
	flat_load_dwordx2 v[20:21], v[34:35] offset:256
	s_waitcnt vmcnt(0) lgkmcnt(0)
	v_mul_f64 v[20:21], s[24:25], v[20:21]
	v_fmac_f64_e32 v[20:21], s[10:11], v[18:19]
	flat_store_dwordx2 v[30:31], v[20:21] offset:256
	flat_load_dwordx2 v[18:19], v[34:35] offset:384
	v_lshl_add_u64 v[20:21], v[32:33], 0, s[0:1]
	v_lshl_add_u64 v[22:23], v[20:21], 0, v[26:27]
	s_waitcnt vmcnt(0) lgkmcnt(0)
	v_mul_f64 v[18:19], s[24:25], v[18:19]
	v_fmac_f64_e32 v[18:19], s[10:11], v[16:17]
	flat_store_dwordx2 v[30:31], v[18:19] offset:384
	flat_load_dwordx2 v[16:17], v[22:23]
	v_lshl_add_u64 v[18:19], v[28:29], 0, s[2:3]
	v_lshl_add_u64 v[24:25], v[18:19], 0, v[26:27]
	s_waitcnt vmcnt(0) lgkmcnt(0)
	v_mul_f64 v[16:17], s[24:25], v[16:17]
	v_fmac_f64_e32 v[16:17], s[10:11], v[14:15]
	flat_store_dwordx2 v[24:25], v[16:17]
	flat_load_dwordx2 v[14:15], v[22:23] offset:128
	s_waitcnt vmcnt(0) lgkmcnt(0)
	v_mul_f64 v[14:15], s[24:25], v[14:15]
	v_fmac_f64_e32 v[14:15], s[10:11], v[12:13]
	flat_store_dwordx2 v[24:25], v[14:15] offset:128
	flat_load_dwordx2 v[12:13], v[22:23] offset:256
	s_waitcnt vmcnt(0) lgkmcnt(0)
	v_mul_f64 v[12:13], s[24:25], v[12:13]
	v_fmac_f64_e32 v[12:13], s[10:11], v[10:11]
	flat_store_dwordx2 v[24:25], v[12:13] offset:256
	flat_load_dwordx2 v[10:11], v[22:23] offset:384
	v_lshl_add_u64 v[12:13], v[20:21], 0, s[0:1]
	v_lshl_add_u64 v[12:13], v[12:13], 0, v[26:27]
	s_waitcnt vmcnt(0) lgkmcnt(0)
	v_mul_f64 v[10:11], s[24:25], v[10:11]
	v_fmac_f64_e32 v[10:11], s[10:11], v[8:9]
	flat_store_dwordx2 v[24:25], v[10:11] offset:384
	flat_load_dwordx2 v[8:9], v[12:13]
	v_lshl_add_u64 v[10:11], v[18:19], 0, s[2:3]
	s_waitcnt vmcnt(0) lgkmcnt(0)
	v_mul_f64 v[8:9], s[24:25], v[8:9]
	v_fmac_f64_e32 v[8:9], s[10:11], v[6:7]
	v_lshl_add_u64 v[6:7], v[10:11], 0, v[26:27]
	flat_store_dwordx2 v[6:7], v[8:9]
	flat_load_dwordx2 v[8:9], v[12:13] offset:128
	s_waitcnt vmcnt(0) lgkmcnt(0)
	v_mul_f64 v[8:9], s[24:25], v[8:9]
	v_fmac_f64_e32 v[8:9], s[10:11], v[4:5]
	flat_store_dwordx2 v[6:7], v[8:9] offset:128
	flat_load_dwordx2 v[4:5], v[12:13] offset:256
	s_waitcnt vmcnt(0) lgkmcnt(0)
	v_mul_f64 v[4:5], s[24:25], v[4:5]
	v_fmac_f64_e32 v[4:5], s[10:11], v[2:3]
	flat_store_dwordx2 v[6:7], v[4:5] offset:256
	;; [unrolled: 5-line block ×3, first 2 shown]
.LBB206_7:
	s_endpgm
.LBB206_8:
	s_branch .LBB206_6
	.section	.rodata,"a",@progbits
	.p2align	6, 0x0
	.amdhsa_kernel _ZN12_GLOBAL__N_127rocblas_gemm_batched_kernelIdLi16ELi16ELi64ELi64ELi4ELi64ELi4ELi4ELi64ELc84ELc78EKPKdS3_KPdEEvlllT_PT11_llS8_llS6_PT12_llPT13_lli
		.amdhsa_group_segment_fixed_size 4096
		.amdhsa_private_segment_fixed_size 0
		.amdhsa_kernarg_size 140
		.amdhsa_user_sgpr_count 2
		.amdhsa_user_sgpr_dispatch_ptr 0
		.amdhsa_user_sgpr_queue_ptr 0
		.amdhsa_user_sgpr_kernarg_segment_ptr 1
		.amdhsa_user_sgpr_dispatch_id 0
		.amdhsa_user_sgpr_kernarg_preload_length 0
		.amdhsa_user_sgpr_kernarg_preload_offset 0
		.amdhsa_user_sgpr_private_segment_size 0
		.amdhsa_uses_dynamic_stack 0
		.amdhsa_enable_private_segment 0
		.amdhsa_system_sgpr_workgroup_id_x 1
		.amdhsa_system_sgpr_workgroup_id_y 1
		.amdhsa_system_sgpr_workgroup_id_z 1
		.amdhsa_system_sgpr_workgroup_info 0
		.amdhsa_system_vgpr_workitem_id 1
		.amdhsa_next_free_vgpr 86
		.amdhsa_next_free_sgpr 44
		.amdhsa_accum_offset 88
		.amdhsa_reserve_vcc 1
		.amdhsa_float_round_mode_32 0
		.amdhsa_float_round_mode_16_64 0
		.amdhsa_float_denorm_mode_32 3
		.amdhsa_float_denorm_mode_16_64 3
		.amdhsa_dx10_clamp 1
		.amdhsa_ieee_mode 1
		.amdhsa_fp16_overflow 0
		.amdhsa_tg_split 0
		.amdhsa_exception_fp_ieee_invalid_op 0
		.amdhsa_exception_fp_denorm_src 0
		.amdhsa_exception_fp_ieee_div_zero 0
		.amdhsa_exception_fp_ieee_overflow 0
		.amdhsa_exception_fp_ieee_underflow 0
		.amdhsa_exception_fp_ieee_inexact 0
		.amdhsa_exception_int_div_zero 0
	.end_amdhsa_kernel
	.section	.text._ZN12_GLOBAL__N_127rocblas_gemm_batched_kernelIdLi16ELi16ELi64ELi64ELi4ELi64ELi4ELi4ELi64ELc84ELc78EKPKdS3_KPdEEvlllT_PT11_llS8_llS6_PT12_llPT13_lli,"axG",@progbits,_ZN12_GLOBAL__N_127rocblas_gemm_batched_kernelIdLi16ELi16ELi64ELi64ELi4ELi64ELi4ELi4ELi64ELc84ELc78EKPKdS3_KPdEEvlllT_PT11_llS8_llS6_PT12_llPT13_lli,comdat
.Lfunc_end206:
	.size	_ZN12_GLOBAL__N_127rocblas_gemm_batched_kernelIdLi16ELi16ELi64ELi64ELi4ELi64ELi4ELi4ELi64ELc84ELc78EKPKdS3_KPdEEvlllT_PT11_llS8_llS6_PT12_llPT13_lli, .Lfunc_end206-_ZN12_GLOBAL__N_127rocblas_gemm_batched_kernelIdLi16ELi16ELi64ELi64ELi4ELi64ELi4ELi4ELi64ELc84ELc78EKPKdS3_KPdEEvlllT_PT11_llS8_llS6_PT12_llPT13_lli
                                        ; -- End function
	.set _ZN12_GLOBAL__N_127rocblas_gemm_batched_kernelIdLi16ELi16ELi64ELi64ELi4ELi64ELi4ELi4ELi64ELc84ELc78EKPKdS3_KPdEEvlllT_PT11_llS8_llS6_PT12_llPT13_lli.num_vgpr, 86
	.set _ZN12_GLOBAL__N_127rocblas_gemm_batched_kernelIdLi16ELi16ELi64ELi64ELi4ELi64ELi4ELi4ELi64ELc84ELc78EKPKdS3_KPdEEvlllT_PT11_llS8_llS6_PT12_llPT13_lli.num_agpr, 0
	.set _ZN12_GLOBAL__N_127rocblas_gemm_batched_kernelIdLi16ELi16ELi64ELi64ELi4ELi64ELi4ELi4ELi64ELc84ELc78EKPKdS3_KPdEEvlllT_PT11_llS8_llS6_PT12_llPT13_lli.numbered_sgpr, 44
	.set _ZN12_GLOBAL__N_127rocblas_gemm_batched_kernelIdLi16ELi16ELi64ELi64ELi4ELi64ELi4ELi4ELi64ELc84ELc78EKPKdS3_KPdEEvlllT_PT11_llS8_llS6_PT12_llPT13_lli.num_named_barrier, 0
	.set _ZN12_GLOBAL__N_127rocblas_gemm_batched_kernelIdLi16ELi16ELi64ELi64ELi4ELi64ELi4ELi4ELi64ELc84ELc78EKPKdS3_KPdEEvlllT_PT11_llS8_llS6_PT12_llPT13_lli.private_seg_size, 0
	.set _ZN12_GLOBAL__N_127rocblas_gemm_batched_kernelIdLi16ELi16ELi64ELi64ELi4ELi64ELi4ELi4ELi64ELc84ELc78EKPKdS3_KPdEEvlllT_PT11_llS8_llS6_PT12_llPT13_lli.uses_vcc, 1
	.set _ZN12_GLOBAL__N_127rocblas_gemm_batched_kernelIdLi16ELi16ELi64ELi64ELi4ELi64ELi4ELi4ELi64ELc84ELc78EKPKdS3_KPdEEvlllT_PT11_llS8_llS6_PT12_llPT13_lli.uses_flat_scratch, 0
	.set _ZN12_GLOBAL__N_127rocblas_gemm_batched_kernelIdLi16ELi16ELi64ELi64ELi4ELi64ELi4ELi4ELi64ELc84ELc78EKPKdS3_KPdEEvlllT_PT11_llS8_llS6_PT12_llPT13_lli.has_dyn_sized_stack, 0
	.set _ZN12_GLOBAL__N_127rocblas_gemm_batched_kernelIdLi16ELi16ELi64ELi64ELi4ELi64ELi4ELi4ELi64ELc84ELc78EKPKdS3_KPdEEvlllT_PT11_llS8_llS6_PT12_llPT13_lli.has_recursion, 0
	.set _ZN12_GLOBAL__N_127rocblas_gemm_batched_kernelIdLi16ELi16ELi64ELi64ELi4ELi64ELi4ELi4ELi64ELc84ELc78EKPKdS3_KPdEEvlllT_PT11_llS8_llS6_PT12_llPT13_lli.has_indirect_call, 0
	.section	.AMDGPU.csdata,"",@progbits
; Kernel info:
; codeLenInByte = 2188
; TotalNumSgprs: 50
; NumVgprs: 86
; NumAgprs: 0
; TotalNumVgprs: 86
; ScratchSize: 0
; MemoryBound: 0
; FloatMode: 240
; IeeeMode: 1
; LDSByteSize: 4096 bytes/workgroup (compile time only)
; SGPRBlocks: 6
; VGPRBlocks: 10
; NumSGPRsForWavesPerEU: 50
; NumVGPRsForWavesPerEU: 86
; AccumOffset: 88
; Occupancy: 5
; WaveLimiterHint : 1
; COMPUTE_PGM_RSRC2:SCRATCH_EN: 0
; COMPUTE_PGM_RSRC2:USER_SGPR: 2
; COMPUTE_PGM_RSRC2:TRAP_HANDLER: 0
; COMPUTE_PGM_RSRC2:TGID_X_EN: 1
; COMPUTE_PGM_RSRC2:TGID_Y_EN: 1
; COMPUTE_PGM_RSRC2:TGID_Z_EN: 1
; COMPUTE_PGM_RSRC2:TIDIG_COMP_CNT: 1
; COMPUTE_PGM_RSRC3_GFX90A:ACCUM_OFFSET: 21
; COMPUTE_PGM_RSRC3_GFX90A:TG_SPLIT: 0
	.section	.text._ZN12_GLOBAL__N_127rocblas_gemm_batched_kernelIdLi16ELi16ELi64ELi64ELi4ELi64ELi4ELi4ELi64ELc78ELc84EKPKdS3_KPdEEvlllT_PT11_llS8_llS6_PT12_llPT13_lli,"axG",@progbits,_ZN12_GLOBAL__N_127rocblas_gemm_batched_kernelIdLi16ELi16ELi64ELi64ELi4ELi64ELi4ELi4ELi64ELc78ELc84EKPKdS3_KPdEEvlllT_PT11_llS8_llS6_PT12_llPT13_lli,comdat
	.globl	_ZN12_GLOBAL__N_127rocblas_gemm_batched_kernelIdLi16ELi16ELi64ELi64ELi4ELi64ELi4ELi4ELi64ELc78ELc84EKPKdS3_KPdEEvlllT_PT11_llS8_llS6_PT12_llPT13_lli ; -- Begin function _ZN12_GLOBAL__N_127rocblas_gemm_batched_kernelIdLi16ELi16ELi64ELi64ELi4ELi64ELi4ELi4ELi64ELc78ELc84EKPKdS3_KPdEEvlllT_PT11_llS8_llS6_PT12_llPT13_lli
	.p2align	8
	.type	_ZN12_GLOBAL__N_127rocblas_gemm_batched_kernelIdLi16ELi16ELi64ELi64ELi4ELi64ELi4ELi4ELi64ELc78ELc84EKPKdS3_KPdEEvlllT_PT11_llS8_llS6_PT12_llPT13_lli,@function
_ZN12_GLOBAL__N_127rocblas_gemm_batched_kernelIdLi16ELi16ELi64ELi64ELi4ELi64ELi4ELi4ELi64ELc78ELc84EKPKdS3_KPdEEvlllT_PT11_llS8_llS6_PT12_llPT13_lli: ; @_ZN12_GLOBAL__N_127rocblas_gemm_batched_kernelIdLi16ELi16ELi64ELi64ELi4ELi64ELi4ELi4ELi64ELc78ELc84EKPKdS3_KPdEEvlllT_PT11_llS8_llS6_PT12_llPT13_lli
; %bb.0:
	s_load_dwordx16 s[8:23], s[0:1], 0x10
	s_load_dwordx8 s[36:43], s[0:1], 0x70
	s_load_dwordx8 s[24:31], s[0:1], 0x50
	s_mov_b32 s5, 0
	s_lshl_b64 s[34:35], s[4:5], 3
	s_mov_b32 s6, s3
	v_mov_b32_e32 v27, 0
	s_waitcnt lgkmcnt(0)
	s_add_u32 s0, s26, s34
	s_addc_u32 s1, s27, s35
	s_add_u32 s4, s36, s34
	s_addc_u32 s5, s37, s35
	s_load_dwordx2 s[0:1], s[0:1], 0x0
	s_ashr_i32 s3, s2, 31
	s_load_dwordx2 s[4:5], s[4:5], 0x0
	s_ashr_i32 s7, s6, 31
	v_cmp_lt_i64_e64 s[26:27], s[8:9], 1
	v_bfe_u32 v26, v0, 10, 10
	v_and_b32_e32 v28, 0x3ff, v0
	v_mov_b32_e32 v29, v27
	s_lshl_b64 s[2:3], s[2:3], 6
	s_lshl_b64 s[6:7], s[6:7], 6
	s_and_b64 vcc, exec, s[26:27]
	s_cbranch_vccnz .LBB207_3
; %bb.1:
	s_add_u32 s12, s12, s34
	s_addc_u32 s13, s13, s35
	v_lshl_add_u32 v4, v26, 4, v28
	s_load_dwordx2 s[26:27], s[12:13], 0x0
	s_add_u32 s12, s18, s34
	v_and_b32_e32 v2, 63, v4
	s_addc_u32 s13, s19, s35
	v_lshrrev_b32_e32 v0, 2, v4
	v_and_b32_e32 v5, 3, v28
	v_lshrrev_b32_e32 v6, 6, v4
	v_lshlrev_b32_e32 v4, 3, v2
	s_load_dwordx2 s[12:13], s[12:13], 0x0
	v_lshl_or_b32 v42, v6, 9, v4
	v_lshlrev_b32_e32 v4, 3, v5
	v_mov_b32_e32 v1, v27
	v_lshl_or_b32 v4, v0, 5, v4
	v_add_u32_e32 v43, 0x800, v4
	v_mov_b32_e32 v4, 0x800
	s_lshl_b64 s[18:19], s[22:23], 3
	v_mad_u64_u32 v[0:1], s[22:23], s20, v5, v[0:1]
	v_lshl_add_u32 v45, v26, 5, v4
	v_mov_b32_e32 v4, v1
	v_mad_u64_u32 v[4:5], s[22:23], s21, v5, v[4:5]
	v_mov_b32_e32 v1, v4
	s_waitcnt lgkmcnt(0)
	s_add_u32 s12, s12, s18
	v_lshl_add_u64 v[0:1], v[0:1], 0, s[6:7]
	s_addc_u32 s13, s13, s19
	v_lshl_add_u64 v[36:37], v[0:1], 3, s[12:13]
	v_mov_b64_e32 v[0:1], s[2:3]
	v_mad_u64_u32 v[0:1], s[18:19], s14, v6, v[0:1]
	v_mov_b32_e32 v4, v1
	s_lshl_b64 s[12:13], s[20:21], 5
	s_lshl_b64 s[16:17], s[16:17], 3
	v_mad_u64_u32 v[4:5], s[18:19], s15, v6, v[4:5]
	v_mov_b32_e32 v3, v27
	v_mov_b32_e32 v1, v4
	s_add_u32 s16, s26, s16
	v_lshl_add_u64 v[0:1], v[0:1], 0, v[2:3]
	s_addc_u32 s17, s27, s17
	v_lshlrev_b32_e32 v44, 3, v28
	v_lshl_add_u64 v[38:39], v[0:1], 3, s[16:17]
	s_lshl_b64 s[14:15], s[14:15], 5
	s_mov_b64 s[16:17], 0
	v_mov_b64_e32 v[0:1], 0
	v_mov_b64_e32 v[40:41], s[8:9]
	;; [unrolled: 1-line block ×17, first 2 shown]
.LBB207_2:                              ; =>This Inner Loop Header: Depth=1
	flat_load_dwordx2 v[46:47], v[38:39]
	s_add_u32 s16, s16, 4
	s_addc_u32 s17, s17, 0
	v_cmp_lt_i64_e32 vcc, s[16:17], v[40:41]
	v_lshl_add_u64 v[38:39], v[38:39], 0, s[14:15]
	s_and_b64 vcc, exec, vcc
	s_waitcnt vmcnt(0) lgkmcnt(0)
	ds_write_b64 v42, v[46:47]
	flat_load_dwordx2 v[46:47], v[36:37]
	v_lshl_add_u64 v[36:37], v[36:37], 0, s[12:13]
	s_waitcnt vmcnt(0) lgkmcnt(0)
	ds_write_b64 v43, v[46:47]
	s_waitcnt lgkmcnt(0)
	s_barrier
	ds_read2_b64 v[46:49], v44 offset1:16
	ds_read_b128 v[50:53], v45 offset:1536
	ds_read_b128 v[54:57], v45
	ds_read_b128 v[58:61], v45 offset:16
	ds_read_b128 v[62:65], v45 offset:512
	ds_read_b128 v[66:69], v45 offset:528
	ds_read_b128 v[70:73], v45 offset:1024
	ds_read_b128 v[74:77], v45 offset:1040
	s_waitcnt lgkmcnt(5)
	v_fmac_f64_e32 v[34:35], v[46:47], v[54:55]
	v_fmac_f64_e32 v[32:33], v[48:49], v[54:55]
	s_waitcnt lgkmcnt(3)
	v_fmac_f64_e32 v[22:23], v[46:47], v[62:63]
	v_fmac_f64_e32 v[20:21], v[48:49], v[62:63]
	;; [unrolled: 3-line block ×3, first 2 shown]
	v_fmac_f64_e32 v[6:7], v[46:47], v[50:51]
	v_fmac_f64_e32 v[4:5], v[48:49], v[50:51]
	ds_read2_b64 v[46:49], v44 offset0:32 offset1:48
	ds_read2_b64 v[82:85], v44 offset0:96 offset1:112
	ds_read_b128 v[78:81], v45 offset:1552
	s_waitcnt lgkmcnt(2)
	v_fmac_f64_e32 v[30:31], v[46:47], v[54:55]
	v_fmac_f64_e32 v[24:25], v[48:49], v[54:55]
	;; [unrolled: 1-line block ×8, first 2 shown]
	ds_read2_b64 v[46:49], v44 offset0:64 offset1:80
	s_waitcnt lgkmcnt(2)
	v_fmac_f64_e32 v[30:31], v[82:83], v[56:57]
	v_fmac_f64_e32 v[24:25], v[84:85], v[56:57]
	;; [unrolled: 1-line block ×4, first 2 shown]
	s_waitcnt lgkmcnt(0)
	v_fmac_f64_e32 v[34:35], v[46:47], v[56:57]
	v_fmac_f64_e32 v[32:33], v[48:49], v[56:57]
	;; [unrolled: 1-line block ×6, first 2 shown]
	ds_read2_b64 v[54:57], v44 offset0:128 offset1:144
	v_fmac_f64_e32 v[6:7], v[46:47], v[52:53]
	v_fmac_f64_e32 v[4:5], v[48:49], v[52:53]
	ds_read2_b64 v[46:49], v44 offset0:160 offset1:176
	v_fmac_f64_e32 v[2:3], v[82:83], v[52:53]
	v_fmac_f64_e32 v[0:1], v[84:85], v[52:53]
	ds_read2_b64 v[50:53], v44 offset0:192 offset1:208
	ds_read2_b64 v[62:65], v44 offset0:224 offset1:240
	v_fmac_f64_e32 v[10:11], v[82:83], v[72:73]
	v_fmac_f64_e32 v[8:9], v[84:85], v[72:73]
	s_waitcnt lgkmcnt(3)
	v_fmac_f64_e32 v[34:35], v[54:55], v[58:59]
	v_fmac_f64_e32 v[32:33], v[56:57], v[58:59]
	;; [unrolled: 1-line block ×8, first 2 shown]
	s_waitcnt lgkmcnt(2)
	v_fmac_f64_e32 v[30:31], v[46:47], v[58:59]
	v_fmac_f64_e32 v[24:25], v[48:49], v[58:59]
	;; [unrolled: 1-line block ×8, first 2 shown]
	s_waitcnt lgkmcnt(1)
	v_fmac_f64_e32 v[34:35], v[50:51], v[60:61]
	v_fmac_f64_e32 v[32:33], v[52:53], v[60:61]
	s_waitcnt lgkmcnt(0)
	v_fmac_f64_e32 v[30:31], v[62:63], v[60:61]
	v_fmac_f64_e32 v[24:25], v[64:65], v[60:61]
	;; [unrolled: 1-line block ×14, first 2 shown]
	s_barrier
	s_cbranch_vccnz .LBB207_2
	s_branch .LBB207_4
.LBB207_3:
	v_mov_b64_e32 v[34:35], 0
	v_mov_b64_e32 v[32:33], 0
	;; [unrolled: 1-line block ×16, first 2 shown]
.LBB207_4:
	s_lshl_b64 s[8:9], s[40:41], 3
	s_waitcnt lgkmcnt(0)
	s_add_u32 s4, s4, s8
	s_addc_u32 s5, s5, s9
	v_lshl_add_u64 v[36:37], s[6:7], 0, v[26:27]
	v_cmp_neq_f64_e64 s[8:9], s[24:25], 0
	v_lshl_add_u64 v[26:27], s[2:3], 0, v[28:29]
	s_mov_b64 s[6:7], 0
	s_and_b64 vcc, exec, s[8:9]
	v_mul_lo_u32 v28, v37, s38
	v_mul_lo_u32 v29, v36, s39
	v_lshlrev_b64 v[26:27], 3, v[26:27]
	s_cbranch_vccnz .LBB207_8
; %bb.5:
	v_mad_u64_u32 v[38:39], s[2:3], v36, s38, 0
	v_add3_u32 v39, v39, v29, v28
	v_lshl_add_u64 v[38:39], v[38:39], 3, s[4:5]
	v_mul_f64 v[40:41], s[10:11], v[34:35]
	v_lshl_add_u64 v[42:43], v[38:39], 0, v[26:27]
	flat_store_dwordx2 v[42:43], v[40:41]
	v_mul_f64 v[40:41], s[10:11], v[32:33]
	flat_store_dwordx2 v[42:43], v[40:41] offset:128
	v_mul_f64 v[40:41], s[10:11], v[30:31]
	s_lshl_b64 s[2:3], s[38:39], 7
	flat_store_dwordx2 v[42:43], v[40:41] offset:256
	v_mul_f64 v[40:41], s[10:11], v[24:25]
	v_lshl_add_u64 v[38:39], v[38:39], 0, s[2:3]
	flat_store_dwordx2 v[42:43], v[40:41] offset:384
	v_mul_f64 v[40:41], s[10:11], v[22:23]
	v_lshl_add_u64 v[42:43], v[38:39], 0, v[26:27]
	flat_store_dwordx2 v[42:43], v[40:41]
	v_mul_f64 v[40:41], s[10:11], v[20:21]
	flat_store_dwordx2 v[42:43], v[40:41] offset:128
	v_mul_f64 v[40:41], s[10:11], v[18:19]
	flat_store_dwordx2 v[42:43], v[40:41] offset:256
	v_mul_f64 v[40:41], s[10:11], v[16:17]
	v_lshl_add_u64 v[38:39], v[38:39], 0, s[2:3]
	flat_store_dwordx2 v[42:43], v[40:41] offset:384
	v_mul_f64 v[40:41], s[10:11], v[14:15]
	v_lshl_add_u64 v[42:43], v[38:39], 0, v[26:27]
	flat_store_dwordx2 v[42:43], v[40:41]
	v_mul_f64 v[40:41], s[10:11], v[12:13]
	flat_store_dwordx2 v[42:43], v[40:41] offset:128
	v_mul_f64 v[40:41], s[10:11], v[10:11]
	;; [unrolled: 10-line block ×3, first 2 shown]
	flat_store_dwordx2 v[38:39], v[40:41] offset:256
	v_mul_f64 v[40:41], s[10:11], v[0:1]
	flat_store_dwordx2 v[38:39], v[40:41] offset:384
	s_andn2_b64 vcc, exec, s[6:7]
	s_cbranch_vccnz .LBB207_7
.LBB207_6:
	s_lshl_b64 s[2:3], s[30:31], 3
	s_add_u32 s0, s0, s2
	s_addc_u32 s1, s1, s3
	v_mul_lo_u32 v37, v37, s28
	v_mul_lo_u32 v40, v36, s29
	v_mad_u64_u32 v[38:39], s[2:3], v36, s28, 0
	v_add3_u32 v39, v39, v40, v37
	v_lshl_add_u64 v[38:39], v[38:39], 3, s[0:1]
	v_lshl_add_u64 v[40:41], v[38:39], 0, v[26:27]
	flat_load_dwordx2 v[42:43], v[40:41]
	v_mad_u64_u32 v[36:37], s[0:1], v36, s38, 0
	v_add3_u32 v37, v37, v29, v28
	v_lshl_add_u64 v[28:29], v[36:37], 3, s[4:5]
	v_lshl_add_u64 v[36:37], v[28:29], 0, v[26:27]
	s_lshl_b64 s[0:1], s[28:29], 7
	s_lshl_b64 s[2:3], s[38:39], 7
	v_lshl_add_u64 v[28:29], v[28:29], 0, s[2:3]
	s_waitcnt vmcnt(0) lgkmcnt(0)
	v_mul_f64 v[42:43], s[24:25], v[42:43]
	v_fmac_f64_e32 v[42:43], s[10:11], v[34:35]
	flat_store_dwordx2 v[36:37], v[42:43]
	flat_load_dwordx2 v[34:35], v[40:41] offset:128
	s_waitcnt vmcnt(0) lgkmcnt(0)
	v_mul_f64 v[34:35], s[24:25], v[34:35]
	v_fmac_f64_e32 v[34:35], s[10:11], v[32:33]
	flat_store_dwordx2 v[36:37], v[34:35] offset:128
	flat_load_dwordx2 v[32:33], v[40:41] offset:256
	s_waitcnt vmcnt(0) lgkmcnt(0)
	v_mul_f64 v[32:33], s[24:25], v[32:33]
	v_fmac_f64_e32 v[32:33], s[10:11], v[30:31]
	flat_store_dwordx2 v[36:37], v[32:33] offset:256
	flat_load_dwordx2 v[30:31], v[40:41] offset:384
	v_lshl_add_u64 v[32:33], v[38:39], 0, s[0:1]
	v_lshl_add_u64 v[34:35], v[32:33], 0, v[26:27]
	s_waitcnt vmcnt(0) lgkmcnt(0)
	v_mul_f64 v[30:31], s[24:25], v[30:31]
	v_fmac_f64_e32 v[30:31], s[10:11], v[24:25]
	flat_store_dwordx2 v[36:37], v[30:31] offset:384
	flat_load_dwordx2 v[24:25], v[34:35]
	v_lshl_add_u64 v[30:31], v[28:29], 0, v[26:27]
	s_waitcnt vmcnt(0) lgkmcnt(0)
	v_mul_f64 v[24:25], s[24:25], v[24:25]
	v_fmac_f64_e32 v[24:25], s[10:11], v[22:23]
	flat_store_dwordx2 v[30:31], v[24:25]
	flat_load_dwordx2 v[22:23], v[34:35] offset:128
	s_waitcnt vmcnt(0) lgkmcnt(0)
	v_mul_f64 v[22:23], s[24:25], v[22:23]
	v_fmac_f64_e32 v[22:23], s[10:11], v[20:21]
	flat_store_dwordx2 v[30:31], v[22:23] offset:128
	flat_load_dwordx2 v[20:21], v[34:35] offset:256
	s_waitcnt vmcnt(0) lgkmcnt(0)
	v_mul_f64 v[20:21], s[24:25], v[20:21]
	v_fmac_f64_e32 v[20:21], s[10:11], v[18:19]
	flat_store_dwordx2 v[30:31], v[20:21] offset:256
	flat_load_dwordx2 v[18:19], v[34:35] offset:384
	v_lshl_add_u64 v[20:21], v[32:33], 0, s[0:1]
	v_lshl_add_u64 v[22:23], v[20:21], 0, v[26:27]
	s_waitcnt vmcnt(0) lgkmcnt(0)
	v_mul_f64 v[18:19], s[24:25], v[18:19]
	v_fmac_f64_e32 v[18:19], s[10:11], v[16:17]
	flat_store_dwordx2 v[30:31], v[18:19] offset:384
	flat_load_dwordx2 v[16:17], v[22:23]
	v_lshl_add_u64 v[18:19], v[28:29], 0, s[2:3]
	v_lshl_add_u64 v[24:25], v[18:19], 0, v[26:27]
	s_waitcnt vmcnt(0) lgkmcnt(0)
	v_mul_f64 v[16:17], s[24:25], v[16:17]
	v_fmac_f64_e32 v[16:17], s[10:11], v[14:15]
	flat_store_dwordx2 v[24:25], v[16:17]
	flat_load_dwordx2 v[14:15], v[22:23] offset:128
	s_waitcnt vmcnt(0) lgkmcnt(0)
	v_mul_f64 v[14:15], s[24:25], v[14:15]
	v_fmac_f64_e32 v[14:15], s[10:11], v[12:13]
	flat_store_dwordx2 v[24:25], v[14:15] offset:128
	flat_load_dwordx2 v[12:13], v[22:23] offset:256
	s_waitcnt vmcnt(0) lgkmcnt(0)
	v_mul_f64 v[12:13], s[24:25], v[12:13]
	v_fmac_f64_e32 v[12:13], s[10:11], v[10:11]
	flat_store_dwordx2 v[24:25], v[12:13] offset:256
	flat_load_dwordx2 v[10:11], v[22:23] offset:384
	v_lshl_add_u64 v[12:13], v[20:21], 0, s[0:1]
	v_lshl_add_u64 v[12:13], v[12:13], 0, v[26:27]
	s_waitcnt vmcnt(0) lgkmcnt(0)
	v_mul_f64 v[10:11], s[24:25], v[10:11]
	v_fmac_f64_e32 v[10:11], s[10:11], v[8:9]
	flat_store_dwordx2 v[24:25], v[10:11] offset:384
	flat_load_dwordx2 v[8:9], v[12:13]
	v_lshl_add_u64 v[10:11], v[18:19], 0, s[2:3]
	s_waitcnt vmcnt(0) lgkmcnt(0)
	v_mul_f64 v[8:9], s[24:25], v[8:9]
	v_fmac_f64_e32 v[8:9], s[10:11], v[6:7]
	v_lshl_add_u64 v[6:7], v[10:11], 0, v[26:27]
	flat_store_dwordx2 v[6:7], v[8:9]
	flat_load_dwordx2 v[8:9], v[12:13] offset:128
	s_waitcnt vmcnt(0) lgkmcnt(0)
	v_mul_f64 v[8:9], s[24:25], v[8:9]
	v_fmac_f64_e32 v[8:9], s[10:11], v[4:5]
	flat_store_dwordx2 v[6:7], v[8:9] offset:128
	flat_load_dwordx2 v[4:5], v[12:13] offset:256
	s_waitcnt vmcnt(0) lgkmcnt(0)
	v_mul_f64 v[4:5], s[24:25], v[4:5]
	v_fmac_f64_e32 v[4:5], s[10:11], v[2:3]
	flat_store_dwordx2 v[6:7], v[4:5] offset:256
	flat_load_dwordx2 v[2:3], v[12:13] offset:384
	s_waitcnt vmcnt(0) lgkmcnt(0)
	v_mul_f64 v[2:3], s[24:25], v[2:3]
	v_fmac_f64_e32 v[2:3], s[10:11], v[0:1]
	flat_store_dwordx2 v[6:7], v[2:3] offset:384
.LBB207_7:
	s_endpgm
.LBB207_8:
	s_branch .LBB207_6
	.section	.rodata,"a",@progbits
	.p2align	6, 0x0
	.amdhsa_kernel _ZN12_GLOBAL__N_127rocblas_gemm_batched_kernelIdLi16ELi16ELi64ELi64ELi4ELi64ELi4ELi4ELi64ELc78ELc84EKPKdS3_KPdEEvlllT_PT11_llS8_llS6_PT12_llPT13_lli
		.amdhsa_group_segment_fixed_size 4096
		.amdhsa_private_segment_fixed_size 0
		.amdhsa_kernarg_size 140
		.amdhsa_user_sgpr_count 2
		.amdhsa_user_sgpr_dispatch_ptr 0
		.amdhsa_user_sgpr_queue_ptr 0
		.amdhsa_user_sgpr_kernarg_segment_ptr 1
		.amdhsa_user_sgpr_dispatch_id 0
		.amdhsa_user_sgpr_kernarg_preload_length 0
		.amdhsa_user_sgpr_kernarg_preload_offset 0
		.amdhsa_user_sgpr_private_segment_size 0
		.amdhsa_uses_dynamic_stack 0
		.amdhsa_enable_private_segment 0
		.amdhsa_system_sgpr_workgroup_id_x 1
		.amdhsa_system_sgpr_workgroup_id_y 1
		.amdhsa_system_sgpr_workgroup_id_z 1
		.amdhsa_system_sgpr_workgroup_info 0
		.amdhsa_system_vgpr_workitem_id 1
		.amdhsa_next_free_vgpr 86
		.amdhsa_next_free_sgpr 44
		.amdhsa_accum_offset 88
		.amdhsa_reserve_vcc 1
		.amdhsa_float_round_mode_32 0
		.amdhsa_float_round_mode_16_64 0
		.amdhsa_float_denorm_mode_32 3
		.amdhsa_float_denorm_mode_16_64 3
		.amdhsa_dx10_clamp 1
		.amdhsa_ieee_mode 1
		.amdhsa_fp16_overflow 0
		.amdhsa_tg_split 0
		.amdhsa_exception_fp_ieee_invalid_op 0
		.amdhsa_exception_fp_denorm_src 0
		.amdhsa_exception_fp_ieee_div_zero 0
		.amdhsa_exception_fp_ieee_overflow 0
		.amdhsa_exception_fp_ieee_underflow 0
		.amdhsa_exception_fp_ieee_inexact 0
		.amdhsa_exception_int_div_zero 0
	.end_amdhsa_kernel
	.section	.text._ZN12_GLOBAL__N_127rocblas_gemm_batched_kernelIdLi16ELi16ELi64ELi64ELi4ELi64ELi4ELi4ELi64ELc78ELc84EKPKdS3_KPdEEvlllT_PT11_llS8_llS6_PT12_llPT13_lli,"axG",@progbits,_ZN12_GLOBAL__N_127rocblas_gemm_batched_kernelIdLi16ELi16ELi64ELi64ELi4ELi64ELi4ELi4ELi64ELc78ELc84EKPKdS3_KPdEEvlllT_PT11_llS8_llS6_PT12_llPT13_lli,comdat
.Lfunc_end207:
	.size	_ZN12_GLOBAL__N_127rocblas_gemm_batched_kernelIdLi16ELi16ELi64ELi64ELi4ELi64ELi4ELi4ELi64ELc78ELc84EKPKdS3_KPdEEvlllT_PT11_llS8_llS6_PT12_llPT13_lli, .Lfunc_end207-_ZN12_GLOBAL__N_127rocblas_gemm_batched_kernelIdLi16ELi16ELi64ELi64ELi4ELi64ELi4ELi4ELi64ELc78ELc84EKPKdS3_KPdEEvlllT_PT11_llS8_llS6_PT12_llPT13_lli
                                        ; -- End function
	.set _ZN12_GLOBAL__N_127rocblas_gemm_batched_kernelIdLi16ELi16ELi64ELi64ELi4ELi64ELi4ELi4ELi64ELc78ELc84EKPKdS3_KPdEEvlllT_PT11_llS8_llS6_PT12_llPT13_lli.num_vgpr, 86
	.set _ZN12_GLOBAL__N_127rocblas_gemm_batched_kernelIdLi16ELi16ELi64ELi64ELi4ELi64ELi4ELi4ELi64ELc78ELc84EKPKdS3_KPdEEvlllT_PT11_llS8_llS6_PT12_llPT13_lli.num_agpr, 0
	.set _ZN12_GLOBAL__N_127rocblas_gemm_batched_kernelIdLi16ELi16ELi64ELi64ELi4ELi64ELi4ELi4ELi64ELc78ELc84EKPKdS3_KPdEEvlllT_PT11_llS8_llS6_PT12_llPT13_lli.numbered_sgpr, 44
	.set _ZN12_GLOBAL__N_127rocblas_gemm_batched_kernelIdLi16ELi16ELi64ELi64ELi4ELi64ELi4ELi4ELi64ELc78ELc84EKPKdS3_KPdEEvlllT_PT11_llS8_llS6_PT12_llPT13_lli.num_named_barrier, 0
	.set _ZN12_GLOBAL__N_127rocblas_gemm_batched_kernelIdLi16ELi16ELi64ELi64ELi4ELi64ELi4ELi4ELi64ELc78ELc84EKPKdS3_KPdEEvlllT_PT11_llS8_llS6_PT12_llPT13_lli.private_seg_size, 0
	.set _ZN12_GLOBAL__N_127rocblas_gemm_batched_kernelIdLi16ELi16ELi64ELi64ELi4ELi64ELi4ELi4ELi64ELc78ELc84EKPKdS3_KPdEEvlllT_PT11_llS8_llS6_PT12_llPT13_lli.uses_vcc, 1
	.set _ZN12_GLOBAL__N_127rocblas_gemm_batched_kernelIdLi16ELi16ELi64ELi64ELi4ELi64ELi4ELi4ELi64ELc78ELc84EKPKdS3_KPdEEvlllT_PT11_llS8_llS6_PT12_llPT13_lli.uses_flat_scratch, 0
	.set _ZN12_GLOBAL__N_127rocblas_gemm_batched_kernelIdLi16ELi16ELi64ELi64ELi4ELi64ELi4ELi4ELi64ELc78ELc84EKPKdS3_KPdEEvlllT_PT11_llS8_llS6_PT12_llPT13_lli.has_dyn_sized_stack, 0
	.set _ZN12_GLOBAL__N_127rocblas_gemm_batched_kernelIdLi16ELi16ELi64ELi64ELi4ELi64ELi4ELi4ELi64ELc78ELc84EKPKdS3_KPdEEvlllT_PT11_llS8_llS6_PT12_llPT13_lli.has_recursion, 0
	.set _ZN12_GLOBAL__N_127rocblas_gemm_batched_kernelIdLi16ELi16ELi64ELi64ELi4ELi64ELi4ELi4ELi64ELc78ELc84EKPKdS3_KPdEEvlllT_PT11_llS8_llS6_PT12_llPT13_lli.has_indirect_call, 0
	.section	.AMDGPU.csdata,"",@progbits
; Kernel info:
; codeLenInByte = 2156
; TotalNumSgprs: 50
; NumVgprs: 86
; NumAgprs: 0
; TotalNumVgprs: 86
; ScratchSize: 0
; MemoryBound: 0
; FloatMode: 240
; IeeeMode: 1
; LDSByteSize: 4096 bytes/workgroup (compile time only)
; SGPRBlocks: 6
; VGPRBlocks: 10
; NumSGPRsForWavesPerEU: 50
; NumVGPRsForWavesPerEU: 86
; AccumOffset: 88
; Occupancy: 5
; WaveLimiterHint : 1
; COMPUTE_PGM_RSRC2:SCRATCH_EN: 0
; COMPUTE_PGM_RSRC2:USER_SGPR: 2
; COMPUTE_PGM_RSRC2:TRAP_HANDLER: 0
; COMPUTE_PGM_RSRC2:TGID_X_EN: 1
; COMPUTE_PGM_RSRC2:TGID_Y_EN: 1
; COMPUTE_PGM_RSRC2:TGID_Z_EN: 1
; COMPUTE_PGM_RSRC2:TIDIG_COMP_CNT: 1
; COMPUTE_PGM_RSRC3_GFX90A:ACCUM_OFFSET: 21
; COMPUTE_PGM_RSRC3_GFX90A:TG_SPLIT: 0
	.section	.text._ZN12_GLOBAL__N_127rocblas_gemm_batched_kernelIdLi16ELi16ELi64ELi64ELi4ELi64ELi4ELi4ELi64ELc84ELc84EKPKdS3_KPdEEvlllT_PT11_llS8_llS6_PT12_llPT13_lli,"axG",@progbits,_ZN12_GLOBAL__N_127rocblas_gemm_batched_kernelIdLi16ELi16ELi64ELi64ELi4ELi64ELi4ELi4ELi64ELc84ELc84EKPKdS3_KPdEEvlllT_PT11_llS8_llS6_PT12_llPT13_lli,comdat
	.globl	_ZN12_GLOBAL__N_127rocblas_gemm_batched_kernelIdLi16ELi16ELi64ELi64ELi4ELi64ELi4ELi4ELi64ELc84ELc84EKPKdS3_KPdEEvlllT_PT11_llS8_llS6_PT12_llPT13_lli ; -- Begin function _ZN12_GLOBAL__N_127rocblas_gemm_batched_kernelIdLi16ELi16ELi64ELi64ELi4ELi64ELi4ELi4ELi64ELc84ELc84EKPKdS3_KPdEEvlllT_PT11_llS8_llS6_PT12_llPT13_lli
	.p2align	8
	.type	_ZN12_GLOBAL__N_127rocblas_gemm_batched_kernelIdLi16ELi16ELi64ELi64ELi4ELi64ELi4ELi4ELi64ELc84ELc84EKPKdS3_KPdEEvlllT_PT11_llS8_llS6_PT12_llPT13_lli,@function
_ZN12_GLOBAL__N_127rocblas_gemm_batched_kernelIdLi16ELi16ELi64ELi64ELi4ELi64ELi4ELi4ELi64ELc84ELc84EKPKdS3_KPdEEvlllT_PT11_llS8_llS6_PT12_llPT13_lli: ; @_ZN12_GLOBAL__N_127rocblas_gemm_batched_kernelIdLi16ELi16ELi64ELi64ELi4ELi64ELi4ELi4ELi64ELc84ELc84EKPKdS3_KPdEEvlllT_PT11_llS8_llS6_PT12_llPT13_lli
; %bb.0:
	s_load_dwordx16 s[8:23], s[0:1], 0x10
	s_load_dwordx8 s[36:43], s[0:1], 0x70
	s_load_dwordx8 s[24:31], s[0:1], 0x50
	s_mov_b32 s5, 0
	s_lshl_b64 s[34:35], s[4:5], 3
	s_mov_b32 s6, s3
	v_mov_b32_e32 v27, 0
	s_waitcnt lgkmcnt(0)
	s_add_u32 s0, s26, s34
	s_addc_u32 s1, s27, s35
	s_add_u32 s4, s36, s34
	s_addc_u32 s5, s37, s35
	s_load_dwordx2 s[0:1], s[0:1], 0x0
	s_ashr_i32 s3, s2, 31
	s_load_dwordx2 s[4:5], s[4:5], 0x0
	s_ashr_i32 s7, s6, 31
	v_cmp_lt_i64_e64 s[26:27], s[8:9], 1
	v_bfe_u32 v26, v0, 10, 10
	v_and_b32_e32 v28, 0x3ff, v0
	v_mov_b32_e32 v29, v27
	s_lshl_b64 s[2:3], s[2:3], 6
	s_lshl_b64 s[6:7], s[6:7], 6
	s_and_b64 vcc, exec, s[26:27]
	s_cbranch_vccnz .LBB208_3
; %bb.1:
	s_add_u32 s12, s12, s34
	s_addc_u32 s13, s13, s35
	v_lshl_add_u32 v4, v26, 4, v28
	s_load_dwordx2 s[26:27], s[12:13], 0x0
	s_add_u32 s12, s18, s34
	v_and_b32_e32 v2, 63, v4
	s_addc_u32 s13, s19, s35
	v_lshrrev_b32_e32 v0, 2, v4
	v_and_b32_e32 v5, 3, v28
	v_lshrrev_b32_e32 v6, 6, v4
	v_lshlrev_b32_e32 v4, 3, v2
	s_load_dwordx2 s[12:13], s[12:13], 0x0
	v_lshl_or_b32 v42, v6, 9, v4
	v_lshlrev_b32_e32 v4, 3, v5
	v_mov_b32_e32 v1, v27
	v_lshl_or_b32 v4, v0, 5, v4
	v_add_u32_e32 v43, 0x800, v4
	v_mov_b32_e32 v4, 0x800
	s_lshl_b64 s[18:19], s[22:23], 3
	v_mad_u64_u32 v[0:1], s[22:23], s20, v5, v[0:1]
	v_lshl_add_u32 v45, v26, 5, v4
	v_mov_b32_e32 v4, v1
	v_mad_u64_u32 v[4:5], s[22:23], s21, v5, v[4:5]
	v_mov_b32_e32 v1, v4
	s_waitcnt lgkmcnt(0)
	s_add_u32 s12, s12, s18
	v_mov_b32_e32 v3, v27
	v_lshl_add_u64 v[0:1], v[0:1], 0, s[6:7]
	s_addc_u32 s13, s13, s19
	v_lshl_add_u64 v[36:37], v[0:1], 3, s[12:13]
	v_lshl_add_u64 v[0:1], s[2:3], 0, v[2:3]
	v_mul_lo_u32 v2, s15, v0
	v_mul_lo_u32 v3, s14, v1
	v_mad_u64_u32 v[0:1], s[14:15], s14, v0, 0
	v_add3_u32 v1, v1, v3, v2
	s_lshl_b64 s[14:15], s[16:17], 3
	v_lshl_add_u64 v[0:1], v[0:1], 3, s[14:15]
	v_lshlrev_b32_e32 v2, 3, v6
	v_mov_b32_e32 v3, v27
	v_lshl_add_u64 v[0:1], v[0:1], 0, v[2:3]
	v_lshlrev_b32_e32 v44, 3, v28
	s_lshl_b64 s[12:13], s[20:21], 5
	v_lshl_add_u64 v[38:39], s[26:27], 0, v[0:1]
	s_mov_b64 s[14:15], 0
	v_mov_b64_e32 v[0:1], 0
	v_mov_b64_e32 v[40:41], s[8:9]
	v_mov_b64_e32 v[2:3], 0
	v_mov_b64_e32 v[4:5], 0
	v_mov_b64_e32 v[6:7], 0
	v_mov_b64_e32 v[8:9], 0
	v_mov_b64_e32 v[10:11], 0
	v_mov_b64_e32 v[12:13], 0
	v_mov_b64_e32 v[14:15], 0
	v_mov_b64_e32 v[16:17], 0
	v_mov_b64_e32 v[18:19], 0
	v_mov_b64_e32 v[20:21], 0
	v_mov_b64_e32 v[22:23], 0
	v_mov_b64_e32 v[24:25], 0
	v_mov_b64_e32 v[30:31], 0
	v_mov_b64_e32 v[32:33], 0
	v_mov_b64_e32 v[34:35], 0
.LBB208_2:                              ; =>This Inner Loop Header: Depth=1
	flat_load_dwordx2 v[46:47], v[38:39]
	s_add_u32 s14, s14, 4
	s_addc_u32 s15, s15, 0
	v_cmp_lt_i64_e32 vcc, s[14:15], v[40:41]
	v_lshl_add_u64 v[38:39], v[38:39], 0, 32
	s_and_b64 vcc, exec, vcc
	s_waitcnt vmcnt(0) lgkmcnt(0)
	ds_write_b64 v42, v[46:47]
	flat_load_dwordx2 v[46:47], v[36:37]
	v_lshl_add_u64 v[36:37], v[36:37], 0, s[12:13]
	s_waitcnt vmcnt(0) lgkmcnt(0)
	ds_write_b64 v43, v[46:47]
	s_waitcnt lgkmcnt(0)
	s_barrier
	ds_read2_b64 v[46:49], v44 offset1:16
	ds_read_b128 v[50:53], v45 offset:1536
	ds_read_b128 v[54:57], v45
	ds_read_b128 v[58:61], v45 offset:16
	ds_read_b128 v[62:65], v45 offset:512
	;; [unrolled: 1-line block ×5, first 2 shown]
	s_waitcnt lgkmcnt(5)
	v_fmac_f64_e32 v[34:35], v[46:47], v[54:55]
	v_fmac_f64_e32 v[32:33], v[48:49], v[54:55]
	s_waitcnt lgkmcnt(3)
	v_fmac_f64_e32 v[22:23], v[46:47], v[62:63]
	v_fmac_f64_e32 v[20:21], v[48:49], v[62:63]
	;; [unrolled: 3-line block ×3, first 2 shown]
	v_fmac_f64_e32 v[6:7], v[46:47], v[50:51]
	v_fmac_f64_e32 v[4:5], v[48:49], v[50:51]
	ds_read2_b64 v[46:49], v44 offset0:32 offset1:48
	ds_read2_b64 v[82:85], v44 offset0:96 offset1:112
	ds_read_b128 v[78:81], v45 offset:1552
	s_waitcnt lgkmcnt(2)
	v_fmac_f64_e32 v[30:31], v[46:47], v[54:55]
	v_fmac_f64_e32 v[24:25], v[48:49], v[54:55]
	;; [unrolled: 1-line block ×8, first 2 shown]
	ds_read2_b64 v[46:49], v44 offset0:64 offset1:80
	s_waitcnt lgkmcnt(2)
	v_fmac_f64_e32 v[30:31], v[82:83], v[56:57]
	v_fmac_f64_e32 v[24:25], v[84:85], v[56:57]
	;; [unrolled: 1-line block ×4, first 2 shown]
	s_waitcnt lgkmcnt(0)
	v_fmac_f64_e32 v[34:35], v[46:47], v[56:57]
	v_fmac_f64_e32 v[32:33], v[48:49], v[56:57]
	;; [unrolled: 1-line block ×6, first 2 shown]
	ds_read2_b64 v[54:57], v44 offset0:128 offset1:144
	v_fmac_f64_e32 v[6:7], v[46:47], v[52:53]
	v_fmac_f64_e32 v[4:5], v[48:49], v[52:53]
	ds_read2_b64 v[46:49], v44 offset0:160 offset1:176
	v_fmac_f64_e32 v[2:3], v[82:83], v[52:53]
	v_fmac_f64_e32 v[0:1], v[84:85], v[52:53]
	ds_read2_b64 v[50:53], v44 offset0:192 offset1:208
	ds_read2_b64 v[62:65], v44 offset0:224 offset1:240
	v_fmac_f64_e32 v[10:11], v[82:83], v[72:73]
	v_fmac_f64_e32 v[8:9], v[84:85], v[72:73]
	s_waitcnt lgkmcnt(3)
	v_fmac_f64_e32 v[34:35], v[54:55], v[58:59]
	v_fmac_f64_e32 v[32:33], v[56:57], v[58:59]
	;; [unrolled: 1-line block ×8, first 2 shown]
	s_waitcnt lgkmcnt(2)
	v_fmac_f64_e32 v[30:31], v[46:47], v[58:59]
	v_fmac_f64_e32 v[24:25], v[48:49], v[58:59]
	;; [unrolled: 1-line block ×8, first 2 shown]
	s_waitcnt lgkmcnt(1)
	v_fmac_f64_e32 v[34:35], v[50:51], v[60:61]
	v_fmac_f64_e32 v[32:33], v[52:53], v[60:61]
	s_waitcnt lgkmcnt(0)
	v_fmac_f64_e32 v[30:31], v[62:63], v[60:61]
	v_fmac_f64_e32 v[24:25], v[64:65], v[60:61]
	v_fmac_f64_e32 v[22:23], v[50:51], v[68:69]
	v_fmac_f64_e32 v[20:21], v[52:53], v[68:69]
	v_fmac_f64_e32 v[18:19], v[62:63], v[68:69]
	v_fmac_f64_e32 v[16:17], v[64:65], v[68:69]
	v_fmac_f64_e32 v[14:15], v[50:51], v[76:77]
	v_fmac_f64_e32 v[12:13], v[52:53], v[76:77]
	v_fmac_f64_e32 v[10:11], v[62:63], v[76:77]
	v_fmac_f64_e32 v[8:9], v[64:65], v[76:77]
	v_fmac_f64_e32 v[6:7], v[50:51], v[80:81]
	v_fmac_f64_e32 v[4:5], v[52:53], v[80:81]
	v_fmac_f64_e32 v[2:3], v[62:63], v[80:81]
	v_fmac_f64_e32 v[0:1], v[64:65], v[80:81]
	s_barrier
	s_cbranch_vccnz .LBB208_2
	s_branch .LBB208_4
.LBB208_3:
	v_mov_b64_e32 v[34:35], 0
	v_mov_b64_e32 v[32:33], 0
	;; [unrolled: 1-line block ×16, first 2 shown]
.LBB208_4:
	s_lshl_b64 s[8:9], s[40:41], 3
	s_waitcnt lgkmcnt(0)
	s_add_u32 s4, s4, s8
	s_addc_u32 s5, s5, s9
	v_lshl_add_u64 v[36:37], s[6:7], 0, v[26:27]
	v_cmp_neq_f64_e64 s[8:9], s[24:25], 0
	v_lshl_add_u64 v[26:27], s[2:3], 0, v[28:29]
	s_mov_b64 s[6:7], 0
	s_and_b64 vcc, exec, s[8:9]
	v_mul_lo_u32 v28, v37, s38
	v_mul_lo_u32 v29, v36, s39
	v_lshlrev_b64 v[26:27], 3, v[26:27]
	s_cbranch_vccnz .LBB208_8
; %bb.5:
	v_mad_u64_u32 v[38:39], s[2:3], v36, s38, 0
	v_add3_u32 v39, v39, v29, v28
	v_lshl_add_u64 v[38:39], v[38:39], 3, s[4:5]
	v_mul_f64 v[40:41], s[10:11], v[34:35]
	v_lshl_add_u64 v[42:43], v[38:39], 0, v[26:27]
	flat_store_dwordx2 v[42:43], v[40:41]
	v_mul_f64 v[40:41], s[10:11], v[32:33]
	flat_store_dwordx2 v[42:43], v[40:41] offset:128
	v_mul_f64 v[40:41], s[10:11], v[30:31]
	s_lshl_b64 s[2:3], s[38:39], 7
	flat_store_dwordx2 v[42:43], v[40:41] offset:256
	v_mul_f64 v[40:41], s[10:11], v[24:25]
	v_lshl_add_u64 v[38:39], v[38:39], 0, s[2:3]
	flat_store_dwordx2 v[42:43], v[40:41] offset:384
	v_mul_f64 v[40:41], s[10:11], v[22:23]
	v_lshl_add_u64 v[42:43], v[38:39], 0, v[26:27]
	flat_store_dwordx2 v[42:43], v[40:41]
	v_mul_f64 v[40:41], s[10:11], v[20:21]
	flat_store_dwordx2 v[42:43], v[40:41] offset:128
	v_mul_f64 v[40:41], s[10:11], v[18:19]
	flat_store_dwordx2 v[42:43], v[40:41] offset:256
	v_mul_f64 v[40:41], s[10:11], v[16:17]
	v_lshl_add_u64 v[38:39], v[38:39], 0, s[2:3]
	flat_store_dwordx2 v[42:43], v[40:41] offset:384
	v_mul_f64 v[40:41], s[10:11], v[14:15]
	v_lshl_add_u64 v[42:43], v[38:39], 0, v[26:27]
	flat_store_dwordx2 v[42:43], v[40:41]
	v_mul_f64 v[40:41], s[10:11], v[12:13]
	flat_store_dwordx2 v[42:43], v[40:41] offset:128
	v_mul_f64 v[40:41], s[10:11], v[10:11]
	;; [unrolled: 10-line block ×3, first 2 shown]
	flat_store_dwordx2 v[38:39], v[40:41] offset:256
	v_mul_f64 v[40:41], s[10:11], v[0:1]
	flat_store_dwordx2 v[38:39], v[40:41] offset:384
	s_andn2_b64 vcc, exec, s[6:7]
	s_cbranch_vccnz .LBB208_7
.LBB208_6:
	s_lshl_b64 s[2:3], s[30:31], 3
	s_add_u32 s0, s0, s2
	s_addc_u32 s1, s1, s3
	v_mul_lo_u32 v37, v37, s28
	v_mul_lo_u32 v40, v36, s29
	v_mad_u64_u32 v[38:39], s[2:3], v36, s28, 0
	v_add3_u32 v39, v39, v40, v37
	v_lshl_add_u64 v[38:39], v[38:39], 3, s[0:1]
	v_lshl_add_u64 v[40:41], v[38:39], 0, v[26:27]
	flat_load_dwordx2 v[42:43], v[40:41]
	v_mad_u64_u32 v[36:37], s[0:1], v36, s38, 0
	v_add3_u32 v37, v37, v29, v28
	v_lshl_add_u64 v[28:29], v[36:37], 3, s[4:5]
	v_lshl_add_u64 v[36:37], v[28:29], 0, v[26:27]
	s_lshl_b64 s[0:1], s[28:29], 7
	s_lshl_b64 s[2:3], s[38:39], 7
	v_lshl_add_u64 v[28:29], v[28:29], 0, s[2:3]
	s_waitcnt vmcnt(0) lgkmcnt(0)
	v_mul_f64 v[42:43], s[24:25], v[42:43]
	v_fmac_f64_e32 v[42:43], s[10:11], v[34:35]
	flat_store_dwordx2 v[36:37], v[42:43]
	flat_load_dwordx2 v[34:35], v[40:41] offset:128
	s_waitcnt vmcnt(0) lgkmcnt(0)
	v_mul_f64 v[34:35], s[24:25], v[34:35]
	v_fmac_f64_e32 v[34:35], s[10:11], v[32:33]
	flat_store_dwordx2 v[36:37], v[34:35] offset:128
	flat_load_dwordx2 v[32:33], v[40:41] offset:256
	s_waitcnt vmcnt(0) lgkmcnt(0)
	v_mul_f64 v[32:33], s[24:25], v[32:33]
	v_fmac_f64_e32 v[32:33], s[10:11], v[30:31]
	flat_store_dwordx2 v[36:37], v[32:33] offset:256
	flat_load_dwordx2 v[30:31], v[40:41] offset:384
	v_lshl_add_u64 v[32:33], v[38:39], 0, s[0:1]
	v_lshl_add_u64 v[34:35], v[32:33], 0, v[26:27]
	s_waitcnt vmcnt(0) lgkmcnt(0)
	v_mul_f64 v[30:31], s[24:25], v[30:31]
	v_fmac_f64_e32 v[30:31], s[10:11], v[24:25]
	flat_store_dwordx2 v[36:37], v[30:31] offset:384
	flat_load_dwordx2 v[24:25], v[34:35]
	v_lshl_add_u64 v[30:31], v[28:29], 0, v[26:27]
	s_waitcnt vmcnt(0) lgkmcnt(0)
	v_mul_f64 v[24:25], s[24:25], v[24:25]
	v_fmac_f64_e32 v[24:25], s[10:11], v[22:23]
	flat_store_dwordx2 v[30:31], v[24:25]
	flat_load_dwordx2 v[22:23], v[34:35] offset:128
	s_waitcnt vmcnt(0) lgkmcnt(0)
	v_mul_f64 v[22:23], s[24:25], v[22:23]
	v_fmac_f64_e32 v[22:23], s[10:11], v[20:21]
	flat_store_dwordx2 v[30:31], v[22:23] offset:128
	flat_load_dwordx2 v[20:21], v[34:35] offset:256
	s_waitcnt vmcnt(0) lgkmcnt(0)
	v_mul_f64 v[20:21], s[24:25], v[20:21]
	v_fmac_f64_e32 v[20:21], s[10:11], v[18:19]
	flat_store_dwordx2 v[30:31], v[20:21] offset:256
	flat_load_dwordx2 v[18:19], v[34:35] offset:384
	v_lshl_add_u64 v[20:21], v[32:33], 0, s[0:1]
	v_lshl_add_u64 v[22:23], v[20:21], 0, v[26:27]
	s_waitcnt vmcnt(0) lgkmcnt(0)
	v_mul_f64 v[18:19], s[24:25], v[18:19]
	v_fmac_f64_e32 v[18:19], s[10:11], v[16:17]
	flat_store_dwordx2 v[30:31], v[18:19] offset:384
	flat_load_dwordx2 v[16:17], v[22:23]
	v_lshl_add_u64 v[18:19], v[28:29], 0, s[2:3]
	v_lshl_add_u64 v[24:25], v[18:19], 0, v[26:27]
	s_waitcnt vmcnt(0) lgkmcnt(0)
	v_mul_f64 v[16:17], s[24:25], v[16:17]
	v_fmac_f64_e32 v[16:17], s[10:11], v[14:15]
	flat_store_dwordx2 v[24:25], v[16:17]
	flat_load_dwordx2 v[14:15], v[22:23] offset:128
	s_waitcnt vmcnt(0) lgkmcnt(0)
	v_mul_f64 v[14:15], s[24:25], v[14:15]
	v_fmac_f64_e32 v[14:15], s[10:11], v[12:13]
	flat_store_dwordx2 v[24:25], v[14:15] offset:128
	flat_load_dwordx2 v[12:13], v[22:23] offset:256
	s_waitcnt vmcnt(0) lgkmcnt(0)
	v_mul_f64 v[12:13], s[24:25], v[12:13]
	v_fmac_f64_e32 v[12:13], s[10:11], v[10:11]
	flat_store_dwordx2 v[24:25], v[12:13] offset:256
	flat_load_dwordx2 v[10:11], v[22:23] offset:384
	v_lshl_add_u64 v[12:13], v[20:21], 0, s[0:1]
	v_lshl_add_u64 v[12:13], v[12:13], 0, v[26:27]
	s_waitcnt vmcnt(0) lgkmcnt(0)
	v_mul_f64 v[10:11], s[24:25], v[10:11]
	v_fmac_f64_e32 v[10:11], s[10:11], v[8:9]
	flat_store_dwordx2 v[24:25], v[10:11] offset:384
	flat_load_dwordx2 v[8:9], v[12:13]
	v_lshl_add_u64 v[10:11], v[18:19], 0, s[2:3]
	s_waitcnt vmcnt(0) lgkmcnt(0)
	v_mul_f64 v[8:9], s[24:25], v[8:9]
	v_fmac_f64_e32 v[8:9], s[10:11], v[6:7]
	v_lshl_add_u64 v[6:7], v[10:11], 0, v[26:27]
	flat_store_dwordx2 v[6:7], v[8:9]
	flat_load_dwordx2 v[8:9], v[12:13] offset:128
	s_waitcnt vmcnt(0) lgkmcnt(0)
	v_mul_f64 v[8:9], s[24:25], v[8:9]
	v_fmac_f64_e32 v[8:9], s[10:11], v[4:5]
	flat_store_dwordx2 v[6:7], v[8:9] offset:128
	flat_load_dwordx2 v[4:5], v[12:13] offset:256
	s_waitcnt vmcnt(0) lgkmcnt(0)
	v_mul_f64 v[4:5], s[24:25], v[4:5]
	v_fmac_f64_e32 v[4:5], s[10:11], v[2:3]
	flat_store_dwordx2 v[6:7], v[4:5] offset:256
	flat_load_dwordx2 v[2:3], v[12:13] offset:384
	s_waitcnt vmcnt(0) lgkmcnt(0)
	v_mul_f64 v[2:3], s[24:25], v[2:3]
	v_fmac_f64_e32 v[2:3], s[10:11], v[0:1]
	flat_store_dwordx2 v[6:7], v[2:3] offset:384
.LBB208_7:
	s_endpgm
.LBB208_8:
	s_branch .LBB208_6
	.section	.rodata,"a",@progbits
	.p2align	6, 0x0
	.amdhsa_kernel _ZN12_GLOBAL__N_127rocblas_gemm_batched_kernelIdLi16ELi16ELi64ELi64ELi4ELi64ELi4ELi4ELi64ELc84ELc84EKPKdS3_KPdEEvlllT_PT11_llS8_llS6_PT12_llPT13_lli
		.amdhsa_group_segment_fixed_size 4096
		.amdhsa_private_segment_fixed_size 0
		.amdhsa_kernarg_size 140
		.amdhsa_user_sgpr_count 2
		.amdhsa_user_sgpr_dispatch_ptr 0
		.amdhsa_user_sgpr_queue_ptr 0
		.amdhsa_user_sgpr_kernarg_segment_ptr 1
		.amdhsa_user_sgpr_dispatch_id 0
		.amdhsa_user_sgpr_kernarg_preload_length 0
		.amdhsa_user_sgpr_kernarg_preload_offset 0
		.amdhsa_user_sgpr_private_segment_size 0
		.amdhsa_uses_dynamic_stack 0
		.amdhsa_enable_private_segment 0
		.amdhsa_system_sgpr_workgroup_id_x 1
		.amdhsa_system_sgpr_workgroup_id_y 1
		.amdhsa_system_sgpr_workgroup_id_z 1
		.amdhsa_system_sgpr_workgroup_info 0
		.amdhsa_system_vgpr_workitem_id 1
		.amdhsa_next_free_vgpr 86
		.amdhsa_next_free_sgpr 44
		.amdhsa_accum_offset 88
		.amdhsa_reserve_vcc 1
		.amdhsa_float_round_mode_32 0
		.amdhsa_float_round_mode_16_64 0
		.amdhsa_float_denorm_mode_32 3
		.amdhsa_float_denorm_mode_16_64 3
		.amdhsa_dx10_clamp 1
		.amdhsa_ieee_mode 1
		.amdhsa_fp16_overflow 0
		.amdhsa_tg_split 0
		.amdhsa_exception_fp_ieee_invalid_op 0
		.amdhsa_exception_fp_denorm_src 0
		.amdhsa_exception_fp_ieee_div_zero 0
		.amdhsa_exception_fp_ieee_overflow 0
		.amdhsa_exception_fp_ieee_underflow 0
		.amdhsa_exception_fp_ieee_inexact 0
		.amdhsa_exception_int_div_zero 0
	.end_amdhsa_kernel
	.section	.text._ZN12_GLOBAL__N_127rocblas_gemm_batched_kernelIdLi16ELi16ELi64ELi64ELi4ELi64ELi4ELi4ELi64ELc84ELc84EKPKdS3_KPdEEvlllT_PT11_llS8_llS6_PT12_llPT13_lli,"axG",@progbits,_ZN12_GLOBAL__N_127rocblas_gemm_batched_kernelIdLi16ELi16ELi64ELi64ELi4ELi64ELi4ELi4ELi64ELc84ELc84EKPKdS3_KPdEEvlllT_PT11_llS8_llS6_PT12_llPT13_lli,comdat
.Lfunc_end208:
	.size	_ZN12_GLOBAL__N_127rocblas_gemm_batched_kernelIdLi16ELi16ELi64ELi64ELi4ELi64ELi4ELi4ELi64ELc84ELc84EKPKdS3_KPdEEvlllT_PT11_llS8_llS6_PT12_llPT13_lli, .Lfunc_end208-_ZN12_GLOBAL__N_127rocblas_gemm_batched_kernelIdLi16ELi16ELi64ELi64ELi4ELi64ELi4ELi4ELi64ELc84ELc84EKPKdS3_KPdEEvlllT_PT11_llS8_llS6_PT12_llPT13_lli
                                        ; -- End function
	.set _ZN12_GLOBAL__N_127rocblas_gemm_batched_kernelIdLi16ELi16ELi64ELi64ELi4ELi64ELi4ELi4ELi64ELc84ELc84EKPKdS3_KPdEEvlllT_PT11_llS8_llS6_PT12_llPT13_lli.num_vgpr, 86
	.set _ZN12_GLOBAL__N_127rocblas_gemm_batched_kernelIdLi16ELi16ELi64ELi64ELi4ELi64ELi4ELi4ELi64ELc84ELc84EKPKdS3_KPdEEvlllT_PT11_llS8_llS6_PT12_llPT13_lli.num_agpr, 0
	.set _ZN12_GLOBAL__N_127rocblas_gemm_batched_kernelIdLi16ELi16ELi64ELi64ELi4ELi64ELi4ELi4ELi64ELc84ELc84EKPKdS3_KPdEEvlllT_PT11_llS8_llS6_PT12_llPT13_lli.numbered_sgpr, 44
	.set _ZN12_GLOBAL__N_127rocblas_gemm_batched_kernelIdLi16ELi16ELi64ELi64ELi4ELi64ELi4ELi4ELi64ELc84ELc84EKPKdS3_KPdEEvlllT_PT11_llS8_llS6_PT12_llPT13_lli.num_named_barrier, 0
	.set _ZN12_GLOBAL__N_127rocblas_gemm_batched_kernelIdLi16ELi16ELi64ELi64ELi4ELi64ELi4ELi4ELi64ELc84ELc84EKPKdS3_KPdEEvlllT_PT11_llS8_llS6_PT12_llPT13_lli.private_seg_size, 0
	.set _ZN12_GLOBAL__N_127rocblas_gemm_batched_kernelIdLi16ELi16ELi64ELi64ELi4ELi64ELi4ELi4ELi64ELc84ELc84EKPKdS3_KPdEEvlllT_PT11_llS8_llS6_PT12_llPT13_lli.uses_vcc, 1
	.set _ZN12_GLOBAL__N_127rocblas_gemm_batched_kernelIdLi16ELi16ELi64ELi64ELi4ELi64ELi4ELi4ELi64ELc84ELc84EKPKdS3_KPdEEvlllT_PT11_llS8_llS6_PT12_llPT13_lli.uses_flat_scratch, 0
	.set _ZN12_GLOBAL__N_127rocblas_gemm_batched_kernelIdLi16ELi16ELi64ELi64ELi4ELi64ELi4ELi4ELi64ELc84ELc84EKPKdS3_KPdEEvlllT_PT11_llS8_llS6_PT12_llPT13_lli.has_dyn_sized_stack, 0
	.set _ZN12_GLOBAL__N_127rocblas_gemm_batched_kernelIdLi16ELi16ELi64ELi64ELi4ELi64ELi4ELi4ELi64ELc84ELc84EKPKdS3_KPdEEvlllT_PT11_llS8_llS6_PT12_llPT13_lli.has_recursion, 0
	.set _ZN12_GLOBAL__N_127rocblas_gemm_batched_kernelIdLi16ELi16ELi64ELi64ELi4ELi64ELi4ELi4ELi64ELc84ELc84EKPKdS3_KPdEEvlllT_PT11_llS8_llS6_PT12_llPT13_lli.has_indirect_call, 0
	.section	.AMDGPU.csdata,"",@progbits
; Kernel info:
; codeLenInByte = 2172
; TotalNumSgprs: 50
; NumVgprs: 86
; NumAgprs: 0
; TotalNumVgprs: 86
; ScratchSize: 0
; MemoryBound: 0
; FloatMode: 240
; IeeeMode: 1
; LDSByteSize: 4096 bytes/workgroup (compile time only)
; SGPRBlocks: 6
; VGPRBlocks: 10
; NumSGPRsForWavesPerEU: 50
; NumVGPRsForWavesPerEU: 86
; AccumOffset: 88
; Occupancy: 5
; WaveLimiterHint : 1
; COMPUTE_PGM_RSRC2:SCRATCH_EN: 0
; COMPUTE_PGM_RSRC2:USER_SGPR: 2
; COMPUTE_PGM_RSRC2:TRAP_HANDLER: 0
; COMPUTE_PGM_RSRC2:TGID_X_EN: 1
; COMPUTE_PGM_RSRC2:TGID_Y_EN: 1
; COMPUTE_PGM_RSRC2:TGID_Z_EN: 1
; COMPUTE_PGM_RSRC2:TIDIG_COMP_CNT: 1
; COMPUTE_PGM_RSRC3_GFX90A:ACCUM_OFFSET: 21
; COMPUTE_PGM_RSRC3_GFX90A:TG_SPLIT: 0
	.section	.text._ZN12_GLOBAL__N_127rocblas_gemm_batched_kernelIdLi16ELi16ELi64ELi64ELi4ELi64ELi4ELi4ELi64ELc67ELc67EKPKdS3_KPdEEvlllT_PT11_llS8_llS6_PT12_llPT13_lli,"axG",@progbits,_ZN12_GLOBAL__N_127rocblas_gemm_batched_kernelIdLi16ELi16ELi64ELi64ELi4ELi64ELi4ELi4ELi64ELc67ELc67EKPKdS3_KPdEEvlllT_PT11_llS8_llS6_PT12_llPT13_lli,comdat
	.globl	_ZN12_GLOBAL__N_127rocblas_gemm_batched_kernelIdLi16ELi16ELi64ELi64ELi4ELi64ELi4ELi4ELi64ELc67ELc67EKPKdS3_KPdEEvlllT_PT11_llS8_llS6_PT12_llPT13_lli ; -- Begin function _ZN12_GLOBAL__N_127rocblas_gemm_batched_kernelIdLi16ELi16ELi64ELi64ELi4ELi64ELi4ELi4ELi64ELc67ELc67EKPKdS3_KPdEEvlllT_PT11_llS8_llS6_PT12_llPT13_lli
	.p2align	8
	.type	_ZN12_GLOBAL__N_127rocblas_gemm_batched_kernelIdLi16ELi16ELi64ELi64ELi4ELi64ELi4ELi4ELi64ELc67ELc67EKPKdS3_KPdEEvlllT_PT11_llS8_llS6_PT12_llPT13_lli,@function
_ZN12_GLOBAL__N_127rocblas_gemm_batched_kernelIdLi16ELi16ELi64ELi64ELi4ELi64ELi4ELi4ELi64ELc67ELc67EKPKdS3_KPdEEvlllT_PT11_llS8_llS6_PT12_llPT13_lli: ; @_ZN12_GLOBAL__N_127rocblas_gemm_batched_kernelIdLi16ELi16ELi64ELi64ELi4ELi64ELi4ELi4ELi64ELc67ELc67EKPKdS3_KPdEEvlllT_PT11_llS8_llS6_PT12_llPT13_lli
; %bb.0:
	s_load_dwordx16 s[8:23], s[0:1], 0x10
	s_load_dwordx8 s[36:43], s[0:1], 0x70
	s_load_dwordx8 s[24:31], s[0:1], 0x50
	s_mov_b32 s5, 0
	s_lshl_b64 s[34:35], s[4:5], 3
	s_mov_b32 s6, s3
	v_mov_b32_e32 v27, 0
	s_waitcnt lgkmcnt(0)
	s_add_u32 s0, s26, s34
	s_addc_u32 s1, s27, s35
	s_add_u32 s4, s36, s34
	s_addc_u32 s5, s37, s35
	s_load_dwordx2 s[0:1], s[0:1], 0x0
	s_ashr_i32 s3, s2, 31
	s_load_dwordx2 s[4:5], s[4:5], 0x0
	s_ashr_i32 s7, s6, 31
	v_cmp_lt_i64_e64 s[26:27], s[8:9], 1
	v_bfe_u32 v26, v0, 10, 10
	v_and_b32_e32 v28, 0x3ff, v0
	v_mov_b32_e32 v29, v27
	s_lshl_b64 s[2:3], s[2:3], 6
	s_lshl_b64 s[6:7], s[6:7], 6
	s_and_b64 vcc, exec, s[26:27]
	s_cbranch_vccnz .LBB209_3
; %bb.1:
	s_add_u32 s12, s12, s34
	s_addc_u32 s13, s13, s35
	v_lshl_add_u32 v4, v26, 4, v28
	s_load_dwordx2 s[26:27], s[12:13], 0x0
	s_add_u32 s12, s18, s34
	v_and_b32_e32 v2, 63, v4
	s_addc_u32 s13, s19, s35
	v_lshrrev_b32_e32 v0, 2, v4
	v_and_b32_e32 v5, 3, v28
	v_lshrrev_b32_e32 v6, 6, v4
	v_lshlrev_b32_e32 v4, 3, v2
	s_load_dwordx2 s[12:13], s[12:13], 0x0
	v_lshl_or_b32 v42, v6, 9, v4
	v_lshlrev_b32_e32 v4, 3, v5
	v_mov_b32_e32 v1, v27
	v_lshl_or_b32 v4, v0, 5, v4
	v_add_u32_e32 v43, 0x800, v4
	v_mov_b32_e32 v4, 0x800
	s_lshl_b64 s[18:19], s[22:23], 3
	v_mad_u64_u32 v[0:1], s[22:23], s20, v5, v[0:1]
	v_lshl_add_u32 v45, v26, 5, v4
	v_mov_b32_e32 v4, v1
	v_mad_u64_u32 v[4:5], s[22:23], s21, v5, v[4:5]
	v_mov_b32_e32 v1, v4
	s_waitcnt lgkmcnt(0)
	s_add_u32 s12, s12, s18
	v_mov_b32_e32 v3, v27
	v_lshl_add_u64 v[0:1], v[0:1], 0, s[6:7]
	s_addc_u32 s13, s13, s19
	v_lshl_add_u64 v[36:37], v[0:1], 3, s[12:13]
	v_lshl_add_u64 v[0:1], s[2:3], 0, v[2:3]
	v_mul_lo_u32 v2, s15, v0
	v_mul_lo_u32 v3, s14, v1
	v_mad_u64_u32 v[0:1], s[14:15], s14, v0, 0
	v_add3_u32 v1, v1, v3, v2
	s_lshl_b64 s[14:15], s[16:17], 3
	v_lshl_add_u64 v[0:1], v[0:1], 3, s[14:15]
	v_lshlrev_b32_e32 v2, 3, v6
	v_mov_b32_e32 v3, v27
	v_lshl_add_u64 v[0:1], v[0:1], 0, v[2:3]
	v_lshlrev_b32_e32 v44, 3, v28
	s_lshl_b64 s[12:13], s[20:21], 5
	v_lshl_add_u64 v[38:39], s[26:27], 0, v[0:1]
	s_mov_b64 s[14:15], 0
	v_mov_b64_e32 v[0:1], 0
	v_mov_b64_e32 v[40:41], s[8:9]
	v_mov_b64_e32 v[2:3], 0
	v_mov_b64_e32 v[4:5], 0
	v_mov_b64_e32 v[6:7], 0
	v_mov_b64_e32 v[8:9], 0
	v_mov_b64_e32 v[10:11], 0
	v_mov_b64_e32 v[12:13], 0
	v_mov_b64_e32 v[14:15], 0
	v_mov_b64_e32 v[16:17], 0
	v_mov_b64_e32 v[18:19], 0
	v_mov_b64_e32 v[20:21], 0
	v_mov_b64_e32 v[22:23], 0
	v_mov_b64_e32 v[24:25], 0
	v_mov_b64_e32 v[30:31], 0
	v_mov_b64_e32 v[32:33], 0
	v_mov_b64_e32 v[34:35], 0
.LBB209_2:                              ; =>This Inner Loop Header: Depth=1
	flat_load_dwordx2 v[46:47], v[38:39]
	s_add_u32 s14, s14, 4
	s_addc_u32 s15, s15, 0
	v_cmp_lt_i64_e32 vcc, s[14:15], v[40:41]
	v_lshl_add_u64 v[38:39], v[38:39], 0, 32
	s_and_b64 vcc, exec, vcc
	s_waitcnt vmcnt(0) lgkmcnt(0)
	ds_write_b64 v42, v[46:47]
	flat_load_dwordx2 v[46:47], v[36:37]
	v_lshl_add_u64 v[36:37], v[36:37], 0, s[12:13]
	s_waitcnt vmcnt(0) lgkmcnt(0)
	ds_write_b64 v43, v[46:47]
	s_waitcnt lgkmcnt(0)
	s_barrier
	ds_read2_b64 v[46:49], v44 offset1:16
	ds_read_b128 v[50:53], v45 offset:1536
	ds_read_b128 v[54:57], v45
	ds_read_b128 v[58:61], v45 offset:16
	ds_read_b128 v[62:65], v45 offset:512
	;; [unrolled: 1-line block ×5, first 2 shown]
	s_waitcnt lgkmcnt(5)
	v_fmac_f64_e32 v[34:35], v[46:47], v[54:55]
	v_fmac_f64_e32 v[32:33], v[48:49], v[54:55]
	s_waitcnt lgkmcnt(3)
	v_fmac_f64_e32 v[22:23], v[46:47], v[62:63]
	v_fmac_f64_e32 v[20:21], v[48:49], v[62:63]
	;; [unrolled: 3-line block ×3, first 2 shown]
	v_fmac_f64_e32 v[6:7], v[46:47], v[50:51]
	v_fmac_f64_e32 v[4:5], v[48:49], v[50:51]
	ds_read2_b64 v[46:49], v44 offset0:32 offset1:48
	ds_read2_b64 v[82:85], v44 offset0:96 offset1:112
	ds_read_b128 v[78:81], v45 offset:1552
	s_waitcnt lgkmcnt(2)
	v_fmac_f64_e32 v[30:31], v[46:47], v[54:55]
	v_fmac_f64_e32 v[24:25], v[48:49], v[54:55]
	;; [unrolled: 1-line block ×8, first 2 shown]
	ds_read2_b64 v[46:49], v44 offset0:64 offset1:80
	s_waitcnt lgkmcnt(2)
	v_fmac_f64_e32 v[30:31], v[82:83], v[56:57]
	v_fmac_f64_e32 v[24:25], v[84:85], v[56:57]
	;; [unrolled: 1-line block ×4, first 2 shown]
	s_waitcnt lgkmcnt(0)
	v_fmac_f64_e32 v[34:35], v[46:47], v[56:57]
	v_fmac_f64_e32 v[32:33], v[48:49], v[56:57]
	;; [unrolled: 1-line block ×6, first 2 shown]
	ds_read2_b64 v[54:57], v44 offset0:128 offset1:144
	v_fmac_f64_e32 v[6:7], v[46:47], v[52:53]
	v_fmac_f64_e32 v[4:5], v[48:49], v[52:53]
	ds_read2_b64 v[46:49], v44 offset0:160 offset1:176
	v_fmac_f64_e32 v[2:3], v[82:83], v[52:53]
	v_fmac_f64_e32 v[0:1], v[84:85], v[52:53]
	ds_read2_b64 v[50:53], v44 offset0:192 offset1:208
	ds_read2_b64 v[62:65], v44 offset0:224 offset1:240
	v_fmac_f64_e32 v[10:11], v[82:83], v[72:73]
	v_fmac_f64_e32 v[8:9], v[84:85], v[72:73]
	s_waitcnt lgkmcnt(3)
	v_fmac_f64_e32 v[34:35], v[54:55], v[58:59]
	v_fmac_f64_e32 v[32:33], v[56:57], v[58:59]
	;; [unrolled: 1-line block ×8, first 2 shown]
	s_waitcnt lgkmcnt(2)
	v_fmac_f64_e32 v[30:31], v[46:47], v[58:59]
	v_fmac_f64_e32 v[24:25], v[48:49], v[58:59]
	;; [unrolled: 1-line block ×8, first 2 shown]
	s_waitcnt lgkmcnt(1)
	v_fmac_f64_e32 v[34:35], v[50:51], v[60:61]
	v_fmac_f64_e32 v[32:33], v[52:53], v[60:61]
	s_waitcnt lgkmcnt(0)
	v_fmac_f64_e32 v[30:31], v[62:63], v[60:61]
	v_fmac_f64_e32 v[24:25], v[64:65], v[60:61]
	;; [unrolled: 1-line block ×14, first 2 shown]
	s_barrier
	s_cbranch_vccnz .LBB209_2
	s_branch .LBB209_4
.LBB209_3:
	v_mov_b64_e32 v[34:35], 0
	v_mov_b64_e32 v[32:33], 0
	;; [unrolled: 1-line block ×16, first 2 shown]
.LBB209_4:
	s_lshl_b64 s[8:9], s[40:41], 3
	s_waitcnt lgkmcnt(0)
	s_add_u32 s4, s4, s8
	s_addc_u32 s5, s5, s9
	v_lshl_add_u64 v[36:37], s[6:7], 0, v[26:27]
	v_cmp_neq_f64_e64 s[8:9], s[24:25], 0
	v_lshl_add_u64 v[26:27], s[2:3], 0, v[28:29]
	s_mov_b64 s[6:7], 0
	s_and_b64 vcc, exec, s[8:9]
	v_mul_lo_u32 v28, v37, s38
	v_mul_lo_u32 v29, v36, s39
	v_lshlrev_b64 v[26:27], 3, v[26:27]
	s_cbranch_vccnz .LBB209_8
; %bb.5:
	v_mad_u64_u32 v[38:39], s[2:3], v36, s38, 0
	v_add3_u32 v39, v39, v29, v28
	v_lshl_add_u64 v[38:39], v[38:39], 3, s[4:5]
	v_mul_f64 v[40:41], s[10:11], v[34:35]
	v_lshl_add_u64 v[42:43], v[38:39], 0, v[26:27]
	flat_store_dwordx2 v[42:43], v[40:41]
	v_mul_f64 v[40:41], s[10:11], v[32:33]
	flat_store_dwordx2 v[42:43], v[40:41] offset:128
	v_mul_f64 v[40:41], s[10:11], v[30:31]
	s_lshl_b64 s[2:3], s[38:39], 7
	flat_store_dwordx2 v[42:43], v[40:41] offset:256
	v_mul_f64 v[40:41], s[10:11], v[24:25]
	v_lshl_add_u64 v[38:39], v[38:39], 0, s[2:3]
	flat_store_dwordx2 v[42:43], v[40:41] offset:384
	v_mul_f64 v[40:41], s[10:11], v[22:23]
	v_lshl_add_u64 v[42:43], v[38:39], 0, v[26:27]
	flat_store_dwordx2 v[42:43], v[40:41]
	v_mul_f64 v[40:41], s[10:11], v[20:21]
	flat_store_dwordx2 v[42:43], v[40:41] offset:128
	v_mul_f64 v[40:41], s[10:11], v[18:19]
	flat_store_dwordx2 v[42:43], v[40:41] offset:256
	v_mul_f64 v[40:41], s[10:11], v[16:17]
	v_lshl_add_u64 v[38:39], v[38:39], 0, s[2:3]
	flat_store_dwordx2 v[42:43], v[40:41] offset:384
	v_mul_f64 v[40:41], s[10:11], v[14:15]
	v_lshl_add_u64 v[42:43], v[38:39], 0, v[26:27]
	flat_store_dwordx2 v[42:43], v[40:41]
	v_mul_f64 v[40:41], s[10:11], v[12:13]
	flat_store_dwordx2 v[42:43], v[40:41] offset:128
	v_mul_f64 v[40:41], s[10:11], v[10:11]
	;; [unrolled: 10-line block ×3, first 2 shown]
	flat_store_dwordx2 v[38:39], v[40:41] offset:256
	v_mul_f64 v[40:41], s[10:11], v[0:1]
	flat_store_dwordx2 v[38:39], v[40:41] offset:384
	s_andn2_b64 vcc, exec, s[6:7]
	s_cbranch_vccnz .LBB209_7
.LBB209_6:
	s_lshl_b64 s[2:3], s[30:31], 3
	s_add_u32 s0, s0, s2
	s_addc_u32 s1, s1, s3
	v_mul_lo_u32 v37, v37, s28
	v_mul_lo_u32 v40, v36, s29
	v_mad_u64_u32 v[38:39], s[2:3], v36, s28, 0
	v_add3_u32 v39, v39, v40, v37
	v_lshl_add_u64 v[38:39], v[38:39], 3, s[0:1]
	v_lshl_add_u64 v[40:41], v[38:39], 0, v[26:27]
	flat_load_dwordx2 v[42:43], v[40:41]
	v_mad_u64_u32 v[36:37], s[0:1], v36, s38, 0
	v_add3_u32 v37, v37, v29, v28
	v_lshl_add_u64 v[28:29], v[36:37], 3, s[4:5]
	v_lshl_add_u64 v[36:37], v[28:29], 0, v[26:27]
	s_lshl_b64 s[0:1], s[28:29], 7
	s_lshl_b64 s[2:3], s[38:39], 7
	v_lshl_add_u64 v[28:29], v[28:29], 0, s[2:3]
	s_waitcnt vmcnt(0) lgkmcnt(0)
	v_mul_f64 v[42:43], s[24:25], v[42:43]
	v_fmac_f64_e32 v[42:43], s[10:11], v[34:35]
	flat_store_dwordx2 v[36:37], v[42:43]
	flat_load_dwordx2 v[34:35], v[40:41] offset:128
	s_waitcnt vmcnt(0) lgkmcnt(0)
	v_mul_f64 v[34:35], s[24:25], v[34:35]
	v_fmac_f64_e32 v[34:35], s[10:11], v[32:33]
	flat_store_dwordx2 v[36:37], v[34:35] offset:128
	flat_load_dwordx2 v[32:33], v[40:41] offset:256
	s_waitcnt vmcnt(0) lgkmcnt(0)
	v_mul_f64 v[32:33], s[24:25], v[32:33]
	v_fmac_f64_e32 v[32:33], s[10:11], v[30:31]
	flat_store_dwordx2 v[36:37], v[32:33] offset:256
	flat_load_dwordx2 v[30:31], v[40:41] offset:384
	v_lshl_add_u64 v[32:33], v[38:39], 0, s[0:1]
	v_lshl_add_u64 v[34:35], v[32:33], 0, v[26:27]
	s_waitcnt vmcnt(0) lgkmcnt(0)
	v_mul_f64 v[30:31], s[24:25], v[30:31]
	v_fmac_f64_e32 v[30:31], s[10:11], v[24:25]
	flat_store_dwordx2 v[36:37], v[30:31] offset:384
	flat_load_dwordx2 v[24:25], v[34:35]
	v_lshl_add_u64 v[30:31], v[28:29], 0, v[26:27]
	s_waitcnt vmcnt(0) lgkmcnt(0)
	v_mul_f64 v[24:25], s[24:25], v[24:25]
	v_fmac_f64_e32 v[24:25], s[10:11], v[22:23]
	flat_store_dwordx2 v[30:31], v[24:25]
	flat_load_dwordx2 v[22:23], v[34:35] offset:128
	s_waitcnt vmcnt(0) lgkmcnt(0)
	v_mul_f64 v[22:23], s[24:25], v[22:23]
	v_fmac_f64_e32 v[22:23], s[10:11], v[20:21]
	flat_store_dwordx2 v[30:31], v[22:23] offset:128
	flat_load_dwordx2 v[20:21], v[34:35] offset:256
	s_waitcnt vmcnt(0) lgkmcnt(0)
	v_mul_f64 v[20:21], s[24:25], v[20:21]
	v_fmac_f64_e32 v[20:21], s[10:11], v[18:19]
	flat_store_dwordx2 v[30:31], v[20:21] offset:256
	flat_load_dwordx2 v[18:19], v[34:35] offset:384
	v_lshl_add_u64 v[20:21], v[32:33], 0, s[0:1]
	v_lshl_add_u64 v[22:23], v[20:21], 0, v[26:27]
	s_waitcnt vmcnt(0) lgkmcnt(0)
	v_mul_f64 v[18:19], s[24:25], v[18:19]
	v_fmac_f64_e32 v[18:19], s[10:11], v[16:17]
	flat_store_dwordx2 v[30:31], v[18:19] offset:384
	flat_load_dwordx2 v[16:17], v[22:23]
	v_lshl_add_u64 v[18:19], v[28:29], 0, s[2:3]
	v_lshl_add_u64 v[24:25], v[18:19], 0, v[26:27]
	s_waitcnt vmcnt(0) lgkmcnt(0)
	v_mul_f64 v[16:17], s[24:25], v[16:17]
	v_fmac_f64_e32 v[16:17], s[10:11], v[14:15]
	flat_store_dwordx2 v[24:25], v[16:17]
	flat_load_dwordx2 v[14:15], v[22:23] offset:128
	s_waitcnt vmcnt(0) lgkmcnt(0)
	v_mul_f64 v[14:15], s[24:25], v[14:15]
	v_fmac_f64_e32 v[14:15], s[10:11], v[12:13]
	flat_store_dwordx2 v[24:25], v[14:15] offset:128
	flat_load_dwordx2 v[12:13], v[22:23] offset:256
	s_waitcnt vmcnt(0) lgkmcnt(0)
	v_mul_f64 v[12:13], s[24:25], v[12:13]
	v_fmac_f64_e32 v[12:13], s[10:11], v[10:11]
	flat_store_dwordx2 v[24:25], v[12:13] offset:256
	flat_load_dwordx2 v[10:11], v[22:23] offset:384
	v_lshl_add_u64 v[12:13], v[20:21], 0, s[0:1]
	v_lshl_add_u64 v[12:13], v[12:13], 0, v[26:27]
	s_waitcnt vmcnt(0) lgkmcnt(0)
	v_mul_f64 v[10:11], s[24:25], v[10:11]
	v_fmac_f64_e32 v[10:11], s[10:11], v[8:9]
	flat_store_dwordx2 v[24:25], v[10:11] offset:384
	flat_load_dwordx2 v[8:9], v[12:13]
	v_lshl_add_u64 v[10:11], v[18:19], 0, s[2:3]
	s_waitcnt vmcnt(0) lgkmcnt(0)
	v_mul_f64 v[8:9], s[24:25], v[8:9]
	v_fmac_f64_e32 v[8:9], s[10:11], v[6:7]
	v_lshl_add_u64 v[6:7], v[10:11], 0, v[26:27]
	flat_store_dwordx2 v[6:7], v[8:9]
	flat_load_dwordx2 v[8:9], v[12:13] offset:128
	s_waitcnt vmcnt(0) lgkmcnt(0)
	v_mul_f64 v[8:9], s[24:25], v[8:9]
	v_fmac_f64_e32 v[8:9], s[10:11], v[4:5]
	flat_store_dwordx2 v[6:7], v[8:9] offset:128
	flat_load_dwordx2 v[4:5], v[12:13] offset:256
	s_waitcnt vmcnt(0) lgkmcnt(0)
	v_mul_f64 v[4:5], s[24:25], v[4:5]
	v_fmac_f64_e32 v[4:5], s[10:11], v[2:3]
	flat_store_dwordx2 v[6:7], v[4:5] offset:256
	;; [unrolled: 5-line block ×3, first 2 shown]
.LBB209_7:
	s_endpgm
.LBB209_8:
	s_branch .LBB209_6
	.section	.rodata,"a",@progbits
	.p2align	6, 0x0
	.amdhsa_kernel _ZN12_GLOBAL__N_127rocblas_gemm_batched_kernelIdLi16ELi16ELi64ELi64ELi4ELi64ELi4ELi4ELi64ELc67ELc67EKPKdS3_KPdEEvlllT_PT11_llS8_llS6_PT12_llPT13_lli
		.amdhsa_group_segment_fixed_size 4096
		.amdhsa_private_segment_fixed_size 0
		.amdhsa_kernarg_size 140
		.amdhsa_user_sgpr_count 2
		.amdhsa_user_sgpr_dispatch_ptr 0
		.amdhsa_user_sgpr_queue_ptr 0
		.amdhsa_user_sgpr_kernarg_segment_ptr 1
		.amdhsa_user_sgpr_dispatch_id 0
		.amdhsa_user_sgpr_kernarg_preload_length 0
		.amdhsa_user_sgpr_kernarg_preload_offset 0
		.amdhsa_user_sgpr_private_segment_size 0
		.amdhsa_uses_dynamic_stack 0
		.amdhsa_enable_private_segment 0
		.amdhsa_system_sgpr_workgroup_id_x 1
		.amdhsa_system_sgpr_workgroup_id_y 1
		.amdhsa_system_sgpr_workgroup_id_z 1
		.amdhsa_system_sgpr_workgroup_info 0
		.amdhsa_system_vgpr_workitem_id 1
		.amdhsa_next_free_vgpr 86
		.amdhsa_next_free_sgpr 44
		.amdhsa_accum_offset 88
		.amdhsa_reserve_vcc 1
		.amdhsa_float_round_mode_32 0
		.amdhsa_float_round_mode_16_64 0
		.amdhsa_float_denorm_mode_32 3
		.amdhsa_float_denorm_mode_16_64 3
		.amdhsa_dx10_clamp 1
		.amdhsa_ieee_mode 1
		.amdhsa_fp16_overflow 0
		.amdhsa_tg_split 0
		.amdhsa_exception_fp_ieee_invalid_op 0
		.amdhsa_exception_fp_denorm_src 0
		.amdhsa_exception_fp_ieee_div_zero 0
		.amdhsa_exception_fp_ieee_overflow 0
		.amdhsa_exception_fp_ieee_underflow 0
		.amdhsa_exception_fp_ieee_inexact 0
		.amdhsa_exception_int_div_zero 0
	.end_amdhsa_kernel
	.section	.text._ZN12_GLOBAL__N_127rocblas_gemm_batched_kernelIdLi16ELi16ELi64ELi64ELi4ELi64ELi4ELi4ELi64ELc67ELc67EKPKdS3_KPdEEvlllT_PT11_llS8_llS6_PT12_llPT13_lli,"axG",@progbits,_ZN12_GLOBAL__N_127rocblas_gemm_batched_kernelIdLi16ELi16ELi64ELi64ELi4ELi64ELi4ELi4ELi64ELc67ELc67EKPKdS3_KPdEEvlllT_PT11_llS8_llS6_PT12_llPT13_lli,comdat
.Lfunc_end209:
	.size	_ZN12_GLOBAL__N_127rocblas_gemm_batched_kernelIdLi16ELi16ELi64ELi64ELi4ELi64ELi4ELi4ELi64ELc67ELc67EKPKdS3_KPdEEvlllT_PT11_llS8_llS6_PT12_llPT13_lli, .Lfunc_end209-_ZN12_GLOBAL__N_127rocblas_gemm_batched_kernelIdLi16ELi16ELi64ELi64ELi4ELi64ELi4ELi4ELi64ELc67ELc67EKPKdS3_KPdEEvlllT_PT11_llS8_llS6_PT12_llPT13_lli
                                        ; -- End function
	.set _ZN12_GLOBAL__N_127rocblas_gemm_batched_kernelIdLi16ELi16ELi64ELi64ELi4ELi64ELi4ELi4ELi64ELc67ELc67EKPKdS3_KPdEEvlllT_PT11_llS8_llS6_PT12_llPT13_lli.num_vgpr, 86
	.set _ZN12_GLOBAL__N_127rocblas_gemm_batched_kernelIdLi16ELi16ELi64ELi64ELi4ELi64ELi4ELi4ELi64ELc67ELc67EKPKdS3_KPdEEvlllT_PT11_llS8_llS6_PT12_llPT13_lli.num_agpr, 0
	.set _ZN12_GLOBAL__N_127rocblas_gemm_batched_kernelIdLi16ELi16ELi64ELi64ELi4ELi64ELi4ELi4ELi64ELc67ELc67EKPKdS3_KPdEEvlllT_PT11_llS8_llS6_PT12_llPT13_lli.numbered_sgpr, 44
	.set _ZN12_GLOBAL__N_127rocblas_gemm_batched_kernelIdLi16ELi16ELi64ELi64ELi4ELi64ELi4ELi4ELi64ELc67ELc67EKPKdS3_KPdEEvlllT_PT11_llS8_llS6_PT12_llPT13_lli.num_named_barrier, 0
	.set _ZN12_GLOBAL__N_127rocblas_gemm_batched_kernelIdLi16ELi16ELi64ELi64ELi4ELi64ELi4ELi4ELi64ELc67ELc67EKPKdS3_KPdEEvlllT_PT11_llS8_llS6_PT12_llPT13_lli.private_seg_size, 0
	.set _ZN12_GLOBAL__N_127rocblas_gemm_batched_kernelIdLi16ELi16ELi64ELi64ELi4ELi64ELi4ELi4ELi64ELc67ELc67EKPKdS3_KPdEEvlllT_PT11_llS8_llS6_PT12_llPT13_lli.uses_vcc, 1
	.set _ZN12_GLOBAL__N_127rocblas_gemm_batched_kernelIdLi16ELi16ELi64ELi64ELi4ELi64ELi4ELi4ELi64ELc67ELc67EKPKdS3_KPdEEvlllT_PT11_llS8_llS6_PT12_llPT13_lli.uses_flat_scratch, 0
	.set _ZN12_GLOBAL__N_127rocblas_gemm_batched_kernelIdLi16ELi16ELi64ELi64ELi4ELi64ELi4ELi4ELi64ELc67ELc67EKPKdS3_KPdEEvlllT_PT11_llS8_llS6_PT12_llPT13_lli.has_dyn_sized_stack, 0
	.set _ZN12_GLOBAL__N_127rocblas_gemm_batched_kernelIdLi16ELi16ELi64ELi64ELi4ELi64ELi4ELi4ELi64ELc67ELc67EKPKdS3_KPdEEvlllT_PT11_llS8_llS6_PT12_llPT13_lli.has_recursion, 0
	.set _ZN12_GLOBAL__N_127rocblas_gemm_batched_kernelIdLi16ELi16ELi64ELi64ELi4ELi64ELi4ELi4ELi64ELc67ELc67EKPKdS3_KPdEEvlllT_PT11_llS8_llS6_PT12_llPT13_lli.has_indirect_call, 0
	.section	.AMDGPU.csdata,"",@progbits
; Kernel info:
; codeLenInByte = 2172
; TotalNumSgprs: 50
; NumVgprs: 86
; NumAgprs: 0
; TotalNumVgprs: 86
; ScratchSize: 0
; MemoryBound: 0
; FloatMode: 240
; IeeeMode: 1
; LDSByteSize: 4096 bytes/workgroup (compile time only)
; SGPRBlocks: 6
; VGPRBlocks: 10
; NumSGPRsForWavesPerEU: 50
; NumVGPRsForWavesPerEU: 86
; AccumOffset: 88
; Occupancy: 5
; WaveLimiterHint : 1
; COMPUTE_PGM_RSRC2:SCRATCH_EN: 0
; COMPUTE_PGM_RSRC2:USER_SGPR: 2
; COMPUTE_PGM_RSRC2:TRAP_HANDLER: 0
; COMPUTE_PGM_RSRC2:TGID_X_EN: 1
; COMPUTE_PGM_RSRC2:TGID_Y_EN: 1
; COMPUTE_PGM_RSRC2:TGID_Z_EN: 1
; COMPUTE_PGM_RSRC2:TIDIG_COMP_CNT: 1
; COMPUTE_PGM_RSRC3_GFX90A:ACCUM_OFFSET: 21
; COMPUTE_PGM_RSRC3_GFX90A:TG_SPLIT: 0
	.section	.text._ZN12_GLOBAL__N_127rocblas_gemm_batched_kernelIdLi16ELi16ELi64ELi64ELi4ELi64ELi4ELi4ELi64ELc67ELc78EKPKdS3_KPdEEvlllT_PT11_llS8_llS6_PT12_llPT13_lli,"axG",@progbits,_ZN12_GLOBAL__N_127rocblas_gemm_batched_kernelIdLi16ELi16ELi64ELi64ELi4ELi64ELi4ELi4ELi64ELc67ELc78EKPKdS3_KPdEEvlllT_PT11_llS8_llS6_PT12_llPT13_lli,comdat
	.globl	_ZN12_GLOBAL__N_127rocblas_gemm_batched_kernelIdLi16ELi16ELi64ELi64ELi4ELi64ELi4ELi4ELi64ELc67ELc78EKPKdS3_KPdEEvlllT_PT11_llS8_llS6_PT12_llPT13_lli ; -- Begin function _ZN12_GLOBAL__N_127rocblas_gemm_batched_kernelIdLi16ELi16ELi64ELi64ELi4ELi64ELi4ELi4ELi64ELc67ELc78EKPKdS3_KPdEEvlllT_PT11_llS8_llS6_PT12_llPT13_lli
	.p2align	8
	.type	_ZN12_GLOBAL__N_127rocblas_gemm_batched_kernelIdLi16ELi16ELi64ELi64ELi4ELi64ELi4ELi4ELi64ELc67ELc78EKPKdS3_KPdEEvlllT_PT11_llS8_llS6_PT12_llPT13_lli,@function
_ZN12_GLOBAL__N_127rocblas_gemm_batched_kernelIdLi16ELi16ELi64ELi64ELi4ELi64ELi4ELi4ELi64ELc67ELc78EKPKdS3_KPdEEvlllT_PT11_llS8_llS6_PT12_llPT13_lli: ; @_ZN12_GLOBAL__N_127rocblas_gemm_batched_kernelIdLi16ELi16ELi64ELi64ELi4ELi64ELi4ELi4ELi64ELc67ELc78EKPKdS3_KPdEEvlllT_PT11_llS8_llS6_PT12_llPT13_lli
; %bb.0:
	s_load_dwordx16 s[8:23], s[0:1], 0x10
	s_load_dwordx8 s[36:43], s[0:1], 0x70
	s_load_dwordx8 s[24:31], s[0:1], 0x50
	s_mov_b32 s5, 0
	s_lshl_b64 s[34:35], s[4:5], 3
	s_mov_b32 s6, s3
	v_mov_b32_e32 v27, 0
	s_waitcnt lgkmcnt(0)
	s_add_u32 s0, s26, s34
	s_addc_u32 s1, s27, s35
	s_add_u32 s4, s36, s34
	s_addc_u32 s5, s37, s35
	s_load_dwordx2 s[0:1], s[0:1], 0x0
	s_ashr_i32 s3, s2, 31
	s_load_dwordx2 s[4:5], s[4:5], 0x0
	s_ashr_i32 s7, s6, 31
	v_cmp_lt_i64_e64 s[26:27], s[8:9], 1
	v_bfe_u32 v26, v0, 10, 10
	v_and_b32_e32 v28, 0x3ff, v0
	v_mov_b32_e32 v29, v27
	s_lshl_b64 s[2:3], s[2:3], 6
	s_lshl_b64 s[6:7], s[6:7], 6
	s_and_b64 vcc, exec, s[26:27]
	s_cbranch_vccnz .LBB210_3
; %bb.1:
	v_lshl_add_u32 v6, v26, 4, v28
	s_add_u32 s12, s12, s34
	v_lshrrev_b32_e32 v0, 2, v6
	v_mov_b32_e32 v1, v27
	v_and_b32_e32 v4, 63, v6
	s_addc_u32 s13, s13, s35
	v_lshl_add_u64 v[2:3], v[0:1], 0, s[6:7]
	v_and_b32_e32 v1, 3, v28
	v_lshrrev_b32_e32 v8, 6, v6
	v_lshlrev_b32_e32 v6, 3, v4
	s_add_u32 s18, s18, s34
	v_lshl_or_b32 v42, v8, 9, v6
	v_lshlrev_b32_e32 v6, 3, v1
	s_addc_u32 s19, s19, s35
	v_lshl_or_b32 v0, v0, 5, v6
	s_load_dwordx2 s[18:19], s[18:19], 0x0
	v_add_u32_e32 v43, 0x800, v0
	v_mov_b32_e32 v0, 0x800
	v_lshl_add_u32 v45, v26, 5, v0
	v_mul_lo_u32 v7, s21, v2
	v_mul_lo_u32 v3, s20, v3
	v_mad_u64_u32 v[0:1], s[20:21], s20, v2, 0
	v_add3_u32 v1, v1, v3, v7
	s_lshl_b64 s[20:21], s[22:23], 3
	v_lshl_add_u64 v[0:1], v[0:1], 3, s[20:21]
	v_mov_b32_e32 v7, v27
	v_mov_b32_e32 v5, v27
	v_lshl_add_u64 v[0:1], v[0:1], 0, v[6:7]
	s_load_dwordx2 s[12:13], s[12:13], 0x0
	s_waitcnt lgkmcnt(0)
	v_lshl_add_u64 v[36:37], s[18:19], 0, v[0:1]
	v_lshl_add_u64 v[0:1], s[2:3], 0, v[4:5]
	v_mul_lo_u32 v2, s15, v0
	v_mul_lo_u32 v3, s14, v1
	v_mad_u64_u32 v[0:1], s[14:15], s14, v0, 0
	v_add3_u32 v1, v1, v3, v2
	s_lshl_b64 s[14:15], s[16:17], 3
	v_lshl_add_u64 v[0:1], v[0:1], 3, s[14:15]
	v_lshlrev_b32_e32 v2, 3, v8
	v_mov_b32_e32 v3, v27
	v_lshl_add_u64 v[0:1], v[0:1], 0, v[2:3]
	v_lshlrev_b32_e32 v44, 3, v28
	v_lshl_add_u64 v[38:39], s[12:13], 0, v[0:1]
	s_mov_b64 s[12:13], 0
	v_mov_b64_e32 v[0:1], 0
	v_mov_b64_e32 v[40:41], s[8:9]
	;; [unrolled: 1-line block ×17, first 2 shown]
.LBB210_2:                              ; =>This Inner Loop Header: Depth=1
	flat_load_dwordx2 v[46:47], v[38:39]
	s_add_u32 s12, s12, 4
	s_addc_u32 s13, s13, 0
	v_cmp_lt_i64_e32 vcc, s[12:13], v[40:41]
	v_lshl_add_u64 v[38:39], v[38:39], 0, 32
	s_and_b64 vcc, exec, vcc
	s_waitcnt vmcnt(0) lgkmcnt(0)
	ds_write_b64 v42, v[46:47]
	flat_load_dwordx2 v[46:47], v[36:37]
	v_lshl_add_u64 v[36:37], v[36:37], 0, 32
	s_waitcnt vmcnt(0) lgkmcnt(0)
	ds_write_b64 v43, v[46:47]
	s_waitcnt lgkmcnt(0)
	s_barrier
	ds_read2_b64 v[46:49], v44 offset1:16
	ds_read_b128 v[50:53], v45 offset:1536
	ds_read_b128 v[54:57], v45
	ds_read_b128 v[58:61], v45 offset:16
	ds_read_b128 v[62:65], v45 offset:512
	;; [unrolled: 1-line block ×5, first 2 shown]
	s_waitcnt lgkmcnt(5)
	v_fmac_f64_e32 v[34:35], v[46:47], v[54:55]
	v_fmac_f64_e32 v[32:33], v[48:49], v[54:55]
	s_waitcnt lgkmcnt(3)
	v_fmac_f64_e32 v[22:23], v[46:47], v[62:63]
	v_fmac_f64_e32 v[20:21], v[48:49], v[62:63]
	;; [unrolled: 3-line block ×3, first 2 shown]
	v_fmac_f64_e32 v[6:7], v[46:47], v[50:51]
	v_fmac_f64_e32 v[4:5], v[48:49], v[50:51]
	ds_read2_b64 v[46:49], v44 offset0:32 offset1:48
	ds_read2_b64 v[82:85], v44 offset0:96 offset1:112
	ds_read_b128 v[78:81], v45 offset:1552
	s_waitcnt lgkmcnt(2)
	v_fmac_f64_e32 v[30:31], v[46:47], v[54:55]
	v_fmac_f64_e32 v[24:25], v[48:49], v[54:55]
	;; [unrolled: 1-line block ×8, first 2 shown]
	ds_read2_b64 v[46:49], v44 offset0:64 offset1:80
	s_waitcnt lgkmcnt(2)
	v_fmac_f64_e32 v[30:31], v[82:83], v[56:57]
	v_fmac_f64_e32 v[24:25], v[84:85], v[56:57]
	v_fmac_f64_e32 v[18:19], v[82:83], v[64:65]
	v_fmac_f64_e32 v[16:17], v[84:85], v[64:65]
	s_waitcnt lgkmcnt(0)
	v_fmac_f64_e32 v[34:35], v[46:47], v[56:57]
	v_fmac_f64_e32 v[32:33], v[48:49], v[56:57]
	;; [unrolled: 1-line block ×6, first 2 shown]
	ds_read2_b64 v[54:57], v44 offset0:128 offset1:144
	v_fmac_f64_e32 v[6:7], v[46:47], v[52:53]
	v_fmac_f64_e32 v[4:5], v[48:49], v[52:53]
	ds_read2_b64 v[46:49], v44 offset0:160 offset1:176
	v_fmac_f64_e32 v[2:3], v[82:83], v[52:53]
	v_fmac_f64_e32 v[0:1], v[84:85], v[52:53]
	ds_read2_b64 v[50:53], v44 offset0:192 offset1:208
	ds_read2_b64 v[62:65], v44 offset0:224 offset1:240
	v_fmac_f64_e32 v[10:11], v[82:83], v[72:73]
	v_fmac_f64_e32 v[8:9], v[84:85], v[72:73]
	s_waitcnt lgkmcnt(3)
	v_fmac_f64_e32 v[34:35], v[54:55], v[58:59]
	v_fmac_f64_e32 v[32:33], v[56:57], v[58:59]
	;; [unrolled: 1-line block ×8, first 2 shown]
	s_waitcnt lgkmcnt(2)
	v_fmac_f64_e32 v[30:31], v[46:47], v[58:59]
	v_fmac_f64_e32 v[24:25], v[48:49], v[58:59]
	;; [unrolled: 1-line block ×8, first 2 shown]
	s_waitcnt lgkmcnt(1)
	v_fmac_f64_e32 v[34:35], v[50:51], v[60:61]
	v_fmac_f64_e32 v[32:33], v[52:53], v[60:61]
	s_waitcnt lgkmcnt(0)
	v_fmac_f64_e32 v[30:31], v[62:63], v[60:61]
	v_fmac_f64_e32 v[24:25], v[64:65], v[60:61]
	;; [unrolled: 1-line block ×14, first 2 shown]
	s_barrier
	s_cbranch_vccnz .LBB210_2
	s_branch .LBB210_4
.LBB210_3:
	v_mov_b64_e32 v[34:35], 0
	v_mov_b64_e32 v[32:33], 0
	;; [unrolled: 1-line block ×16, first 2 shown]
.LBB210_4:
	s_lshl_b64 s[8:9], s[40:41], 3
	s_waitcnt lgkmcnt(0)
	s_add_u32 s4, s4, s8
	s_addc_u32 s5, s5, s9
	v_lshl_add_u64 v[36:37], s[6:7], 0, v[26:27]
	v_cmp_neq_f64_e64 s[8:9], s[24:25], 0
	v_lshl_add_u64 v[26:27], s[2:3], 0, v[28:29]
	s_mov_b64 s[6:7], 0
	s_and_b64 vcc, exec, s[8:9]
	v_mul_lo_u32 v28, v37, s38
	v_mul_lo_u32 v29, v36, s39
	v_lshlrev_b64 v[26:27], 3, v[26:27]
	s_cbranch_vccnz .LBB210_8
; %bb.5:
	v_mad_u64_u32 v[38:39], s[2:3], v36, s38, 0
	v_add3_u32 v39, v39, v29, v28
	v_lshl_add_u64 v[38:39], v[38:39], 3, s[4:5]
	v_mul_f64 v[40:41], s[10:11], v[34:35]
	v_lshl_add_u64 v[42:43], v[38:39], 0, v[26:27]
	flat_store_dwordx2 v[42:43], v[40:41]
	v_mul_f64 v[40:41], s[10:11], v[32:33]
	flat_store_dwordx2 v[42:43], v[40:41] offset:128
	v_mul_f64 v[40:41], s[10:11], v[30:31]
	s_lshl_b64 s[2:3], s[38:39], 7
	flat_store_dwordx2 v[42:43], v[40:41] offset:256
	v_mul_f64 v[40:41], s[10:11], v[24:25]
	v_lshl_add_u64 v[38:39], v[38:39], 0, s[2:3]
	flat_store_dwordx2 v[42:43], v[40:41] offset:384
	v_mul_f64 v[40:41], s[10:11], v[22:23]
	v_lshl_add_u64 v[42:43], v[38:39], 0, v[26:27]
	flat_store_dwordx2 v[42:43], v[40:41]
	v_mul_f64 v[40:41], s[10:11], v[20:21]
	flat_store_dwordx2 v[42:43], v[40:41] offset:128
	v_mul_f64 v[40:41], s[10:11], v[18:19]
	flat_store_dwordx2 v[42:43], v[40:41] offset:256
	v_mul_f64 v[40:41], s[10:11], v[16:17]
	v_lshl_add_u64 v[38:39], v[38:39], 0, s[2:3]
	flat_store_dwordx2 v[42:43], v[40:41] offset:384
	v_mul_f64 v[40:41], s[10:11], v[14:15]
	v_lshl_add_u64 v[42:43], v[38:39], 0, v[26:27]
	flat_store_dwordx2 v[42:43], v[40:41]
	v_mul_f64 v[40:41], s[10:11], v[12:13]
	flat_store_dwordx2 v[42:43], v[40:41] offset:128
	v_mul_f64 v[40:41], s[10:11], v[10:11]
	;; [unrolled: 10-line block ×3, first 2 shown]
	flat_store_dwordx2 v[38:39], v[40:41] offset:256
	v_mul_f64 v[40:41], s[10:11], v[0:1]
	flat_store_dwordx2 v[38:39], v[40:41] offset:384
	s_andn2_b64 vcc, exec, s[6:7]
	s_cbranch_vccnz .LBB210_7
.LBB210_6:
	s_lshl_b64 s[2:3], s[30:31], 3
	s_add_u32 s0, s0, s2
	s_addc_u32 s1, s1, s3
	v_mul_lo_u32 v37, v37, s28
	v_mul_lo_u32 v40, v36, s29
	v_mad_u64_u32 v[38:39], s[2:3], v36, s28, 0
	v_add3_u32 v39, v39, v40, v37
	v_lshl_add_u64 v[38:39], v[38:39], 3, s[0:1]
	v_lshl_add_u64 v[40:41], v[38:39], 0, v[26:27]
	flat_load_dwordx2 v[42:43], v[40:41]
	v_mad_u64_u32 v[36:37], s[0:1], v36, s38, 0
	v_add3_u32 v37, v37, v29, v28
	v_lshl_add_u64 v[28:29], v[36:37], 3, s[4:5]
	v_lshl_add_u64 v[36:37], v[28:29], 0, v[26:27]
	s_lshl_b64 s[0:1], s[28:29], 7
	s_lshl_b64 s[2:3], s[38:39], 7
	v_lshl_add_u64 v[28:29], v[28:29], 0, s[2:3]
	s_waitcnt vmcnt(0) lgkmcnt(0)
	v_mul_f64 v[42:43], s[24:25], v[42:43]
	v_fmac_f64_e32 v[42:43], s[10:11], v[34:35]
	flat_store_dwordx2 v[36:37], v[42:43]
	flat_load_dwordx2 v[34:35], v[40:41] offset:128
	s_waitcnt vmcnt(0) lgkmcnt(0)
	v_mul_f64 v[34:35], s[24:25], v[34:35]
	v_fmac_f64_e32 v[34:35], s[10:11], v[32:33]
	flat_store_dwordx2 v[36:37], v[34:35] offset:128
	flat_load_dwordx2 v[32:33], v[40:41] offset:256
	s_waitcnt vmcnt(0) lgkmcnt(0)
	v_mul_f64 v[32:33], s[24:25], v[32:33]
	v_fmac_f64_e32 v[32:33], s[10:11], v[30:31]
	flat_store_dwordx2 v[36:37], v[32:33] offset:256
	flat_load_dwordx2 v[30:31], v[40:41] offset:384
	v_lshl_add_u64 v[32:33], v[38:39], 0, s[0:1]
	v_lshl_add_u64 v[34:35], v[32:33], 0, v[26:27]
	s_waitcnt vmcnt(0) lgkmcnt(0)
	v_mul_f64 v[30:31], s[24:25], v[30:31]
	v_fmac_f64_e32 v[30:31], s[10:11], v[24:25]
	flat_store_dwordx2 v[36:37], v[30:31] offset:384
	flat_load_dwordx2 v[24:25], v[34:35]
	v_lshl_add_u64 v[30:31], v[28:29], 0, v[26:27]
	s_waitcnt vmcnt(0) lgkmcnt(0)
	v_mul_f64 v[24:25], s[24:25], v[24:25]
	v_fmac_f64_e32 v[24:25], s[10:11], v[22:23]
	flat_store_dwordx2 v[30:31], v[24:25]
	flat_load_dwordx2 v[22:23], v[34:35] offset:128
	s_waitcnt vmcnt(0) lgkmcnt(0)
	v_mul_f64 v[22:23], s[24:25], v[22:23]
	v_fmac_f64_e32 v[22:23], s[10:11], v[20:21]
	flat_store_dwordx2 v[30:31], v[22:23] offset:128
	flat_load_dwordx2 v[20:21], v[34:35] offset:256
	s_waitcnt vmcnt(0) lgkmcnt(0)
	v_mul_f64 v[20:21], s[24:25], v[20:21]
	v_fmac_f64_e32 v[20:21], s[10:11], v[18:19]
	flat_store_dwordx2 v[30:31], v[20:21] offset:256
	flat_load_dwordx2 v[18:19], v[34:35] offset:384
	v_lshl_add_u64 v[20:21], v[32:33], 0, s[0:1]
	v_lshl_add_u64 v[22:23], v[20:21], 0, v[26:27]
	s_waitcnt vmcnt(0) lgkmcnt(0)
	v_mul_f64 v[18:19], s[24:25], v[18:19]
	v_fmac_f64_e32 v[18:19], s[10:11], v[16:17]
	flat_store_dwordx2 v[30:31], v[18:19] offset:384
	flat_load_dwordx2 v[16:17], v[22:23]
	v_lshl_add_u64 v[18:19], v[28:29], 0, s[2:3]
	v_lshl_add_u64 v[24:25], v[18:19], 0, v[26:27]
	s_waitcnt vmcnt(0) lgkmcnt(0)
	v_mul_f64 v[16:17], s[24:25], v[16:17]
	v_fmac_f64_e32 v[16:17], s[10:11], v[14:15]
	flat_store_dwordx2 v[24:25], v[16:17]
	flat_load_dwordx2 v[14:15], v[22:23] offset:128
	s_waitcnt vmcnt(0) lgkmcnt(0)
	v_mul_f64 v[14:15], s[24:25], v[14:15]
	v_fmac_f64_e32 v[14:15], s[10:11], v[12:13]
	flat_store_dwordx2 v[24:25], v[14:15] offset:128
	flat_load_dwordx2 v[12:13], v[22:23] offset:256
	s_waitcnt vmcnt(0) lgkmcnt(0)
	v_mul_f64 v[12:13], s[24:25], v[12:13]
	v_fmac_f64_e32 v[12:13], s[10:11], v[10:11]
	flat_store_dwordx2 v[24:25], v[12:13] offset:256
	flat_load_dwordx2 v[10:11], v[22:23] offset:384
	v_lshl_add_u64 v[12:13], v[20:21], 0, s[0:1]
	v_lshl_add_u64 v[12:13], v[12:13], 0, v[26:27]
	s_waitcnt vmcnt(0) lgkmcnt(0)
	v_mul_f64 v[10:11], s[24:25], v[10:11]
	v_fmac_f64_e32 v[10:11], s[10:11], v[8:9]
	flat_store_dwordx2 v[24:25], v[10:11] offset:384
	flat_load_dwordx2 v[8:9], v[12:13]
	v_lshl_add_u64 v[10:11], v[18:19], 0, s[2:3]
	s_waitcnt vmcnt(0) lgkmcnt(0)
	v_mul_f64 v[8:9], s[24:25], v[8:9]
	v_fmac_f64_e32 v[8:9], s[10:11], v[6:7]
	v_lshl_add_u64 v[6:7], v[10:11], 0, v[26:27]
	flat_store_dwordx2 v[6:7], v[8:9]
	flat_load_dwordx2 v[8:9], v[12:13] offset:128
	s_waitcnt vmcnt(0) lgkmcnt(0)
	v_mul_f64 v[8:9], s[24:25], v[8:9]
	v_fmac_f64_e32 v[8:9], s[10:11], v[4:5]
	flat_store_dwordx2 v[6:7], v[8:9] offset:128
	flat_load_dwordx2 v[4:5], v[12:13] offset:256
	s_waitcnt vmcnt(0) lgkmcnt(0)
	v_mul_f64 v[4:5], s[24:25], v[4:5]
	v_fmac_f64_e32 v[4:5], s[10:11], v[2:3]
	flat_store_dwordx2 v[6:7], v[4:5] offset:256
	;; [unrolled: 5-line block ×3, first 2 shown]
.LBB210_7:
	s_endpgm
.LBB210_8:
	s_branch .LBB210_6
	.section	.rodata,"a",@progbits
	.p2align	6, 0x0
	.amdhsa_kernel _ZN12_GLOBAL__N_127rocblas_gemm_batched_kernelIdLi16ELi16ELi64ELi64ELi4ELi64ELi4ELi4ELi64ELc67ELc78EKPKdS3_KPdEEvlllT_PT11_llS8_llS6_PT12_llPT13_lli
		.amdhsa_group_segment_fixed_size 4096
		.amdhsa_private_segment_fixed_size 0
		.amdhsa_kernarg_size 140
		.amdhsa_user_sgpr_count 2
		.amdhsa_user_sgpr_dispatch_ptr 0
		.amdhsa_user_sgpr_queue_ptr 0
		.amdhsa_user_sgpr_kernarg_segment_ptr 1
		.amdhsa_user_sgpr_dispatch_id 0
		.amdhsa_user_sgpr_kernarg_preload_length 0
		.amdhsa_user_sgpr_kernarg_preload_offset 0
		.amdhsa_user_sgpr_private_segment_size 0
		.amdhsa_uses_dynamic_stack 0
		.amdhsa_enable_private_segment 0
		.amdhsa_system_sgpr_workgroup_id_x 1
		.amdhsa_system_sgpr_workgroup_id_y 1
		.amdhsa_system_sgpr_workgroup_id_z 1
		.amdhsa_system_sgpr_workgroup_info 0
		.amdhsa_system_vgpr_workitem_id 1
		.amdhsa_next_free_vgpr 86
		.amdhsa_next_free_sgpr 44
		.amdhsa_accum_offset 88
		.amdhsa_reserve_vcc 1
		.amdhsa_float_round_mode_32 0
		.amdhsa_float_round_mode_16_64 0
		.amdhsa_float_denorm_mode_32 3
		.amdhsa_float_denorm_mode_16_64 3
		.amdhsa_dx10_clamp 1
		.amdhsa_ieee_mode 1
		.amdhsa_fp16_overflow 0
		.amdhsa_tg_split 0
		.amdhsa_exception_fp_ieee_invalid_op 0
		.amdhsa_exception_fp_denorm_src 0
		.amdhsa_exception_fp_ieee_div_zero 0
		.amdhsa_exception_fp_ieee_overflow 0
		.amdhsa_exception_fp_ieee_underflow 0
		.amdhsa_exception_fp_ieee_inexact 0
		.amdhsa_exception_int_div_zero 0
	.end_amdhsa_kernel
	.section	.text._ZN12_GLOBAL__N_127rocblas_gemm_batched_kernelIdLi16ELi16ELi64ELi64ELi4ELi64ELi4ELi4ELi64ELc67ELc78EKPKdS3_KPdEEvlllT_PT11_llS8_llS6_PT12_llPT13_lli,"axG",@progbits,_ZN12_GLOBAL__N_127rocblas_gemm_batched_kernelIdLi16ELi16ELi64ELi64ELi4ELi64ELi4ELi4ELi64ELc67ELc78EKPKdS3_KPdEEvlllT_PT11_llS8_llS6_PT12_llPT13_lli,comdat
.Lfunc_end210:
	.size	_ZN12_GLOBAL__N_127rocblas_gemm_batched_kernelIdLi16ELi16ELi64ELi64ELi4ELi64ELi4ELi4ELi64ELc67ELc78EKPKdS3_KPdEEvlllT_PT11_llS8_llS6_PT12_llPT13_lli, .Lfunc_end210-_ZN12_GLOBAL__N_127rocblas_gemm_batched_kernelIdLi16ELi16ELi64ELi64ELi4ELi64ELi4ELi4ELi64ELc67ELc78EKPKdS3_KPdEEvlllT_PT11_llS8_llS6_PT12_llPT13_lli
                                        ; -- End function
	.set _ZN12_GLOBAL__N_127rocblas_gemm_batched_kernelIdLi16ELi16ELi64ELi64ELi4ELi64ELi4ELi4ELi64ELc67ELc78EKPKdS3_KPdEEvlllT_PT11_llS8_llS6_PT12_llPT13_lli.num_vgpr, 86
	.set _ZN12_GLOBAL__N_127rocblas_gemm_batched_kernelIdLi16ELi16ELi64ELi64ELi4ELi64ELi4ELi4ELi64ELc67ELc78EKPKdS3_KPdEEvlllT_PT11_llS8_llS6_PT12_llPT13_lli.num_agpr, 0
	.set _ZN12_GLOBAL__N_127rocblas_gemm_batched_kernelIdLi16ELi16ELi64ELi64ELi4ELi64ELi4ELi4ELi64ELc67ELc78EKPKdS3_KPdEEvlllT_PT11_llS8_llS6_PT12_llPT13_lli.numbered_sgpr, 44
	.set _ZN12_GLOBAL__N_127rocblas_gemm_batched_kernelIdLi16ELi16ELi64ELi64ELi4ELi64ELi4ELi4ELi64ELc67ELc78EKPKdS3_KPdEEvlllT_PT11_llS8_llS6_PT12_llPT13_lli.num_named_barrier, 0
	.set _ZN12_GLOBAL__N_127rocblas_gemm_batched_kernelIdLi16ELi16ELi64ELi64ELi4ELi64ELi4ELi4ELi64ELc67ELc78EKPKdS3_KPdEEvlllT_PT11_llS8_llS6_PT12_llPT13_lli.private_seg_size, 0
	.set _ZN12_GLOBAL__N_127rocblas_gemm_batched_kernelIdLi16ELi16ELi64ELi64ELi4ELi64ELi4ELi4ELi64ELc67ELc78EKPKdS3_KPdEEvlllT_PT11_llS8_llS6_PT12_llPT13_lli.uses_vcc, 1
	.set _ZN12_GLOBAL__N_127rocblas_gemm_batched_kernelIdLi16ELi16ELi64ELi64ELi4ELi64ELi4ELi4ELi64ELc67ELc78EKPKdS3_KPdEEvlllT_PT11_llS8_llS6_PT12_llPT13_lli.uses_flat_scratch, 0
	.set _ZN12_GLOBAL__N_127rocblas_gemm_batched_kernelIdLi16ELi16ELi64ELi64ELi4ELi64ELi4ELi4ELi64ELc67ELc78EKPKdS3_KPdEEvlllT_PT11_llS8_llS6_PT12_llPT13_lli.has_dyn_sized_stack, 0
	.set _ZN12_GLOBAL__N_127rocblas_gemm_batched_kernelIdLi16ELi16ELi64ELi64ELi4ELi64ELi4ELi4ELi64ELc67ELc78EKPKdS3_KPdEEvlllT_PT11_llS8_llS6_PT12_llPT13_lli.has_recursion, 0
	.set _ZN12_GLOBAL__N_127rocblas_gemm_batched_kernelIdLi16ELi16ELi64ELi64ELi4ELi64ELi4ELi4ELi64ELc67ELc78EKPKdS3_KPdEEvlllT_PT11_llS8_llS6_PT12_llPT13_lli.has_indirect_call, 0
	.section	.AMDGPU.csdata,"",@progbits
; Kernel info:
; codeLenInByte = 2188
; TotalNumSgprs: 50
; NumVgprs: 86
; NumAgprs: 0
; TotalNumVgprs: 86
; ScratchSize: 0
; MemoryBound: 0
; FloatMode: 240
; IeeeMode: 1
; LDSByteSize: 4096 bytes/workgroup (compile time only)
; SGPRBlocks: 6
; VGPRBlocks: 10
; NumSGPRsForWavesPerEU: 50
; NumVGPRsForWavesPerEU: 86
; AccumOffset: 88
; Occupancy: 5
; WaveLimiterHint : 1
; COMPUTE_PGM_RSRC2:SCRATCH_EN: 0
; COMPUTE_PGM_RSRC2:USER_SGPR: 2
; COMPUTE_PGM_RSRC2:TRAP_HANDLER: 0
; COMPUTE_PGM_RSRC2:TGID_X_EN: 1
; COMPUTE_PGM_RSRC2:TGID_Y_EN: 1
; COMPUTE_PGM_RSRC2:TGID_Z_EN: 1
; COMPUTE_PGM_RSRC2:TIDIG_COMP_CNT: 1
; COMPUTE_PGM_RSRC3_GFX90A:ACCUM_OFFSET: 21
; COMPUTE_PGM_RSRC3_GFX90A:TG_SPLIT: 0
	.section	.text._ZN12_GLOBAL__N_127rocblas_gemm_batched_kernelIdLi16ELi16ELi64ELi64ELi4ELi64ELi4ELi4ELi64ELc67ELc84EKPKdS3_KPdEEvlllT_PT11_llS8_llS6_PT12_llPT13_lli,"axG",@progbits,_ZN12_GLOBAL__N_127rocblas_gemm_batched_kernelIdLi16ELi16ELi64ELi64ELi4ELi64ELi4ELi4ELi64ELc67ELc84EKPKdS3_KPdEEvlllT_PT11_llS8_llS6_PT12_llPT13_lli,comdat
	.globl	_ZN12_GLOBAL__N_127rocblas_gemm_batched_kernelIdLi16ELi16ELi64ELi64ELi4ELi64ELi4ELi4ELi64ELc67ELc84EKPKdS3_KPdEEvlllT_PT11_llS8_llS6_PT12_llPT13_lli ; -- Begin function _ZN12_GLOBAL__N_127rocblas_gemm_batched_kernelIdLi16ELi16ELi64ELi64ELi4ELi64ELi4ELi4ELi64ELc67ELc84EKPKdS3_KPdEEvlllT_PT11_llS8_llS6_PT12_llPT13_lli
	.p2align	8
	.type	_ZN12_GLOBAL__N_127rocblas_gemm_batched_kernelIdLi16ELi16ELi64ELi64ELi4ELi64ELi4ELi4ELi64ELc67ELc84EKPKdS3_KPdEEvlllT_PT11_llS8_llS6_PT12_llPT13_lli,@function
_ZN12_GLOBAL__N_127rocblas_gemm_batched_kernelIdLi16ELi16ELi64ELi64ELi4ELi64ELi4ELi4ELi64ELc67ELc84EKPKdS3_KPdEEvlllT_PT11_llS8_llS6_PT12_llPT13_lli: ; @_ZN12_GLOBAL__N_127rocblas_gemm_batched_kernelIdLi16ELi16ELi64ELi64ELi4ELi64ELi4ELi4ELi64ELc67ELc84EKPKdS3_KPdEEvlllT_PT11_llS8_llS6_PT12_llPT13_lli
; %bb.0:
	s_load_dwordx16 s[8:23], s[0:1], 0x10
	s_load_dwordx8 s[36:43], s[0:1], 0x70
	s_load_dwordx8 s[24:31], s[0:1], 0x50
	s_mov_b32 s5, 0
	s_lshl_b64 s[34:35], s[4:5], 3
	s_mov_b32 s6, s3
	v_mov_b32_e32 v27, 0
	s_waitcnt lgkmcnt(0)
	s_add_u32 s0, s26, s34
	s_addc_u32 s1, s27, s35
	s_add_u32 s4, s36, s34
	s_addc_u32 s5, s37, s35
	s_load_dwordx2 s[0:1], s[0:1], 0x0
	s_ashr_i32 s3, s2, 31
	s_load_dwordx2 s[4:5], s[4:5], 0x0
	s_ashr_i32 s7, s6, 31
	v_cmp_lt_i64_e64 s[26:27], s[8:9], 1
	v_bfe_u32 v26, v0, 10, 10
	v_and_b32_e32 v28, 0x3ff, v0
	v_mov_b32_e32 v29, v27
	s_lshl_b64 s[2:3], s[2:3], 6
	s_lshl_b64 s[6:7], s[6:7], 6
	s_and_b64 vcc, exec, s[26:27]
	s_cbranch_vccnz .LBB211_3
; %bb.1:
	s_add_u32 s12, s12, s34
	s_addc_u32 s13, s13, s35
	v_lshl_add_u32 v4, v26, 4, v28
	s_load_dwordx2 s[26:27], s[12:13], 0x0
	s_add_u32 s12, s18, s34
	v_and_b32_e32 v2, 63, v4
	s_addc_u32 s13, s19, s35
	v_lshrrev_b32_e32 v0, 2, v4
	v_and_b32_e32 v5, 3, v28
	v_lshrrev_b32_e32 v6, 6, v4
	v_lshlrev_b32_e32 v4, 3, v2
	s_load_dwordx2 s[12:13], s[12:13], 0x0
	v_lshl_or_b32 v42, v6, 9, v4
	v_lshlrev_b32_e32 v4, 3, v5
	v_mov_b32_e32 v1, v27
	v_lshl_or_b32 v4, v0, 5, v4
	v_add_u32_e32 v43, 0x800, v4
	v_mov_b32_e32 v4, 0x800
	s_lshl_b64 s[18:19], s[22:23], 3
	v_mad_u64_u32 v[0:1], s[22:23], s20, v5, v[0:1]
	v_lshl_add_u32 v45, v26, 5, v4
	v_mov_b32_e32 v4, v1
	v_mad_u64_u32 v[4:5], s[22:23], s21, v5, v[4:5]
	v_mov_b32_e32 v1, v4
	s_waitcnt lgkmcnt(0)
	s_add_u32 s12, s12, s18
	v_mov_b32_e32 v3, v27
	v_lshl_add_u64 v[0:1], v[0:1], 0, s[6:7]
	s_addc_u32 s13, s13, s19
	v_lshl_add_u64 v[36:37], v[0:1], 3, s[12:13]
	v_lshl_add_u64 v[0:1], s[2:3], 0, v[2:3]
	v_mul_lo_u32 v2, s15, v0
	v_mul_lo_u32 v3, s14, v1
	v_mad_u64_u32 v[0:1], s[14:15], s14, v0, 0
	v_add3_u32 v1, v1, v3, v2
	s_lshl_b64 s[14:15], s[16:17], 3
	v_lshl_add_u64 v[0:1], v[0:1], 3, s[14:15]
	v_lshlrev_b32_e32 v2, 3, v6
	v_mov_b32_e32 v3, v27
	v_lshl_add_u64 v[0:1], v[0:1], 0, v[2:3]
	v_lshlrev_b32_e32 v44, 3, v28
	s_lshl_b64 s[12:13], s[20:21], 5
	v_lshl_add_u64 v[38:39], s[26:27], 0, v[0:1]
	s_mov_b64 s[14:15], 0
	v_mov_b64_e32 v[0:1], 0
	v_mov_b64_e32 v[40:41], s[8:9]
	;; [unrolled: 1-line block ×17, first 2 shown]
.LBB211_2:                              ; =>This Inner Loop Header: Depth=1
	flat_load_dwordx2 v[46:47], v[38:39]
	s_add_u32 s14, s14, 4
	s_addc_u32 s15, s15, 0
	v_cmp_lt_i64_e32 vcc, s[14:15], v[40:41]
	v_lshl_add_u64 v[38:39], v[38:39], 0, 32
	s_and_b64 vcc, exec, vcc
	s_waitcnt vmcnt(0) lgkmcnt(0)
	ds_write_b64 v42, v[46:47]
	flat_load_dwordx2 v[46:47], v[36:37]
	v_lshl_add_u64 v[36:37], v[36:37], 0, s[12:13]
	s_waitcnt vmcnt(0) lgkmcnt(0)
	ds_write_b64 v43, v[46:47]
	s_waitcnt lgkmcnt(0)
	s_barrier
	ds_read2_b64 v[46:49], v44 offset1:16
	ds_read_b128 v[50:53], v45 offset:1536
	ds_read_b128 v[54:57], v45
	ds_read_b128 v[58:61], v45 offset:16
	ds_read_b128 v[62:65], v45 offset:512
	;; [unrolled: 1-line block ×5, first 2 shown]
	s_waitcnt lgkmcnt(5)
	v_fmac_f64_e32 v[34:35], v[46:47], v[54:55]
	v_fmac_f64_e32 v[32:33], v[48:49], v[54:55]
	s_waitcnt lgkmcnt(3)
	v_fmac_f64_e32 v[22:23], v[46:47], v[62:63]
	v_fmac_f64_e32 v[20:21], v[48:49], v[62:63]
	;; [unrolled: 3-line block ×3, first 2 shown]
	v_fmac_f64_e32 v[6:7], v[46:47], v[50:51]
	v_fmac_f64_e32 v[4:5], v[48:49], v[50:51]
	ds_read2_b64 v[46:49], v44 offset0:32 offset1:48
	ds_read2_b64 v[82:85], v44 offset0:96 offset1:112
	ds_read_b128 v[78:81], v45 offset:1552
	s_waitcnt lgkmcnt(2)
	v_fmac_f64_e32 v[30:31], v[46:47], v[54:55]
	v_fmac_f64_e32 v[24:25], v[48:49], v[54:55]
	;; [unrolled: 1-line block ×8, first 2 shown]
	ds_read2_b64 v[46:49], v44 offset0:64 offset1:80
	s_waitcnt lgkmcnt(2)
	v_fmac_f64_e32 v[30:31], v[82:83], v[56:57]
	v_fmac_f64_e32 v[24:25], v[84:85], v[56:57]
	;; [unrolled: 1-line block ×4, first 2 shown]
	s_waitcnt lgkmcnt(0)
	v_fmac_f64_e32 v[34:35], v[46:47], v[56:57]
	v_fmac_f64_e32 v[32:33], v[48:49], v[56:57]
	;; [unrolled: 1-line block ×6, first 2 shown]
	ds_read2_b64 v[54:57], v44 offset0:128 offset1:144
	v_fmac_f64_e32 v[6:7], v[46:47], v[52:53]
	v_fmac_f64_e32 v[4:5], v[48:49], v[52:53]
	ds_read2_b64 v[46:49], v44 offset0:160 offset1:176
	v_fmac_f64_e32 v[2:3], v[82:83], v[52:53]
	v_fmac_f64_e32 v[0:1], v[84:85], v[52:53]
	ds_read2_b64 v[50:53], v44 offset0:192 offset1:208
	ds_read2_b64 v[62:65], v44 offset0:224 offset1:240
	v_fmac_f64_e32 v[10:11], v[82:83], v[72:73]
	v_fmac_f64_e32 v[8:9], v[84:85], v[72:73]
	s_waitcnt lgkmcnt(3)
	v_fmac_f64_e32 v[34:35], v[54:55], v[58:59]
	v_fmac_f64_e32 v[32:33], v[56:57], v[58:59]
	;; [unrolled: 1-line block ×8, first 2 shown]
	s_waitcnt lgkmcnt(2)
	v_fmac_f64_e32 v[30:31], v[46:47], v[58:59]
	v_fmac_f64_e32 v[24:25], v[48:49], v[58:59]
	;; [unrolled: 1-line block ×8, first 2 shown]
	s_waitcnt lgkmcnt(1)
	v_fmac_f64_e32 v[34:35], v[50:51], v[60:61]
	v_fmac_f64_e32 v[32:33], v[52:53], v[60:61]
	s_waitcnt lgkmcnt(0)
	v_fmac_f64_e32 v[30:31], v[62:63], v[60:61]
	v_fmac_f64_e32 v[24:25], v[64:65], v[60:61]
	;; [unrolled: 1-line block ×14, first 2 shown]
	s_barrier
	s_cbranch_vccnz .LBB211_2
	s_branch .LBB211_4
.LBB211_3:
	v_mov_b64_e32 v[34:35], 0
	v_mov_b64_e32 v[32:33], 0
	;; [unrolled: 1-line block ×16, first 2 shown]
.LBB211_4:
	s_lshl_b64 s[8:9], s[40:41], 3
	s_waitcnt lgkmcnt(0)
	s_add_u32 s4, s4, s8
	s_addc_u32 s5, s5, s9
	v_lshl_add_u64 v[36:37], s[6:7], 0, v[26:27]
	v_cmp_neq_f64_e64 s[8:9], s[24:25], 0
	v_lshl_add_u64 v[26:27], s[2:3], 0, v[28:29]
	s_mov_b64 s[6:7], 0
	s_and_b64 vcc, exec, s[8:9]
	v_mul_lo_u32 v28, v37, s38
	v_mul_lo_u32 v29, v36, s39
	v_lshlrev_b64 v[26:27], 3, v[26:27]
	s_cbranch_vccnz .LBB211_8
; %bb.5:
	v_mad_u64_u32 v[38:39], s[2:3], v36, s38, 0
	v_add3_u32 v39, v39, v29, v28
	v_lshl_add_u64 v[38:39], v[38:39], 3, s[4:5]
	v_mul_f64 v[40:41], s[10:11], v[34:35]
	v_lshl_add_u64 v[42:43], v[38:39], 0, v[26:27]
	flat_store_dwordx2 v[42:43], v[40:41]
	v_mul_f64 v[40:41], s[10:11], v[32:33]
	flat_store_dwordx2 v[42:43], v[40:41] offset:128
	v_mul_f64 v[40:41], s[10:11], v[30:31]
	s_lshl_b64 s[2:3], s[38:39], 7
	flat_store_dwordx2 v[42:43], v[40:41] offset:256
	v_mul_f64 v[40:41], s[10:11], v[24:25]
	v_lshl_add_u64 v[38:39], v[38:39], 0, s[2:3]
	flat_store_dwordx2 v[42:43], v[40:41] offset:384
	v_mul_f64 v[40:41], s[10:11], v[22:23]
	v_lshl_add_u64 v[42:43], v[38:39], 0, v[26:27]
	flat_store_dwordx2 v[42:43], v[40:41]
	v_mul_f64 v[40:41], s[10:11], v[20:21]
	flat_store_dwordx2 v[42:43], v[40:41] offset:128
	v_mul_f64 v[40:41], s[10:11], v[18:19]
	flat_store_dwordx2 v[42:43], v[40:41] offset:256
	v_mul_f64 v[40:41], s[10:11], v[16:17]
	v_lshl_add_u64 v[38:39], v[38:39], 0, s[2:3]
	flat_store_dwordx2 v[42:43], v[40:41] offset:384
	v_mul_f64 v[40:41], s[10:11], v[14:15]
	v_lshl_add_u64 v[42:43], v[38:39], 0, v[26:27]
	flat_store_dwordx2 v[42:43], v[40:41]
	v_mul_f64 v[40:41], s[10:11], v[12:13]
	flat_store_dwordx2 v[42:43], v[40:41] offset:128
	v_mul_f64 v[40:41], s[10:11], v[10:11]
	flat_store_dwordx2 v[42:43], v[40:41] offset:256
	v_mul_f64 v[40:41], s[10:11], v[8:9]
	v_lshl_add_u64 v[38:39], v[38:39], 0, s[2:3]
	flat_store_dwordx2 v[42:43], v[40:41] offset:384
	v_mul_f64 v[40:41], s[10:11], v[6:7]
	v_lshl_add_u64 v[38:39], v[38:39], 0, v[26:27]
	flat_store_dwordx2 v[38:39], v[40:41]
	v_mul_f64 v[40:41], s[10:11], v[4:5]
	flat_store_dwordx2 v[38:39], v[40:41] offset:128
	v_mul_f64 v[40:41], s[10:11], v[2:3]
	flat_store_dwordx2 v[38:39], v[40:41] offset:256
	v_mul_f64 v[40:41], s[10:11], v[0:1]
	flat_store_dwordx2 v[38:39], v[40:41] offset:384
	s_andn2_b64 vcc, exec, s[6:7]
	s_cbranch_vccnz .LBB211_7
.LBB211_6:
	s_lshl_b64 s[2:3], s[30:31], 3
	s_add_u32 s0, s0, s2
	s_addc_u32 s1, s1, s3
	v_mul_lo_u32 v37, v37, s28
	v_mul_lo_u32 v40, v36, s29
	v_mad_u64_u32 v[38:39], s[2:3], v36, s28, 0
	v_add3_u32 v39, v39, v40, v37
	v_lshl_add_u64 v[38:39], v[38:39], 3, s[0:1]
	v_lshl_add_u64 v[40:41], v[38:39], 0, v[26:27]
	flat_load_dwordx2 v[42:43], v[40:41]
	v_mad_u64_u32 v[36:37], s[0:1], v36, s38, 0
	v_add3_u32 v37, v37, v29, v28
	v_lshl_add_u64 v[28:29], v[36:37], 3, s[4:5]
	v_lshl_add_u64 v[36:37], v[28:29], 0, v[26:27]
	s_lshl_b64 s[0:1], s[28:29], 7
	s_lshl_b64 s[2:3], s[38:39], 7
	v_lshl_add_u64 v[28:29], v[28:29], 0, s[2:3]
	s_waitcnt vmcnt(0) lgkmcnt(0)
	v_mul_f64 v[42:43], s[24:25], v[42:43]
	v_fmac_f64_e32 v[42:43], s[10:11], v[34:35]
	flat_store_dwordx2 v[36:37], v[42:43]
	flat_load_dwordx2 v[34:35], v[40:41] offset:128
	s_waitcnt vmcnt(0) lgkmcnt(0)
	v_mul_f64 v[34:35], s[24:25], v[34:35]
	v_fmac_f64_e32 v[34:35], s[10:11], v[32:33]
	flat_store_dwordx2 v[36:37], v[34:35] offset:128
	flat_load_dwordx2 v[32:33], v[40:41] offset:256
	s_waitcnt vmcnt(0) lgkmcnt(0)
	v_mul_f64 v[32:33], s[24:25], v[32:33]
	v_fmac_f64_e32 v[32:33], s[10:11], v[30:31]
	flat_store_dwordx2 v[36:37], v[32:33] offset:256
	flat_load_dwordx2 v[30:31], v[40:41] offset:384
	v_lshl_add_u64 v[32:33], v[38:39], 0, s[0:1]
	v_lshl_add_u64 v[34:35], v[32:33], 0, v[26:27]
	s_waitcnt vmcnt(0) lgkmcnt(0)
	v_mul_f64 v[30:31], s[24:25], v[30:31]
	v_fmac_f64_e32 v[30:31], s[10:11], v[24:25]
	flat_store_dwordx2 v[36:37], v[30:31] offset:384
	flat_load_dwordx2 v[24:25], v[34:35]
	v_lshl_add_u64 v[30:31], v[28:29], 0, v[26:27]
	s_waitcnt vmcnt(0) lgkmcnt(0)
	v_mul_f64 v[24:25], s[24:25], v[24:25]
	v_fmac_f64_e32 v[24:25], s[10:11], v[22:23]
	flat_store_dwordx2 v[30:31], v[24:25]
	flat_load_dwordx2 v[22:23], v[34:35] offset:128
	s_waitcnt vmcnt(0) lgkmcnt(0)
	v_mul_f64 v[22:23], s[24:25], v[22:23]
	v_fmac_f64_e32 v[22:23], s[10:11], v[20:21]
	flat_store_dwordx2 v[30:31], v[22:23] offset:128
	flat_load_dwordx2 v[20:21], v[34:35] offset:256
	s_waitcnt vmcnt(0) lgkmcnt(0)
	v_mul_f64 v[20:21], s[24:25], v[20:21]
	v_fmac_f64_e32 v[20:21], s[10:11], v[18:19]
	flat_store_dwordx2 v[30:31], v[20:21] offset:256
	flat_load_dwordx2 v[18:19], v[34:35] offset:384
	v_lshl_add_u64 v[20:21], v[32:33], 0, s[0:1]
	v_lshl_add_u64 v[22:23], v[20:21], 0, v[26:27]
	s_waitcnt vmcnt(0) lgkmcnt(0)
	v_mul_f64 v[18:19], s[24:25], v[18:19]
	v_fmac_f64_e32 v[18:19], s[10:11], v[16:17]
	flat_store_dwordx2 v[30:31], v[18:19] offset:384
	flat_load_dwordx2 v[16:17], v[22:23]
	v_lshl_add_u64 v[18:19], v[28:29], 0, s[2:3]
	v_lshl_add_u64 v[24:25], v[18:19], 0, v[26:27]
	s_waitcnt vmcnt(0) lgkmcnt(0)
	v_mul_f64 v[16:17], s[24:25], v[16:17]
	v_fmac_f64_e32 v[16:17], s[10:11], v[14:15]
	flat_store_dwordx2 v[24:25], v[16:17]
	flat_load_dwordx2 v[14:15], v[22:23] offset:128
	s_waitcnt vmcnt(0) lgkmcnt(0)
	v_mul_f64 v[14:15], s[24:25], v[14:15]
	v_fmac_f64_e32 v[14:15], s[10:11], v[12:13]
	flat_store_dwordx2 v[24:25], v[14:15] offset:128
	flat_load_dwordx2 v[12:13], v[22:23] offset:256
	s_waitcnt vmcnt(0) lgkmcnt(0)
	v_mul_f64 v[12:13], s[24:25], v[12:13]
	v_fmac_f64_e32 v[12:13], s[10:11], v[10:11]
	flat_store_dwordx2 v[24:25], v[12:13] offset:256
	flat_load_dwordx2 v[10:11], v[22:23] offset:384
	v_lshl_add_u64 v[12:13], v[20:21], 0, s[0:1]
	v_lshl_add_u64 v[12:13], v[12:13], 0, v[26:27]
	s_waitcnt vmcnt(0) lgkmcnt(0)
	v_mul_f64 v[10:11], s[24:25], v[10:11]
	v_fmac_f64_e32 v[10:11], s[10:11], v[8:9]
	flat_store_dwordx2 v[24:25], v[10:11] offset:384
	flat_load_dwordx2 v[8:9], v[12:13]
	v_lshl_add_u64 v[10:11], v[18:19], 0, s[2:3]
	s_waitcnt vmcnt(0) lgkmcnt(0)
	v_mul_f64 v[8:9], s[24:25], v[8:9]
	v_fmac_f64_e32 v[8:9], s[10:11], v[6:7]
	v_lshl_add_u64 v[6:7], v[10:11], 0, v[26:27]
	flat_store_dwordx2 v[6:7], v[8:9]
	flat_load_dwordx2 v[8:9], v[12:13] offset:128
	s_waitcnt vmcnt(0) lgkmcnt(0)
	v_mul_f64 v[8:9], s[24:25], v[8:9]
	v_fmac_f64_e32 v[8:9], s[10:11], v[4:5]
	flat_store_dwordx2 v[6:7], v[8:9] offset:128
	flat_load_dwordx2 v[4:5], v[12:13] offset:256
	s_waitcnt vmcnt(0) lgkmcnt(0)
	v_mul_f64 v[4:5], s[24:25], v[4:5]
	v_fmac_f64_e32 v[4:5], s[10:11], v[2:3]
	flat_store_dwordx2 v[6:7], v[4:5] offset:256
	;; [unrolled: 5-line block ×3, first 2 shown]
.LBB211_7:
	s_endpgm
.LBB211_8:
	s_branch .LBB211_6
	.section	.rodata,"a",@progbits
	.p2align	6, 0x0
	.amdhsa_kernel _ZN12_GLOBAL__N_127rocblas_gemm_batched_kernelIdLi16ELi16ELi64ELi64ELi4ELi64ELi4ELi4ELi64ELc67ELc84EKPKdS3_KPdEEvlllT_PT11_llS8_llS6_PT12_llPT13_lli
		.amdhsa_group_segment_fixed_size 4096
		.amdhsa_private_segment_fixed_size 0
		.amdhsa_kernarg_size 140
		.amdhsa_user_sgpr_count 2
		.amdhsa_user_sgpr_dispatch_ptr 0
		.amdhsa_user_sgpr_queue_ptr 0
		.amdhsa_user_sgpr_kernarg_segment_ptr 1
		.amdhsa_user_sgpr_dispatch_id 0
		.amdhsa_user_sgpr_kernarg_preload_length 0
		.amdhsa_user_sgpr_kernarg_preload_offset 0
		.amdhsa_user_sgpr_private_segment_size 0
		.amdhsa_uses_dynamic_stack 0
		.amdhsa_enable_private_segment 0
		.amdhsa_system_sgpr_workgroup_id_x 1
		.amdhsa_system_sgpr_workgroup_id_y 1
		.amdhsa_system_sgpr_workgroup_id_z 1
		.amdhsa_system_sgpr_workgroup_info 0
		.amdhsa_system_vgpr_workitem_id 1
		.amdhsa_next_free_vgpr 86
		.amdhsa_next_free_sgpr 44
		.amdhsa_accum_offset 88
		.amdhsa_reserve_vcc 1
		.amdhsa_float_round_mode_32 0
		.amdhsa_float_round_mode_16_64 0
		.amdhsa_float_denorm_mode_32 3
		.amdhsa_float_denorm_mode_16_64 3
		.amdhsa_dx10_clamp 1
		.amdhsa_ieee_mode 1
		.amdhsa_fp16_overflow 0
		.amdhsa_tg_split 0
		.amdhsa_exception_fp_ieee_invalid_op 0
		.amdhsa_exception_fp_denorm_src 0
		.amdhsa_exception_fp_ieee_div_zero 0
		.amdhsa_exception_fp_ieee_overflow 0
		.amdhsa_exception_fp_ieee_underflow 0
		.amdhsa_exception_fp_ieee_inexact 0
		.amdhsa_exception_int_div_zero 0
	.end_amdhsa_kernel
	.section	.text._ZN12_GLOBAL__N_127rocblas_gemm_batched_kernelIdLi16ELi16ELi64ELi64ELi4ELi64ELi4ELi4ELi64ELc67ELc84EKPKdS3_KPdEEvlllT_PT11_llS8_llS6_PT12_llPT13_lli,"axG",@progbits,_ZN12_GLOBAL__N_127rocblas_gemm_batched_kernelIdLi16ELi16ELi64ELi64ELi4ELi64ELi4ELi4ELi64ELc67ELc84EKPKdS3_KPdEEvlllT_PT11_llS8_llS6_PT12_llPT13_lli,comdat
.Lfunc_end211:
	.size	_ZN12_GLOBAL__N_127rocblas_gemm_batched_kernelIdLi16ELi16ELi64ELi64ELi4ELi64ELi4ELi4ELi64ELc67ELc84EKPKdS3_KPdEEvlllT_PT11_llS8_llS6_PT12_llPT13_lli, .Lfunc_end211-_ZN12_GLOBAL__N_127rocblas_gemm_batched_kernelIdLi16ELi16ELi64ELi64ELi4ELi64ELi4ELi4ELi64ELc67ELc84EKPKdS3_KPdEEvlllT_PT11_llS8_llS6_PT12_llPT13_lli
                                        ; -- End function
	.set _ZN12_GLOBAL__N_127rocblas_gemm_batched_kernelIdLi16ELi16ELi64ELi64ELi4ELi64ELi4ELi4ELi64ELc67ELc84EKPKdS3_KPdEEvlllT_PT11_llS8_llS6_PT12_llPT13_lli.num_vgpr, 86
	.set _ZN12_GLOBAL__N_127rocblas_gemm_batched_kernelIdLi16ELi16ELi64ELi64ELi4ELi64ELi4ELi4ELi64ELc67ELc84EKPKdS3_KPdEEvlllT_PT11_llS8_llS6_PT12_llPT13_lli.num_agpr, 0
	.set _ZN12_GLOBAL__N_127rocblas_gemm_batched_kernelIdLi16ELi16ELi64ELi64ELi4ELi64ELi4ELi4ELi64ELc67ELc84EKPKdS3_KPdEEvlllT_PT11_llS8_llS6_PT12_llPT13_lli.numbered_sgpr, 44
	.set _ZN12_GLOBAL__N_127rocblas_gemm_batched_kernelIdLi16ELi16ELi64ELi64ELi4ELi64ELi4ELi4ELi64ELc67ELc84EKPKdS3_KPdEEvlllT_PT11_llS8_llS6_PT12_llPT13_lli.num_named_barrier, 0
	.set _ZN12_GLOBAL__N_127rocblas_gemm_batched_kernelIdLi16ELi16ELi64ELi64ELi4ELi64ELi4ELi4ELi64ELc67ELc84EKPKdS3_KPdEEvlllT_PT11_llS8_llS6_PT12_llPT13_lli.private_seg_size, 0
	.set _ZN12_GLOBAL__N_127rocblas_gemm_batched_kernelIdLi16ELi16ELi64ELi64ELi4ELi64ELi4ELi4ELi64ELc67ELc84EKPKdS3_KPdEEvlllT_PT11_llS8_llS6_PT12_llPT13_lli.uses_vcc, 1
	.set _ZN12_GLOBAL__N_127rocblas_gemm_batched_kernelIdLi16ELi16ELi64ELi64ELi4ELi64ELi4ELi4ELi64ELc67ELc84EKPKdS3_KPdEEvlllT_PT11_llS8_llS6_PT12_llPT13_lli.uses_flat_scratch, 0
	.set _ZN12_GLOBAL__N_127rocblas_gemm_batched_kernelIdLi16ELi16ELi64ELi64ELi4ELi64ELi4ELi4ELi64ELc67ELc84EKPKdS3_KPdEEvlllT_PT11_llS8_llS6_PT12_llPT13_lli.has_dyn_sized_stack, 0
	.set _ZN12_GLOBAL__N_127rocblas_gemm_batched_kernelIdLi16ELi16ELi64ELi64ELi4ELi64ELi4ELi4ELi64ELc67ELc84EKPKdS3_KPdEEvlllT_PT11_llS8_llS6_PT12_llPT13_lli.has_recursion, 0
	.set _ZN12_GLOBAL__N_127rocblas_gemm_batched_kernelIdLi16ELi16ELi64ELi64ELi4ELi64ELi4ELi4ELi64ELc67ELc84EKPKdS3_KPdEEvlllT_PT11_llS8_llS6_PT12_llPT13_lli.has_indirect_call, 0
	.section	.AMDGPU.csdata,"",@progbits
; Kernel info:
; codeLenInByte = 2172
; TotalNumSgprs: 50
; NumVgprs: 86
; NumAgprs: 0
; TotalNumVgprs: 86
; ScratchSize: 0
; MemoryBound: 0
; FloatMode: 240
; IeeeMode: 1
; LDSByteSize: 4096 bytes/workgroup (compile time only)
; SGPRBlocks: 6
; VGPRBlocks: 10
; NumSGPRsForWavesPerEU: 50
; NumVGPRsForWavesPerEU: 86
; AccumOffset: 88
; Occupancy: 5
; WaveLimiterHint : 1
; COMPUTE_PGM_RSRC2:SCRATCH_EN: 0
; COMPUTE_PGM_RSRC2:USER_SGPR: 2
; COMPUTE_PGM_RSRC2:TRAP_HANDLER: 0
; COMPUTE_PGM_RSRC2:TGID_X_EN: 1
; COMPUTE_PGM_RSRC2:TGID_Y_EN: 1
; COMPUTE_PGM_RSRC2:TGID_Z_EN: 1
; COMPUTE_PGM_RSRC2:TIDIG_COMP_CNT: 1
; COMPUTE_PGM_RSRC3_GFX90A:ACCUM_OFFSET: 21
; COMPUTE_PGM_RSRC3_GFX90A:TG_SPLIT: 0
	.section	.text._ZN12_GLOBAL__N_127rocblas_gemm_batched_kernelIdLi16ELi16ELi64ELi64ELi4ELi64ELi4ELi4ELi64ELc78ELc67EKPKdS3_KPdEEvlllT_PT11_llS8_llS6_PT12_llPT13_lli,"axG",@progbits,_ZN12_GLOBAL__N_127rocblas_gemm_batched_kernelIdLi16ELi16ELi64ELi64ELi4ELi64ELi4ELi4ELi64ELc78ELc67EKPKdS3_KPdEEvlllT_PT11_llS8_llS6_PT12_llPT13_lli,comdat
	.globl	_ZN12_GLOBAL__N_127rocblas_gemm_batched_kernelIdLi16ELi16ELi64ELi64ELi4ELi64ELi4ELi4ELi64ELc78ELc67EKPKdS3_KPdEEvlllT_PT11_llS8_llS6_PT12_llPT13_lli ; -- Begin function _ZN12_GLOBAL__N_127rocblas_gemm_batched_kernelIdLi16ELi16ELi64ELi64ELi4ELi64ELi4ELi4ELi64ELc78ELc67EKPKdS3_KPdEEvlllT_PT11_llS8_llS6_PT12_llPT13_lli
	.p2align	8
	.type	_ZN12_GLOBAL__N_127rocblas_gemm_batched_kernelIdLi16ELi16ELi64ELi64ELi4ELi64ELi4ELi4ELi64ELc78ELc67EKPKdS3_KPdEEvlllT_PT11_llS8_llS6_PT12_llPT13_lli,@function
_ZN12_GLOBAL__N_127rocblas_gemm_batched_kernelIdLi16ELi16ELi64ELi64ELi4ELi64ELi4ELi4ELi64ELc78ELc67EKPKdS3_KPdEEvlllT_PT11_llS8_llS6_PT12_llPT13_lli: ; @_ZN12_GLOBAL__N_127rocblas_gemm_batched_kernelIdLi16ELi16ELi64ELi64ELi4ELi64ELi4ELi4ELi64ELc78ELc67EKPKdS3_KPdEEvlllT_PT11_llS8_llS6_PT12_llPT13_lli
; %bb.0:
	s_load_dwordx16 s[8:23], s[0:1], 0x10
	s_load_dwordx8 s[36:43], s[0:1], 0x70
	s_load_dwordx8 s[24:31], s[0:1], 0x50
	s_mov_b32 s5, 0
	s_lshl_b64 s[34:35], s[4:5], 3
	s_mov_b32 s6, s3
	v_mov_b32_e32 v27, 0
	s_waitcnt lgkmcnt(0)
	s_add_u32 s0, s26, s34
	s_addc_u32 s1, s27, s35
	s_add_u32 s4, s36, s34
	s_addc_u32 s5, s37, s35
	s_load_dwordx2 s[0:1], s[0:1], 0x0
	s_ashr_i32 s3, s2, 31
	s_load_dwordx2 s[4:5], s[4:5], 0x0
	s_ashr_i32 s7, s6, 31
	v_cmp_lt_i64_e64 s[26:27], s[8:9], 1
	v_bfe_u32 v26, v0, 10, 10
	v_and_b32_e32 v28, 0x3ff, v0
	v_mov_b32_e32 v29, v27
	s_lshl_b64 s[2:3], s[2:3], 6
	s_lshl_b64 s[6:7], s[6:7], 6
	s_and_b64 vcc, exec, s[26:27]
	s_cbranch_vccnz .LBB212_3
; %bb.1:
	s_add_u32 s12, s12, s34
	s_addc_u32 s13, s13, s35
	v_lshl_add_u32 v4, v26, 4, v28
	s_load_dwordx2 s[26:27], s[12:13], 0x0
	s_add_u32 s12, s18, s34
	v_and_b32_e32 v2, 63, v4
	s_addc_u32 s13, s19, s35
	v_lshrrev_b32_e32 v0, 2, v4
	v_and_b32_e32 v5, 3, v28
	v_lshrrev_b32_e32 v6, 6, v4
	v_lshlrev_b32_e32 v4, 3, v2
	s_load_dwordx2 s[12:13], s[12:13], 0x0
	v_lshl_or_b32 v42, v6, 9, v4
	v_lshlrev_b32_e32 v4, 3, v5
	v_mov_b32_e32 v1, v27
	v_lshl_or_b32 v4, v0, 5, v4
	v_add_u32_e32 v43, 0x800, v4
	v_mov_b32_e32 v4, 0x800
	s_lshl_b64 s[18:19], s[22:23], 3
	v_mad_u64_u32 v[0:1], s[22:23], s20, v5, v[0:1]
	v_lshl_add_u32 v45, v26, 5, v4
	v_mov_b32_e32 v4, v1
	v_mad_u64_u32 v[4:5], s[22:23], s21, v5, v[4:5]
	v_mov_b32_e32 v1, v4
	s_waitcnt lgkmcnt(0)
	s_add_u32 s12, s12, s18
	v_lshl_add_u64 v[0:1], v[0:1], 0, s[6:7]
	s_addc_u32 s13, s13, s19
	v_lshl_add_u64 v[36:37], v[0:1], 3, s[12:13]
	v_mov_b64_e32 v[0:1], s[2:3]
	v_mad_u64_u32 v[0:1], s[18:19], s14, v6, v[0:1]
	v_mov_b32_e32 v4, v1
	s_lshl_b64 s[12:13], s[20:21], 5
	s_lshl_b64 s[16:17], s[16:17], 3
	v_mad_u64_u32 v[4:5], s[18:19], s15, v6, v[4:5]
	v_mov_b32_e32 v3, v27
	v_mov_b32_e32 v1, v4
	s_add_u32 s16, s26, s16
	v_lshl_add_u64 v[0:1], v[0:1], 0, v[2:3]
	s_addc_u32 s17, s27, s17
	v_lshlrev_b32_e32 v44, 3, v28
	v_lshl_add_u64 v[38:39], v[0:1], 3, s[16:17]
	s_lshl_b64 s[14:15], s[14:15], 5
	s_mov_b64 s[16:17], 0
	v_mov_b64_e32 v[0:1], 0
	v_mov_b64_e32 v[40:41], s[8:9]
	;; [unrolled: 1-line block ×17, first 2 shown]
.LBB212_2:                              ; =>This Inner Loop Header: Depth=1
	flat_load_dwordx2 v[46:47], v[38:39]
	s_add_u32 s16, s16, 4
	s_addc_u32 s17, s17, 0
	v_cmp_lt_i64_e32 vcc, s[16:17], v[40:41]
	v_lshl_add_u64 v[38:39], v[38:39], 0, s[14:15]
	s_and_b64 vcc, exec, vcc
	s_waitcnt vmcnt(0) lgkmcnt(0)
	ds_write_b64 v42, v[46:47]
	flat_load_dwordx2 v[46:47], v[36:37]
	v_lshl_add_u64 v[36:37], v[36:37], 0, s[12:13]
	s_waitcnt vmcnt(0) lgkmcnt(0)
	ds_write_b64 v43, v[46:47]
	s_waitcnt lgkmcnt(0)
	s_barrier
	ds_read2_b64 v[46:49], v44 offset1:16
	ds_read_b128 v[50:53], v45 offset:1536
	ds_read_b128 v[54:57], v45
	ds_read_b128 v[58:61], v45 offset:16
	ds_read_b128 v[62:65], v45 offset:512
	;; [unrolled: 1-line block ×5, first 2 shown]
	s_waitcnt lgkmcnt(5)
	v_fmac_f64_e32 v[34:35], v[46:47], v[54:55]
	v_fmac_f64_e32 v[32:33], v[48:49], v[54:55]
	s_waitcnt lgkmcnt(3)
	v_fmac_f64_e32 v[22:23], v[46:47], v[62:63]
	v_fmac_f64_e32 v[20:21], v[48:49], v[62:63]
	;; [unrolled: 3-line block ×3, first 2 shown]
	v_fmac_f64_e32 v[6:7], v[46:47], v[50:51]
	v_fmac_f64_e32 v[4:5], v[48:49], v[50:51]
	ds_read2_b64 v[46:49], v44 offset0:32 offset1:48
	ds_read2_b64 v[82:85], v44 offset0:96 offset1:112
	ds_read_b128 v[78:81], v45 offset:1552
	s_waitcnt lgkmcnt(2)
	v_fmac_f64_e32 v[30:31], v[46:47], v[54:55]
	v_fmac_f64_e32 v[24:25], v[48:49], v[54:55]
	;; [unrolled: 1-line block ×8, first 2 shown]
	ds_read2_b64 v[46:49], v44 offset0:64 offset1:80
	s_waitcnt lgkmcnt(2)
	v_fmac_f64_e32 v[30:31], v[82:83], v[56:57]
	v_fmac_f64_e32 v[24:25], v[84:85], v[56:57]
	v_fmac_f64_e32 v[18:19], v[82:83], v[64:65]
	v_fmac_f64_e32 v[16:17], v[84:85], v[64:65]
	s_waitcnt lgkmcnt(0)
	v_fmac_f64_e32 v[34:35], v[46:47], v[56:57]
	v_fmac_f64_e32 v[32:33], v[48:49], v[56:57]
	;; [unrolled: 1-line block ×6, first 2 shown]
	ds_read2_b64 v[54:57], v44 offset0:128 offset1:144
	v_fmac_f64_e32 v[6:7], v[46:47], v[52:53]
	v_fmac_f64_e32 v[4:5], v[48:49], v[52:53]
	ds_read2_b64 v[46:49], v44 offset0:160 offset1:176
	v_fmac_f64_e32 v[2:3], v[82:83], v[52:53]
	v_fmac_f64_e32 v[0:1], v[84:85], v[52:53]
	ds_read2_b64 v[50:53], v44 offset0:192 offset1:208
	ds_read2_b64 v[62:65], v44 offset0:224 offset1:240
	v_fmac_f64_e32 v[10:11], v[82:83], v[72:73]
	v_fmac_f64_e32 v[8:9], v[84:85], v[72:73]
	s_waitcnt lgkmcnt(3)
	v_fmac_f64_e32 v[34:35], v[54:55], v[58:59]
	v_fmac_f64_e32 v[32:33], v[56:57], v[58:59]
	;; [unrolled: 1-line block ×8, first 2 shown]
	s_waitcnt lgkmcnt(2)
	v_fmac_f64_e32 v[30:31], v[46:47], v[58:59]
	v_fmac_f64_e32 v[24:25], v[48:49], v[58:59]
	;; [unrolled: 1-line block ×8, first 2 shown]
	s_waitcnt lgkmcnt(1)
	v_fmac_f64_e32 v[34:35], v[50:51], v[60:61]
	v_fmac_f64_e32 v[32:33], v[52:53], v[60:61]
	s_waitcnt lgkmcnt(0)
	v_fmac_f64_e32 v[30:31], v[62:63], v[60:61]
	v_fmac_f64_e32 v[24:25], v[64:65], v[60:61]
	v_fmac_f64_e32 v[22:23], v[50:51], v[68:69]
	v_fmac_f64_e32 v[20:21], v[52:53], v[68:69]
	v_fmac_f64_e32 v[18:19], v[62:63], v[68:69]
	v_fmac_f64_e32 v[16:17], v[64:65], v[68:69]
	v_fmac_f64_e32 v[14:15], v[50:51], v[76:77]
	v_fmac_f64_e32 v[12:13], v[52:53], v[76:77]
	v_fmac_f64_e32 v[10:11], v[62:63], v[76:77]
	v_fmac_f64_e32 v[8:9], v[64:65], v[76:77]
	v_fmac_f64_e32 v[6:7], v[50:51], v[80:81]
	v_fmac_f64_e32 v[4:5], v[52:53], v[80:81]
	v_fmac_f64_e32 v[2:3], v[62:63], v[80:81]
	v_fmac_f64_e32 v[0:1], v[64:65], v[80:81]
	s_barrier
	s_cbranch_vccnz .LBB212_2
	s_branch .LBB212_4
.LBB212_3:
	v_mov_b64_e32 v[34:35], 0
	v_mov_b64_e32 v[32:33], 0
	;; [unrolled: 1-line block ×16, first 2 shown]
.LBB212_4:
	s_lshl_b64 s[8:9], s[40:41], 3
	s_waitcnt lgkmcnt(0)
	s_add_u32 s4, s4, s8
	s_addc_u32 s5, s5, s9
	v_lshl_add_u64 v[36:37], s[6:7], 0, v[26:27]
	v_cmp_neq_f64_e64 s[8:9], s[24:25], 0
	v_lshl_add_u64 v[26:27], s[2:3], 0, v[28:29]
	s_mov_b64 s[6:7], 0
	s_and_b64 vcc, exec, s[8:9]
	v_mul_lo_u32 v28, v37, s38
	v_mul_lo_u32 v29, v36, s39
	v_lshlrev_b64 v[26:27], 3, v[26:27]
	s_cbranch_vccnz .LBB212_8
; %bb.5:
	v_mad_u64_u32 v[38:39], s[2:3], v36, s38, 0
	v_add3_u32 v39, v39, v29, v28
	v_lshl_add_u64 v[38:39], v[38:39], 3, s[4:5]
	v_mul_f64 v[40:41], s[10:11], v[34:35]
	v_lshl_add_u64 v[42:43], v[38:39], 0, v[26:27]
	flat_store_dwordx2 v[42:43], v[40:41]
	v_mul_f64 v[40:41], s[10:11], v[32:33]
	flat_store_dwordx2 v[42:43], v[40:41] offset:128
	v_mul_f64 v[40:41], s[10:11], v[30:31]
	s_lshl_b64 s[2:3], s[38:39], 7
	flat_store_dwordx2 v[42:43], v[40:41] offset:256
	v_mul_f64 v[40:41], s[10:11], v[24:25]
	v_lshl_add_u64 v[38:39], v[38:39], 0, s[2:3]
	flat_store_dwordx2 v[42:43], v[40:41] offset:384
	v_mul_f64 v[40:41], s[10:11], v[22:23]
	v_lshl_add_u64 v[42:43], v[38:39], 0, v[26:27]
	flat_store_dwordx2 v[42:43], v[40:41]
	v_mul_f64 v[40:41], s[10:11], v[20:21]
	flat_store_dwordx2 v[42:43], v[40:41] offset:128
	v_mul_f64 v[40:41], s[10:11], v[18:19]
	flat_store_dwordx2 v[42:43], v[40:41] offset:256
	v_mul_f64 v[40:41], s[10:11], v[16:17]
	v_lshl_add_u64 v[38:39], v[38:39], 0, s[2:3]
	flat_store_dwordx2 v[42:43], v[40:41] offset:384
	v_mul_f64 v[40:41], s[10:11], v[14:15]
	v_lshl_add_u64 v[42:43], v[38:39], 0, v[26:27]
	flat_store_dwordx2 v[42:43], v[40:41]
	v_mul_f64 v[40:41], s[10:11], v[12:13]
	flat_store_dwordx2 v[42:43], v[40:41] offset:128
	v_mul_f64 v[40:41], s[10:11], v[10:11]
	;; [unrolled: 10-line block ×3, first 2 shown]
	flat_store_dwordx2 v[38:39], v[40:41] offset:256
	v_mul_f64 v[40:41], s[10:11], v[0:1]
	flat_store_dwordx2 v[38:39], v[40:41] offset:384
	s_andn2_b64 vcc, exec, s[6:7]
	s_cbranch_vccnz .LBB212_7
.LBB212_6:
	s_lshl_b64 s[2:3], s[30:31], 3
	s_add_u32 s0, s0, s2
	s_addc_u32 s1, s1, s3
	v_mul_lo_u32 v37, v37, s28
	v_mul_lo_u32 v40, v36, s29
	v_mad_u64_u32 v[38:39], s[2:3], v36, s28, 0
	v_add3_u32 v39, v39, v40, v37
	v_lshl_add_u64 v[38:39], v[38:39], 3, s[0:1]
	v_lshl_add_u64 v[40:41], v[38:39], 0, v[26:27]
	flat_load_dwordx2 v[42:43], v[40:41]
	v_mad_u64_u32 v[36:37], s[0:1], v36, s38, 0
	v_add3_u32 v37, v37, v29, v28
	v_lshl_add_u64 v[28:29], v[36:37], 3, s[4:5]
	v_lshl_add_u64 v[36:37], v[28:29], 0, v[26:27]
	s_lshl_b64 s[0:1], s[28:29], 7
	s_lshl_b64 s[2:3], s[38:39], 7
	v_lshl_add_u64 v[28:29], v[28:29], 0, s[2:3]
	s_waitcnt vmcnt(0) lgkmcnt(0)
	v_mul_f64 v[42:43], s[24:25], v[42:43]
	v_fmac_f64_e32 v[42:43], s[10:11], v[34:35]
	flat_store_dwordx2 v[36:37], v[42:43]
	flat_load_dwordx2 v[34:35], v[40:41] offset:128
	s_waitcnt vmcnt(0) lgkmcnt(0)
	v_mul_f64 v[34:35], s[24:25], v[34:35]
	v_fmac_f64_e32 v[34:35], s[10:11], v[32:33]
	flat_store_dwordx2 v[36:37], v[34:35] offset:128
	flat_load_dwordx2 v[32:33], v[40:41] offset:256
	s_waitcnt vmcnt(0) lgkmcnt(0)
	v_mul_f64 v[32:33], s[24:25], v[32:33]
	v_fmac_f64_e32 v[32:33], s[10:11], v[30:31]
	flat_store_dwordx2 v[36:37], v[32:33] offset:256
	flat_load_dwordx2 v[30:31], v[40:41] offset:384
	v_lshl_add_u64 v[32:33], v[38:39], 0, s[0:1]
	v_lshl_add_u64 v[34:35], v[32:33], 0, v[26:27]
	s_waitcnt vmcnt(0) lgkmcnt(0)
	v_mul_f64 v[30:31], s[24:25], v[30:31]
	v_fmac_f64_e32 v[30:31], s[10:11], v[24:25]
	flat_store_dwordx2 v[36:37], v[30:31] offset:384
	flat_load_dwordx2 v[24:25], v[34:35]
	v_lshl_add_u64 v[30:31], v[28:29], 0, v[26:27]
	s_waitcnt vmcnt(0) lgkmcnt(0)
	v_mul_f64 v[24:25], s[24:25], v[24:25]
	v_fmac_f64_e32 v[24:25], s[10:11], v[22:23]
	flat_store_dwordx2 v[30:31], v[24:25]
	flat_load_dwordx2 v[22:23], v[34:35] offset:128
	s_waitcnt vmcnt(0) lgkmcnt(0)
	v_mul_f64 v[22:23], s[24:25], v[22:23]
	v_fmac_f64_e32 v[22:23], s[10:11], v[20:21]
	flat_store_dwordx2 v[30:31], v[22:23] offset:128
	flat_load_dwordx2 v[20:21], v[34:35] offset:256
	s_waitcnt vmcnt(0) lgkmcnt(0)
	v_mul_f64 v[20:21], s[24:25], v[20:21]
	v_fmac_f64_e32 v[20:21], s[10:11], v[18:19]
	flat_store_dwordx2 v[30:31], v[20:21] offset:256
	flat_load_dwordx2 v[18:19], v[34:35] offset:384
	v_lshl_add_u64 v[20:21], v[32:33], 0, s[0:1]
	v_lshl_add_u64 v[22:23], v[20:21], 0, v[26:27]
	s_waitcnt vmcnt(0) lgkmcnt(0)
	v_mul_f64 v[18:19], s[24:25], v[18:19]
	v_fmac_f64_e32 v[18:19], s[10:11], v[16:17]
	flat_store_dwordx2 v[30:31], v[18:19] offset:384
	flat_load_dwordx2 v[16:17], v[22:23]
	v_lshl_add_u64 v[18:19], v[28:29], 0, s[2:3]
	v_lshl_add_u64 v[24:25], v[18:19], 0, v[26:27]
	s_waitcnt vmcnt(0) lgkmcnt(0)
	v_mul_f64 v[16:17], s[24:25], v[16:17]
	v_fmac_f64_e32 v[16:17], s[10:11], v[14:15]
	flat_store_dwordx2 v[24:25], v[16:17]
	flat_load_dwordx2 v[14:15], v[22:23] offset:128
	s_waitcnt vmcnt(0) lgkmcnt(0)
	v_mul_f64 v[14:15], s[24:25], v[14:15]
	v_fmac_f64_e32 v[14:15], s[10:11], v[12:13]
	flat_store_dwordx2 v[24:25], v[14:15] offset:128
	flat_load_dwordx2 v[12:13], v[22:23] offset:256
	s_waitcnt vmcnt(0) lgkmcnt(0)
	v_mul_f64 v[12:13], s[24:25], v[12:13]
	v_fmac_f64_e32 v[12:13], s[10:11], v[10:11]
	flat_store_dwordx2 v[24:25], v[12:13] offset:256
	flat_load_dwordx2 v[10:11], v[22:23] offset:384
	v_lshl_add_u64 v[12:13], v[20:21], 0, s[0:1]
	v_lshl_add_u64 v[12:13], v[12:13], 0, v[26:27]
	s_waitcnt vmcnt(0) lgkmcnt(0)
	v_mul_f64 v[10:11], s[24:25], v[10:11]
	v_fmac_f64_e32 v[10:11], s[10:11], v[8:9]
	flat_store_dwordx2 v[24:25], v[10:11] offset:384
	flat_load_dwordx2 v[8:9], v[12:13]
	v_lshl_add_u64 v[10:11], v[18:19], 0, s[2:3]
	s_waitcnt vmcnt(0) lgkmcnt(0)
	v_mul_f64 v[8:9], s[24:25], v[8:9]
	v_fmac_f64_e32 v[8:9], s[10:11], v[6:7]
	v_lshl_add_u64 v[6:7], v[10:11], 0, v[26:27]
	flat_store_dwordx2 v[6:7], v[8:9]
	flat_load_dwordx2 v[8:9], v[12:13] offset:128
	s_waitcnt vmcnt(0) lgkmcnt(0)
	v_mul_f64 v[8:9], s[24:25], v[8:9]
	v_fmac_f64_e32 v[8:9], s[10:11], v[4:5]
	flat_store_dwordx2 v[6:7], v[8:9] offset:128
	flat_load_dwordx2 v[4:5], v[12:13] offset:256
	s_waitcnt vmcnt(0) lgkmcnt(0)
	v_mul_f64 v[4:5], s[24:25], v[4:5]
	v_fmac_f64_e32 v[4:5], s[10:11], v[2:3]
	flat_store_dwordx2 v[6:7], v[4:5] offset:256
	;; [unrolled: 5-line block ×3, first 2 shown]
.LBB212_7:
	s_endpgm
.LBB212_8:
	s_branch .LBB212_6
	.section	.rodata,"a",@progbits
	.p2align	6, 0x0
	.amdhsa_kernel _ZN12_GLOBAL__N_127rocblas_gemm_batched_kernelIdLi16ELi16ELi64ELi64ELi4ELi64ELi4ELi4ELi64ELc78ELc67EKPKdS3_KPdEEvlllT_PT11_llS8_llS6_PT12_llPT13_lli
		.amdhsa_group_segment_fixed_size 4096
		.amdhsa_private_segment_fixed_size 0
		.amdhsa_kernarg_size 140
		.amdhsa_user_sgpr_count 2
		.amdhsa_user_sgpr_dispatch_ptr 0
		.amdhsa_user_sgpr_queue_ptr 0
		.amdhsa_user_sgpr_kernarg_segment_ptr 1
		.amdhsa_user_sgpr_dispatch_id 0
		.amdhsa_user_sgpr_kernarg_preload_length 0
		.amdhsa_user_sgpr_kernarg_preload_offset 0
		.amdhsa_user_sgpr_private_segment_size 0
		.amdhsa_uses_dynamic_stack 0
		.amdhsa_enable_private_segment 0
		.amdhsa_system_sgpr_workgroup_id_x 1
		.amdhsa_system_sgpr_workgroup_id_y 1
		.amdhsa_system_sgpr_workgroup_id_z 1
		.amdhsa_system_sgpr_workgroup_info 0
		.amdhsa_system_vgpr_workitem_id 1
		.amdhsa_next_free_vgpr 86
		.amdhsa_next_free_sgpr 44
		.amdhsa_accum_offset 88
		.amdhsa_reserve_vcc 1
		.amdhsa_float_round_mode_32 0
		.amdhsa_float_round_mode_16_64 0
		.amdhsa_float_denorm_mode_32 3
		.amdhsa_float_denorm_mode_16_64 3
		.amdhsa_dx10_clamp 1
		.amdhsa_ieee_mode 1
		.amdhsa_fp16_overflow 0
		.amdhsa_tg_split 0
		.amdhsa_exception_fp_ieee_invalid_op 0
		.amdhsa_exception_fp_denorm_src 0
		.amdhsa_exception_fp_ieee_div_zero 0
		.amdhsa_exception_fp_ieee_overflow 0
		.amdhsa_exception_fp_ieee_underflow 0
		.amdhsa_exception_fp_ieee_inexact 0
		.amdhsa_exception_int_div_zero 0
	.end_amdhsa_kernel
	.section	.text._ZN12_GLOBAL__N_127rocblas_gemm_batched_kernelIdLi16ELi16ELi64ELi64ELi4ELi64ELi4ELi4ELi64ELc78ELc67EKPKdS3_KPdEEvlllT_PT11_llS8_llS6_PT12_llPT13_lli,"axG",@progbits,_ZN12_GLOBAL__N_127rocblas_gemm_batched_kernelIdLi16ELi16ELi64ELi64ELi4ELi64ELi4ELi4ELi64ELc78ELc67EKPKdS3_KPdEEvlllT_PT11_llS8_llS6_PT12_llPT13_lli,comdat
.Lfunc_end212:
	.size	_ZN12_GLOBAL__N_127rocblas_gemm_batched_kernelIdLi16ELi16ELi64ELi64ELi4ELi64ELi4ELi4ELi64ELc78ELc67EKPKdS3_KPdEEvlllT_PT11_llS8_llS6_PT12_llPT13_lli, .Lfunc_end212-_ZN12_GLOBAL__N_127rocblas_gemm_batched_kernelIdLi16ELi16ELi64ELi64ELi4ELi64ELi4ELi4ELi64ELc78ELc67EKPKdS3_KPdEEvlllT_PT11_llS8_llS6_PT12_llPT13_lli
                                        ; -- End function
	.set _ZN12_GLOBAL__N_127rocblas_gemm_batched_kernelIdLi16ELi16ELi64ELi64ELi4ELi64ELi4ELi4ELi64ELc78ELc67EKPKdS3_KPdEEvlllT_PT11_llS8_llS6_PT12_llPT13_lli.num_vgpr, 86
	.set _ZN12_GLOBAL__N_127rocblas_gemm_batched_kernelIdLi16ELi16ELi64ELi64ELi4ELi64ELi4ELi4ELi64ELc78ELc67EKPKdS3_KPdEEvlllT_PT11_llS8_llS6_PT12_llPT13_lli.num_agpr, 0
	.set _ZN12_GLOBAL__N_127rocblas_gemm_batched_kernelIdLi16ELi16ELi64ELi64ELi4ELi64ELi4ELi4ELi64ELc78ELc67EKPKdS3_KPdEEvlllT_PT11_llS8_llS6_PT12_llPT13_lli.numbered_sgpr, 44
	.set _ZN12_GLOBAL__N_127rocblas_gemm_batched_kernelIdLi16ELi16ELi64ELi64ELi4ELi64ELi4ELi4ELi64ELc78ELc67EKPKdS3_KPdEEvlllT_PT11_llS8_llS6_PT12_llPT13_lli.num_named_barrier, 0
	.set _ZN12_GLOBAL__N_127rocblas_gemm_batched_kernelIdLi16ELi16ELi64ELi64ELi4ELi64ELi4ELi4ELi64ELc78ELc67EKPKdS3_KPdEEvlllT_PT11_llS8_llS6_PT12_llPT13_lli.private_seg_size, 0
	.set _ZN12_GLOBAL__N_127rocblas_gemm_batched_kernelIdLi16ELi16ELi64ELi64ELi4ELi64ELi4ELi4ELi64ELc78ELc67EKPKdS3_KPdEEvlllT_PT11_llS8_llS6_PT12_llPT13_lli.uses_vcc, 1
	.set _ZN12_GLOBAL__N_127rocblas_gemm_batched_kernelIdLi16ELi16ELi64ELi64ELi4ELi64ELi4ELi4ELi64ELc78ELc67EKPKdS3_KPdEEvlllT_PT11_llS8_llS6_PT12_llPT13_lli.uses_flat_scratch, 0
	.set _ZN12_GLOBAL__N_127rocblas_gemm_batched_kernelIdLi16ELi16ELi64ELi64ELi4ELi64ELi4ELi4ELi64ELc78ELc67EKPKdS3_KPdEEvlllT_PT11_llS8_llS6_PT12_llPT13_lli.has_dyn_sized_stack, 0
	.set _ZN12_GLOBAL__N_127rocblas_gemm_batched_kernelIdLi16ELi16ELi64ELi64ELi4ELi64ELi4ELi4ELi64ELc78ELc67EKPKdS3_KPdEEvlllT_PT11_llS8_llS6_PT12_llPT13_lli.has_recursion, 0
	.set _ZN12_GLOBAL__N_127rocblas_gemm_batched_kernelIdLi16ELi16ELi64ELi64ELi4ELi64ELi4ELi4ELi64ELc78ELc67EKPKdS3_KPdEEvlllT_PT11_llS8_llS6_PT12_llPT13_lli.has_indirect_call, 0
	.section	.AMDGPU.csdata,"",@progbits
; Kernel info:
; codeLenInByte = 2156
; TotalNumSgprs: 50
; NumVgprs: 86
; NumAgprs: 0
; TotalNumVgprs: 86
; ScratchSize: 0
; MemoryBound: 0
; FloatMode: 240
; IeeeMode: 1
; LDSByteSize: 4096 bytes/workgroup (compile time only)
; SGPRBlocks: 6
; VGPRBlocks: 10
; NumSGPRsForWavesPerEU: 50
; NumVGPRsForWavesPerEU: 86
; AccumOffset: 88
; Occupancy: 5
; WaveLimiterHint : 1
; COMPUTE_PGM_RSRC2:SCRATCH_EN: 0
; COMPUTE_PGM_RSRC2:USER_SGPR: 2
; COMPUTE_PGM_RSRC2:TRAP_HANDLER: 0
; COMPUTE_PGM_RSRC2:TGID_X_EN: 1
; COMPUTE_PGM_RSRC2:TGID_Y_EN: 1
; COMPUTE_PGM_RSRC2:TGID_Z_EN: 1
; COMPUTE_PGM_RSRC2:TIDIG_COMP_CNT: 1
; COMPUTE_PGM_RSRC3_GFX90A:ACCUM_OFFSET: 21
; COMPUTE_PGM_RSRC3_GFX90A:TG_SPLIT: 0
	.section	.text._ZN12_GLOBAL__N_127rocblas_gemm_batched_kernelIdLi16ELi16ELi64ELi64ELi4ELi64ELi4ELi4ELi64ELc84ELc67EKPKdS3_KPdEEvlllT_PT11_llS8_llS6_PT12_llPT13_lli,"axG",@progbits,_ZN12_GLOBAL__N_127rocblas_gemm_batched_kernelIdLi16ELi16ELi64ELi64ELi4ELi64ELi4ELi4ELi64ELc84ELc67EKPKdS3_KPdEEvlllT_PT11_llS8_llS6_PT12_llPT13_lli,comdat
	.globl	_ZN12_GLOBAL__N_127rocblas_gemm_batched_kernelIdLi16ELi16ELi64ELi64ELi4ELi64ELi4ELi4ELi64ELc84ELc67EKPKdS3_KPdEEvlllT_PT11_llS8_llS6_PT12_llPT13_lli ; -- Begin function _ZN12_GLOBAL__N_127rocblas_gemm_batched_kernelIdLi16ELi16ELi64ELi64ELi4ELi64ELi4ELi4ELi64ELc84ELc67EKPKdS3_KPdEEvlllT_PT11_llS8_llS6_PT12_llPT13_lli
	.p2align	8
	.type	_ZN12_GLOBAL__N_127rocblas_gemm_batched_kernelIdLi16ELi16ELi64ELi64ELi4ELi64ELi4ELi4ELi64ELc84ELc67EKPKdS3_KPdEEvlllT_PT11_llS8_llS6_PT12_llPT13_lli,@function
_ZN12_GLOBAL__N_127rocblas_gemm_batched_kernelIdLi16ELi16ELi64ELi64ELi4ELi64ELi4ELi4ELi64ELc84ELc67EKPKdS3_KPdEEvlllT_PT11_llS8_llS6_PT12_llPT13_lli: ; @_ZN12_GLOBAL__N_127rocblas_gemm_batched_kernelIdLi16ELi16ELi64ELi64ELi4ELi64ELi4ELi4ELi64ELc84ELc67EKPKdS3_KPdEEvlllT_PT11_llS8_llS6_PT12_llPT13_lli
; %bb.0:
	s_load_dwordx16 s[8:23], s[0:1], 0x10
	s_load_dwordx8 s[36:43], s[0:1], 0x70
	s_load_dwordx8 s[24:31], s[0:1], 0x50
	s_mov_b32 s5, 0
	s_lshl_b64 s[34:35], s[4:5], 3
	s_mov_b32 s6, s3
	v_mov_b32_e32 v27, 0
	s_waitcnt lgkmcnt(0)
	s_add_u32 s0, s26, s34
	s_addc_u32 s1, s27, s35
	s_add_u32 s4, s36, s34
	s_addc_u32 s5, s37, s35
	s_load_dwordx2 s[0:1], s[0:1], 0x0
	s_ashr_i32 s3, s2, 31
	s_load_dwordx2 s[4:5], s[4:5], 0x0
	s_ashr_i32 s7, s6, 31
	v_cmp_lt_i64_e64 s[26:27], s[8:9], 1
	v_bfe_u32 v26, v0, 10, 10
	v_and_b32_e32 v28, 0x3ff, v0
	v_mov_b32_e32 v29, v27
	s_lshl_b64 s[2:3], s[2:3], 6
	s_lshl_b64 s[6:7], s[6:7], 6
	s_and_b64 vcc, exec, s[26:27]
	s_cbranch_vccnz .LBB213_3
; %bb.1:
	s_add_u32 s12, s12, s34
	s_addc_u32 s13, s13, s35
	v_lshl_add_u32 v4, v26, 4, v28
	s_load_dwordx2 s[26:27], s[12:13], 0x0
	s_add_u32 s12, s18, s34
	v_and_b32_e32 v2, 63, v4
	s_addc_u32 s13, s19, s35
	v_lshrrev_b32_e32 v0, 2, v4
	v_and_b32_e32 v5, 3, v28
	v_lshrrev_b32_e32 v6, 6, v4
	v_lshlrev_b32_e32 v4, 3, v2
	s_load_dwordx2 s[12:13], s[12:13], 0x0
	v_lshl_or_b32 v42, v6, 9, v4
	v_lshlrev_b32_e32 v4, 3, v5
	v_mov_b32_e32 v1, v27
	v_lshl_or_b32 v4, v0, 5, v4
	v_add_u32_e32 v43, 0x800, v4
	v_mov_b32_e32 v4, 0x800
	s_lshl_b64 s[18:19], s[22:23], 3
	v_mad_u64_u32 v[0:1], s[22:23], s20, v5, v[0:1]
	v_lshl_add_u32 v45, v26, 5, v4
	v_mov_b32_e32 v4, v1
	v_mad_u64_u32 v[4:5], s[22:23], s21, v5, v[4:5]
	v_mov_b32_e32 v1, v4
	s_waitcnt lgkmcnt(0)
	s_add_u32 s12, s12, s18
	v_mov_b32_e32 v3, v27
	v_lshl_add_u64 v[0:1], v[0:1], 0, s[6:7]
	s_addc_u32 s13, s13, s19
	v_lshl_add_u64 v[36:37], v[0:1], 3, s[12:13]
	v_lshl_add_u64 v[0:1], s[2:3], 0, v[2:3]
	v_mul_lo_u32 v2, s15, v0
	v_mul_lo_u32 v3, s14, v1
	v_mad_u64_u32 v[0:1], s[14:15], s14, v0, 0
	v_add3_u32 v1, v1, v3, v2
	s_lshl_b64 s[14:15], s[16:17], 3
	v_lshl_add_u64 v[0:1], v[0:1], 3, s[14:15]
	v_lshlrev_b32_e32 v2, 3, v6
	v_mov_b32_e32 v3, v27
	v_lshl_add_u64 v[0:1], v[0:1], 0, v[2:3]
	v_lshlrev_b32_e32 v44, 3, v28
	s_lshl_b64 s[12:13], s[20:21], 5
	v_lshl_add_u64 v[38:39], s[26:27], 0, v[0:1]
	s_mov_b64 s[14:15], 0
	v_mov_b64_e32 v[0:1], 0
	v_mov_b64_e32 v[40:41], s[8:9]
	;; [unrolled: 1-line block ×17, first 2 shown]
.LBB213_2:                              ; =>This Inner Loop Header: Depth=1
	flat_load_dwordx2 v[46:47], v[38:39]
	s_add_u32 s14, s14, 4
	s_addc_u32 s15, s15, 0
	v_cmp_lt_i64_e32 vcc, s[14:15], v[40:41]
	v_lshl_add_u64 v[38:39], v[38:39], 0, 32
	s_and_b64 vcc, exec, vcc
	s_waitcnt vmcnt(0) lgkmcnt(0)
	ds_write_b64 v42, v[46:47]
	flat_load_dwordx2 v[46:47], v[36:37]
	v_lshl_add_u64 v[36:37], v[36:37], 0, s[12:13]
	s_waitcnt vmcnt(0) lgkmcnt(0)
	ds_write_b64 v43, v[46:47]
	s_waitcnt lgkmcnt(0)
	s_barrier
	ds_read2_b64 v[46:49], v44 offset1:16
	ds_read_b128 v[50:53], v45 offset:1536
	ds_read_b128 v[54:57], v45
	ds_read_b128 v[58:61], v45 offset:16
	ds_read_b128 v[62:65], v45 offset:512
	;; [unrolled: 1-line block ×5, first 2 shown]
	s_waitcnt lgkmcnt(5)
	v_fmac_f64_e32 v[34:35], v[46:47], v[54:55]
	v_fmac_f64_e32 v[32:33], v[48:49], v[54:55]
	s_waitcnt lgkmcnt(3)
	v_fmac_f64_e32 v[22:23], v[46:47], v[62:63]
	v_fmac_f64_e32 v[20:21], v[48:49], v[62:63]
	s_waitcnt lgkmcnt(1)
	v_fmac_f64_e32 v[14:15], v[46:47], v[70:71]
	v_fmac_f64_e32 v[12:13], v[48:49], v[70:71]
	v_fmac_f64_e32 v[6:7], v[46:47], v[50:51]
	v_fmac_f64_e32 v[4:5], v[48:49], v[50:51]
	ds_read2_b64 v[46:49], v44 offset0:32 offset1:48
	ds_read2_b64 v[82:85], v44 offset0:96 offset1:112
	ds_read_b128 v[78:81], v45 offset:1552
	s_waitcnt lgkmcnt(2)
	v_fmac_f64_e32 v[30:31], v[46:47], v[54:55]
	v_fmac_f64_e32 v[24:25], v[48:49], v[54:55]
	;; [unrolled: 1-line block ×8, first 2 shown]
	ds_read2_b64 v[46:49], v44 offset0:64 offset1:80
	s_waitcnt lgkmcnt(2)
	v_fmac_f64_e32 v[30:31], v[82:83], v[56:57]
	v_fmac_f64_e32 v[24:25], v[84:85], v[56:57]
	v_fmac_f64_e32 v[18:19], v[82:83], v[64:65]
	v_fmac_f64_e32 v[16:17], v[84:85], v[64:65]
	s_waitcnt lgkmcnt(0)
	v_fmac_f64_e32 v[34:35], v[46:47], v[56:57]
	v_fmac_f64_e32 v[32:33], v[48:49], v[56:57]
	;; [unrolled: 1-line block ×6, first 2 shown]
	ds_read2_b64 v[54:57], v44 offset0:128 offset1:144
	v_fmac_f64_e32 v[6:7], v[46:47], v[52:53]
	v_fmac_f64_e32 v[4:5], v[48:49], v[52:53]
	ds_read2_b64 v[46:49], v44 offset0:160 offset1:176
	v_fmac_f64_e32 v[2:3], v[82:83], v[52:53]
	v_fmac_f64_e32 v[0:1], v[84:85], v[52:53]
	ds_read2_b64 v[50:53], v44 offset0:192 offset1:208
	ds_read2_b64 v[62:65], v44 offset0:224 offset1:240
	v_fmac_f64_e32 v[10:11], v[82:83], v[72:73]
	v_fmac_f64_e32 v[8:9], v[84:85], v[72:73]
	s_waitcnt lgkmcnt(3)
	v_fmac_f64_e32 v[34:35], v[54:55], v[58:59]
	v_fmac_f64_e32 v[32:33], v[56:57], v[58:59]
	;; [unrolled: 1-line block ×8, first 2 shown]
	s_waitcnt lgkmcnt(2)
	v_fmac_f64_e32 v[30:31], v[46:47], v[58:59]
	v_fmac_f64_e32 v[24:25], v[48:49], v[58:59]
	;; [unrolled: 1-line block ×8, first 2 shown]
	s_waitcnt lgkmcnt(1)
	v_fmac_f64_e32 v[34:35], v[50:51], v[60:61]
	v_fmac_f64_e32 v[32:33], v[52:53], v[60:61]
	s_waitcnt lgkmcnt(0)
	v_fmac_f64_e32 v[30:31], v[62:63], v[60:61]
	v_fmac_f64_e32 v[24:25], v[64:65], v[60:61]
	;; [unrolled: 1-line block ×14, first 2 shown]
	s_barrier
	s_cbranch_vccnz .LBB213_2
	s_branch .LBB213_4
.LBB213_3:
	v_mov_b64_e32 v[34:35], 0
	v_mov_b64_e32 v[32:33], 0
	;; [unrolled: 1-line block ×16, first 2 shown]
.LBB213_4:
	s_lshl_b64 s[8:9], s[40:41], 3
	s_waitcnt lgkmcnt(0)
	s_add_u32 s4, s4, s8
	s_addc_u32 s5, s5, s9
	v_lshl_add_u64 v[36:37], s[6:7], 0, v[26:27]
	v_cmp_neq_f64_e64 s[8:9], s[24:25], 0
	v_lshl_add_u64 v[26:27], s[2:3], 0, v[28:29]
	s_mov_b64 s[6:7], 0
	s_and_b64 vcc, exec, s[8:9]
	v_mul_lo_u32 v28, v37, s38
	v_mul_lo_u32 v29, v36, s39
	v_lshlrev_b64 v[26:27], 3, v[26:27]
	s_cbranch_vccnz .LBB213_8
; %bb.5:
	v_mad_u64_u32 v[38:39], s[2:3], v36, s38, 0
	v_add3_u32 v39, v39, v29, v28
	v_lshl_add_u64 v[38:39], v[38:39], 3, s[4:5]
	v_mul_f64 v[40:41], s[10:11], v[34:35]
	v_lshl_add_u64 v[42:43], v[38:39], 0, v[26:27]
	flat_store_dwordx2 v[42:43], v[40:41]
	v_mul_f64 v[40:41], s[10:11], v[32:33]
	flat_store_dwordx2 v[42:43], v[40:41] offset:128
	v_mul_f64 v[40:41], s[10:11], v[30:31]
	s_lshl_b64 s[2:3], s[38:39], 7
	flat_store_dwordx2 v[42:43], v[40:41] offset:256
	v_mul_f64 v[40:41], s[10:11], v[24:25]
	v_lshl_add_u64 v[38:39], v[38:39], 0, s[2:3]
	flat_store_dwordx2 v[42:43], v[40:41] offset:384
	v_mul_f64 v[40:41], s[10:11], v[22:23]
	v_lshl_add_u64 v[42:43], v[38:39], 0, v[26:27]
	flat_store_dwordx2 v[42:43], v[40:41]
	v_mul_f64 v[40:41], s[10:11], v[20:21]
	flat_store_dwordx2 v[42:43], v[40:41] offset:128
	v_mul_f64 v[40:41], s[10:11], v[18:19]
	flat_store_dwordx2 v[42:43], v[40:41] offset:256
	v_mul_f64 v[40:41], s[10:11], v[16:17]
	v_lshl_add_u64 v[38:39], v[38:39], 0, s[2:3]
	flat_store_dwordx2 v[42:43], v[40:41] offset:384
	v_mul_f64 v[40:41], s[10:11], v[14:15]
	v_lshl_add_u64 v[42:43], v[38:39], 0, v[26:27]
	flat_store_dwordx2 v[42:43], v[40:41]
	v_mul_f64 v[40:41], s[10:11], v[12:13]
	flat_store_dwordx2 v[42:43], v[40:41] offset:128
	v_mul_f64 v[40:41], s[10:11], v[10:11]
	;; [unrolled: 10-line block ×3, first 2 shown]
	flat_store_dwordx2 v[38:39], v[40:41] offset:256
	v_mul_f64 v[40:41], s[10:11], v[0:1]
	flat_store_dwordx2 v[38:39], v[40:41] offset:384
	s_andn2_b64 vcc, exec, s[6:7]
	s_cbranch_vccnz .LBB213_7
.LBB213_6:
	s_lshl_b64 s[2:3], s[30:31], 3
	s_add_u32 s0, s0, s2
	s_addc_u32 s1, s1, s3
	v_mul_lo_u32 v37, v37, s28
	v_mul_lo_u32 v40, v36, s29
	v_mad_u64_u32 v[38:39], s[2:3], v36, s28, 0
	v_add3_u32 v39, v39, v40, v37
	v_lshl_add_u64 v[38:39], v[38:39], 3, s[0:1]
	v_lshl_add_u64 v[40:41], v[38:39], 0, v[26:27]
	flat_load_dwordx2 v[42:43], v[40:41]
	v_mad_u64_u32 v[36:37], s[0:1], v36, s38, 0
	v_add3_u32 v37, v37, v29, v28
	v_lshl_add_u64 v[28:29], v[36:37], 3, s[4:5]
	v_lshl_add_u64 v[36:37], v[28:29], 0, v[26:27]
	s_lshl_b64 s[0:1], s[28:29], 7
	s_lshl_b64 s[2:3], s[38:39], 7
	v_lshl_add_u64 v[28:29], v[28:29], 0, s[2:3]
	s_waitcnt vmcnt(0) lgkmcnt(0)
	v_mul_f64 v[42:43], s[24:25], v[42:43]
	v_fmac_f64_e32 v[42:43], s[10:11], v[34:35]
	flat_store_dwordx2 v[36:37], v[42:43]
	flat_load_dwordx2 v[34:35], v[40:41] offset:128
	s_waitcnt vmcnt(0) lgkmcnt(0)
	v_mul_f64 v[34:35], s[24:25], v[34:35]
	v_fmac_f64_e32 v[34:35], s[10:11], v[32:33]
	flat_store_dwordx2 v[36:37], v[34:35] offset:128
	flat_load_dwordx2 v[32:33], v[40:41] offset:256
	s_waitcnt vmcnt(0) lgkmcnt(0)
	v_mul_f64 v[32:33], s[24:25], v[32:33]
	v_fmac_f64_e32 v[32:33], s[10:11], v[30:31]
	flat_store_dwordx2 v[36:37], v[32:33] offset:256
	flat_load_dwordx2 v[30:31], v[40:41] offset:384
	v_lshl_add_u64 v[32:33], v[38:39], 0, s[0:1]
	v_lshl_add_u64 v[34:35], v[32:33], 0, v[26:27]
	s_waitcnt vmcnt(0) lgkmcnt(0)
	v_mul_f64 v[30:31], s[24:25], v[30:31]
	v_fmac_f64_e32 v[30:31], s[10:11], v[24:25]
	flat_store_dwordx2 v[36:37], v[30:31] offset:384
	flat_load_dwordx2 v[24:25], v[34:35]
	v_lshl_add_u64 v[30:31], v[28:29], 0, v[26:27]
	s_waitcnt vmcnt(0) lgkmcnt(0)
	v_mul_f64 v[24:25], s[24:25], v[24:25]
	v_fmac_f64_e32 v[24:25], s[10:11], v[22:23]
	flat_store_dwordx2 v[30:31], v[24:25]
	flat_load_dwordx2 v[22:23], v[34:35] offset:128
	s_waitcnt vmcnt(0) lgkmcnt(0)
	v_mul_f64 v[22:23], s[24:25], v[22:23]
	v_fmac_f64_e32 v[22:23], s[10:11], v[20:21]
	flat_store_dwordx2 v[30:31], v[22:23] offset:128
	flat_load_dwordx2 v[20:21], v[34:35] offset:256
	s_waitcnt vmcnt(0) lgkmcnt(0)
	v_mul_f64 v[20:21], s[24:25], v[20:21]
	v_fmac_f64_e32 v[20:21], s[10:11], v[18:19]
	flat_store_dwordx2 v[30:31], v[20:21] offset:256
	flat_load_dwordx2 v[18:19], v[34:35] offset:384
	v_lshl_add_u64 v[20:21], v[32:33], 0, s[0:1]
	v_lshl_add_u64 v[22:23], v[20:21], 0, v[26:27]
	s_waitcnt vmcnt(0) lgkmcnt(0)
	v_mul_f64 v[18:19], s[24:25], v[18:19]
	v_fmac_f64_e32 v[18:19], s[10:11], v[16:17]
	flat_store_dwordx2 v[30:31], v[18:19] offset:384
	flat_load_dwordx2 v[16:17], v[22:23]
	v_lshl_add_u64 v[18:19], v[28:29], 0, s[2:3]
	v_lshl_add_u64 v[24:25], v[18:19], 0, v[26:27]
	s_waitcnt vmcnt(0) lgkmcnt(0)
	v_mul_f64 v[16:17], s[24:25], v[16:17]
	v_fmac_f64_e32 v[16:17], s[10:11], v[14:15]
	flat_store_dwordx2 v[24:25], v[16:17]
	flat_load_dwordx2 v[14:15], v[22:23] offset:128
	s_waitcnt vmcnt(0) lgkmcnt(0)
	v_mul_f64 v[14:15], s[24:25], v[14:15]
	v_fmac_f64_e32 v[14:15], s[10:11], v[12:13]
	flat_store_dwordx2 v[24:25], v[14:15] offset:128
	flat_load_dwordx2 v[12:13], v[22:23] offset:256
	s_waitcnt vmcnt(0) lgkmcnt(0)
	v_mul_f64 v[12:13], s[24:25], v[12:13]
	v_fmac_f64_e32 v[12:13], s[10:11], v[10:11]
	flat_store_dwordx2 v[24:25], v[12:13] offset:256
	flat_load_dwordx2 v[10:11], v[22:23] offset:384
	v_lshl_add_u64 v[12:13], v[20:21], 0, s[0:1]
	v_lshl_add_u64 v[12:13], v[12:13], 0, v[26:27]
	s_waitcnt vmcnt(0) lgkmcnt(0)
	v_mul_f64 v[10:11], s[24:25], v[10:11]
	v_fmac_f64_e32 v[10:11], s[10:11], v[8:9]
	flat_store_dwordx2 v[24:25], v[10:11] offset:384
	flat_load_dwordx2 v[8:9], v[12:13]
	v_lshl_add_u64 v[10:11], v[18:19], 0, s[2:3]
	s_waitcnt vmcnt(0) lgkmcnt(0)
	v_mul_f64 v[8:9], s[24:25], v[8:9]
	v_fmac_f64_e32 v[8:9], s[10:11], v[6:7]
	v_lshl_add_u64 v[6:7], v[10:11], 0, v[26:27]
	flat_store_dwordx2 v[6:7], v[8:9]
	flat_load_dwordx2 v[8:9], v[12:13] offset:128
	s_waitcnt vmcnt(0) lgkmcnt(0)
	v_mul_f64 v[8:9], s[24:25], v[8:9]
	v_fmac_f64_e32 v[8:9], s[10:11], v[4:5]
	flat_store_dwordx2 v[6:7], v[8:9] offset:128
	flat_load_dwordx2 v[4:5], v[12:13] offset:256
	s_waitcnt vmcnt(0) lgkmcnt(0)
	v_mul_f64 v[4:5], s[24:25], v[4:5]
	v_fmac_f64_e32 v[4:5], s[10:11], v[2:3]
	flat_store_dwordx2 v[6:7], v[4:5] offset:256
	;; [unrolled: 5-line block ×3, first 2 shown]
.LBB213_7:
	s_endpgm
.LBB213_8:
	s_branch .LBB213_6
	.section	.rodata,"a",@progbits
	.p2align	6, 0x0
	.amdhsa_kernel _ZN12_GLOBAL__N_127rocblas_gemm_batched_kernelIdLi16ELi16ELi64ELi64ELi4ELi64ELi4ELi4ELi64ELc84ELc67EKPKdS3_KPdEEvlllT_PT11_llS8_llS6_PT12_llPT13_lli
		.amdhsa_group_segment_fixed_size 4096
		.amdhsa_private_segment_fixed_size 0
		.amdhsa_kernarg_size 140
		.amdhsa_user_sgpr_count 2
		.amdhsa_user_sgpr_dispatch_ptr 0
		.amdhsa_user_sgpr_queue_ptr 0
		.amdhsa_user_sgpr_kernarg_segment_ptr 1
		.amdhsa_user_sgpr_dispatch_id 0
		.amdhsa_user_sgpr_kernarg_preload_length 0
		.amdhsa_user_sgpr_kernarg_preload_offset 0
		.amdhsa_user_sgpr_private_segment_size 0
		.amdhsa_uses_dynamic_stack 0
		.amdhsa_enable_private_segment 0
		.amdhsa_system_sgpr_workgroup_id_x 1
		.amdhsa_system_sgpr_workgroup_id_y 1
		.amdhsa_system_sgpr_workgroup_id_z 1
		.amdhsa_system_sgpr_workgroup_info 0
		.amdhsa_system_vgpr_workitem_id 1
		.amdhsa_next_free_vgpr 86
		.amdhsa_next_free_sgpr 44
		.amdhsa_accum_offset 88
		.amdhsa_reserve_vcc 1
		.amdhsa_float_round_mode_32 0
		.amdhsa_float_round_mode_16_64 0
		.amdhsa_float_denorm_mode_32 3
		.amdhsa_float_denorm_mode_16_64 3
		.amdhsa_dx10_clamp 1
		.amdhsa_ieee_mode 1
		.amdhsa_fp16_overflow 0
		.amdhsa_tg_split 0
		.amdhsa_exception_fp_ieee_invalid_op 0
		.amdhsa_exception_fp_denorm_src 0
		.amdhsa_exception_fp_ieee_div_zero 0
		.amdhsa_exception_fp_ieee_overflow 0
		.amdhsa_exception_fp_ieee_underflow 0
		.amdhsa_exception_fp_ieee_inexact 0
		.amdhsa_exception_int_div_zero 0
	.end_amdhsa_kernel
	.section	.text._ZN12_GLOBAL__N_127rocblas_gemm_batched_kernelIdLi16ELi16ELi64ELi64ELi4ELi64ELi4ELi4ELi64ELc84ELc67EKPKdS3_KPdEEvlllT_PT11_llS8_llS6_PT12_llPT13_lli,"axG",@progbits,_ZN12_GLOBAL__N_127rocblas_gemm_batched_kernelIdLi16ELi16ELi64ELi64ELi4ELi64ELi4ELi4ELi64ELc84ELc67EKPKdS3_KPdEEvlllT_PT11_llS8_llS6_PT12_llPT13_lli,comdat
.Lfunc_end213:
	.size	_ZN12_GLOBAL__N_127rocblas_gemm_batched_kernelIdLi16ELi16ELi64ELi64ELi4ELi64ELi4ELi4ELi64ELc84ELc67EKPKdS3_KPdEEvlllT_PT11_llS8_llS6_PT12_llPT13_lli, .Lfunc_end213-_ZN12_GLOBAL__N_127rocblas_gemm_batched_kernelIdLi16ELi16ELi64ELi64ELi4ELi64ELi4ELi4ELi64ELc84ELc67EKPKdS3_KPdEEvlllT_PT11_llS8_llS6_PT12_llPT13_lli
                                        ; -- End function
	.set _ZN12_GLOBAL__N_127rocblas_gemm_batched_kernelIdLi16ELi16ELi64ELi64ELi4ELi64ELi4ELi4ELi64ELc84ELc67EKPKdS3_KPdEEvlllT_PT11_llS8_llS6_PT12_llPT13_lli.num_vgpr, 86
	.set _ZN12_GLOBAL__N_127rocblas_gemm_batched_kernelIdLi16ELi16ELi64ELi64ELi4ELi64ELi4ELi4ELi64ELc84ELc67EKPKdS3_KPdEEvlllT_PT11_llS8_llS6_PT12_llPT13_lli.num_agpr, 0
	.set _ZN12_GLOBAL__N_127rocblas_gemm_batched_kernelIdLi16ELi16ELi64ELi64ELi4ELi64ELi4ELi4ELi64ELc84ELc67EKPKdS3_KPdEEvlllT_PT11_llS8_llS6_PT12_llPT13_lli.numbered_sgpr, 44
	.set _ZN12_GLOBAL__N_127rocblas_gemm_batched_kernelIdLi16ELi16ELi64ELi64ELi4ELi64ELi4ELi4ELi64ELc84ELc67EKPKdS3_KPdEEvlllT_PT11_llS8_llS6_PT12_llPT13_lli.num_named_barrier, 0
	.set _ZN12_GLOBAL__N_127rocblas_gemm_batched_kernelIdLi16ELi16ELi64ELi64ELi4ELi64ELi4ELi4ELi64ELc84ELc67EKPKdS3_KPdEEvlllT_PT11_llS8_llS6_PT12_llPT13_lli.private_seg_size, 0
	.set _ZN12_GLOBAL__N_127rocblas_gemm_batched_kernelIdLi16ELi16ELi64ELi64ELi4ELi64ELi4ELi4ELi64ELc84ELc67EKPKdS3_KPdEEvlllT_PT11_llS8_llS6_PT12_llPT13_lli.uses_vcc, 1
	.set _ZN12_GLOBAL__N_127rocblas_gemm_batched_kernelIdLi16ELi16ELi64ELi64ELi4ELi64ELi4ELi4ELi64ELc84ELc67EKPKdS3_KPdEEvlllT_PT11_llS8_llS6_PT12_llPT13_lli.uses_flat_scratch, 0
	.set _ZN12_GLOBAL__N_127rocblas_gemm_batched_kernelIdLi16ELi16ELi64ELi64ELi4ELi64ELi4ELi4ELi64ELc84ELc67EKPKdS3_KPdEEvlllT_PT11_llS8_llS6_PT12_llPT13_lli.has_dyn_sized_stack, 0
	.set _ZN12_GLOBAL__N_127rocblas_gemm_batched_kernelIdLi16ELi16ELi64ELi64ELi4ELi64ELi4ELi4ELi64ELc84ELc67EKPKdS3_KPdEEvlllT_PT11_llS8_llS6_PT12_llPT13_lli.has_recursion, 0
	.set _ZN12_GLOBAL__N_127rocblas_gemm_batched_kernelIdLi16ELi16ELi64ELi64ELi4ELi64ELi4ELi4ELi64ELc84ELc67EKPKdS3_KPdEEvlllT_PT11_llS8_llS6_PT12_llPT13_lli.has_indirect_call, 0
	.section	.AMDGPU.csdata,"",@progbits
; Kernel info:
; codeLenInByte = 2172
; TotalNumSgprs: 50
; NumVgprs: 86
; NumAgprs: 0
; TotalNumVgprs: 86
; ScratchSize: 0
; MemoryBound: 0
; FloatMode: 240
; IeeeMode: 1
; LDSByteSize: 4096 bytes/workgroup (compile time only)
; SGPRBlocks: 6
; VGPRBlocks: 10
; NumSGPRsForWavesPerEU: 50
; NumVGPRsForWavesPerEU: 86
; AccumOffset: 88
; Occupancy: 5
; WaveLimiterHint : 1
; COMPUTE_PGM_RSRC2:SCRATCH_EN: 0
; COMPUTE_PGM_RSRC2:USER_SGPR: 2
; COMPUTE_PGM_RSRC2:TRAP_HANDLER: 0
; COMPUTE_PGM_RSRC2:TGID_X_EN: 1
; COMPUTE_PGM_RSRC2:TGID_Y_EN: 1
; COMPUTE_PGM_RSRC2:TGID_Z_EN: 1
; COMPUTE_PGM_RSRC2:TIDIG_COMP_CNT: 1
; COMPUTE_PGM_RSRC3_GFX90A:ACCUM_OFFSET: 21
; COMPUTE_PGM_RSRC3_GFX90A:TG_SPLIT: 0
	.section	.text._ZN12_GLOBAL__N_127rocblas_gemm_batched_kernelIdLi16ELi16ELi32ELi32ELi8ELi32ELi8ELi8ELi32ELc78ELc78EKPKdS3_KPdEEvlllT_PT11_llS8_llS6_PT12_llPT13_lli,"axG",@progbits,_ZN12_GLOBAL__N_127rocblas_gemm_batched_kernelIdLi16ELi16ELi32ELi32ELi8ELi32ELi8ELi8ELi32ELc78ELc78EKPKdS3_KPdEEvlllT_PT11_llS8_llS6_PT12_llPT13_lli,comdat
	.globl	_ZN12_GLOBAL__N_127rocblas_gemm_batched_kernelIdLi16ELi16ELi32ELi32ELi8ELi32ELi8ELi8ELi32ELc78ELc78EKPKdS3_KPdEEvlllT_PT11_llS8_llS6_PT12_llPT13_lli ; -- Begin function _ZN12_GLOBAL__N_127rocblas_gemm_batched_kernelIdLi16ELi16ELi32ELi32ELi8ELi32ELi8ELi8ELi32ELc78ELc78EKPKdS3_KPdEEvlllT_PT11_llS8_llS6_PT12_llPT13_lli
	.p2align	8
	.type	_ZN12_GLOBAL__N_127rocblas_gemm_batched_kernelIdLi16ELi16ELi32ELi32ELi8ELi32ELi8ELi8ELi32ELc78ELc78EKPKdS3_KPdEEvlllT_PT11_llS8_llS6_PT12_llPT13_lli,@function
_ZN12_GLOBAL__N_127rocblas_gemm_batched_kernelIdLi16ELi16ELi32ELi32ELi8ELi32ELi8ELi8ELi32ELc78ELc78EKPKdS3_KPdEEvlllT_PT11_llS8_llS6_PT12_llPT13_lli: ; @_ZN12_GLOBAL__N_127rocblas_gemm_batched_kernelIdLi16ELi16ELi32ELi32ELi8ELi32ELi8ELi8ELi32ELc78ELc78EKPKdS3_KPdEEvlllT_PT11_llS8_llS6_PT12_llPT13_lli
; %bb.0:
	s_load_dwordx16 s[8:23], s[0:1], 0x10
	s_load_dwordx8 s[36:43], s[0:1], 0x70
	s_load_dwordx8 s[24:31], s[0:1], 0x50
	s_mov_b32 s5, 0
	s_lshl_b64 s[34:35], s[4:5], 3
	s_mov_b32 s6, s3
	v_mov_b32_e32 v3, 0
	s_waitcnt lgkmcnt(0)
	s_add_u32 s0, s26, s34
	s_addc_u32 s1, s27, s35
	s_add_u32 s4, s36, s34
	s_addc_u32 s5, s37, s35
	s_load_dwordx2 s[0:1], s[0:1], 0x0
	s_ashr_i32 s3, s2, 31
	s_load_dwordx2 s[4:5], s[4:5], 0x0
	s_ashr_i32 s7, s6, 31
	v_cmp_lt_i64_e64 s[26:27], s[8:9], 1
	v_bfe_u32 v2, v0, 10, 10
	v_and_b32_e32 v0, 0x3ff, v0
	v_mov_b32_e32 v1, v3
	s_lshl_b64 s[2:3], s[2:3], 5
	s_lshl_b64 s[6:7], s[6:7], 5
	s_and_b64 vcc, exec, s[26:27]
	s_cbranch_vccnz .LBB214_3
; %bb.1:
	v_lshl_add_u32 v10, v2, 4, v0
	s_add_u32 s12, s12, s34
	v_lshrrev_b32_e32 v4, 3, v10
	v_mov_b32_e32 v5, v3
	v_and_b32_e32 v8, 31, v10
	s_addc_u32 s13, s13, s35
	v_lshl_add_u64 v[6:7], v[4:5], 0, s[6:7]
	v_and_b32_e32 v5, 7, v0
	v_lshrrev_b32_e32 v14, 5, v10
	v_lshlrev_b32_e32 v10, 3, v8
	s_add_u32 s18, s18, s34
	v_lshl_or_b32 v18, v14, 8, v10
	v_lshlrev_b32_e32 v10, 3, v5
	s_addc_u32 s19, s19, s35
	v_lshl_or_b32 v4, v4, 6, v10
	s_load_dwordx2 s[18:19], s[18:19], 0x0
	v_add_u32_e32 v19, 0x800, v4
	v_mov_b32_e32 v4, 0x800
	v_lshl_add_u32 v21, v2, 6, v4
	v_mul_lo_u32 v11, s21, v6
	v_mul_lo_u32 v7, s20, v7
	v_mad_u64_u32 v[4:5], s[20:21], s20, v6, 0
	v_add3_u32 v5, v5, v7, v11
	s_lshl_b64 s[20:21], s[22:23], 3
	v_lshl_add_u64 v[4:5], v[4:5], 3, s[20:21]
	v_mov_b32_e32 v11, v3
	s_load_dwordx2 s[12:13], s[12:13], 0x0
	v_lshl_add_u64 v[4:5], v[4:5], 0, v[10:11]
	s_waitcnt lgkmcnt(0)
	v_lshl_add_u64 v[12:13], s[18:19], 0, v[4:5]
	v_mov_b64_e32 v[4:5], s[2:3]
	v_mad_u64_u32 v[4:5], s[18:19], s14, v14, v[4:5]
	v_mov_b32_e32 v6, v5
	s_lshl_b64 s[16:17], s[16:17], 3
	v_mad_u64_u32 v[6:7], s[18:19], s15, v14, v[6:7]
	v_mov_b32_e32 v9, v3
	v_mov_b32_e32 v5, v6
	s_add_u32 s12, s12, s16
	v_lshl_add_u64 v[4:5], v[4:5], 0, v[8:9]
	s_addc_u32 s13, s13, s17
	v_lshlrev_b32_e32 v20, 3, v0
	v_lshl_add_u64 v[14:15], v[4:5], 3, s[12:13]
	s_lshl_b64 s[12:13], s[14:15], 6
	s_mov_b64 s[14:15], 0
	v_mov_b64_e32 v[4:5], 0
	v_mov_b64_e32 v[16:17], s[8:9]
	;; [unrolled: 1-line block ×5, first 2 shown]
.LBB214_2:                              ; =>This Inner Loop Header: Depth=1
	flat_load_dwordx2 v[22:23], v[14:15]
	s_add_u32 s14, s14, 8
	s_addc_u32 s15, s15, 0
	v_cmp_lt_i64_e32 vcc, s[14:15], v[16:17]
	v_lshl_add_u64 v[14:15], v[14:15], 0, s[12:13]
	s_and_b64 vcc, exec, vcc
	s_waitcnt vmcnt(0) lgkmcnt(0)
	ds_write_b64 v18, v[22:23]
	flat_load_dwordx2 v[22:23], v[12:13]
	v_lshl_add_u64 v[12:13], v[12:13], 0, 64
	s_waitcnt vmcnt(0) lgkmcnt(0)
	ds_write_b64 v19, v[22:23]
	s_waitcnt lgkmcnt(0)
	s_barrier
	ds_read_b128 v[22:25], v21
	ds_read_b128 v[26:29], v21 offset:16
	ds_read_b128 v[30:33], v21 offset:32
	;; [unrolled: 1-line block ×3, first 2 shown]
	ds_read2_b64 v[38:41], v20 offset1:16
	ds_read2_b64 v[42:45], v20 offset0:32 offset1:48
	ds_read2_b64 v[46:49], v20 offset0:64 offset1:80
	ds_read_b128 v[50:53], v21 offset:1024
	ds_read_b128 v[54:57], v21 offset:1040
	ds_read2_b64 v[58:61], v20 offset0:96 offset1:112
	s_waitcnt lgkmcnt(5)
	v_fmac_f64_e32 v[10:11], v[38:39], v[22:23]
	v_fmac_f64_e32 v[8:9], v[40:41], v[22:23]
	s_waitcnt lgkmcnt(2)
	v_fmac_f64_e32 v[6:7], v[38:39], v[50:51]
	v_fmac_f64_e32 v[4:5], v[40:41], v[50:51]
	ds_read2_b64 v[38:41], v20 offset0:128 offset1:144
	v_fmac_f64_e32 v[10:11], v[42:43], v[24:25]
	v_fmac_f64_e32 v[8:9], v[44:45], v[24:25]
	ds_read_b128 v[22:25], v21 offset:1056
	v_fmac_f64_e32 v[6:7], v[42:43], v[52:53]
	v_fmac_f64_e32 v[4:5], v[44:45], v[52:53]
	ds_read2_b64 v[42:45], v20 offset0:160 offset1:176
	ds_read2_b64 v[50:53], v20 offset0:192 offset1:208
	v_fmac_f64_e32 v[10:11], v[46:47], v[26:27]
	v_fmac_f64_e32 v[8:9], v[48:49], v[26:27]
	s_waitcnt lgkmcnt(5)
	v_fmac_f64_e32 v[6:7], v[46:47], v[54:55]
	v_fmac_f64_e32 v[4:5], v[48:49], v[54:55]
	ds_read_b128 v[46:49], v21 offset:1072
	s_waitcnt lgkmcnt(5)
	v_fmac_f64_e32 v[10:11], v[58:59], v[28:29]
	v_fmac_f64_e32 v[8:9], v[60:61], v[28:29]
	ds_read2_b64 v[26:29], v20 offset0:224 offset1:240
	v_fmac_f64_e32 v[6:7], v[58:59], v[56:57]
	v_fmac_f64_e32 v[4:5], v[60:61], v[56:57]
	s_waitcnt lgkmcnt(5)
	v_fmac_f64_e32 v[10:11], v[38:39], v[30:31]
	v_fmac_f64_e32 v[8:9], v[40:41], v[30:31]
	s_waitcnt lgkmcnt(4)
	;; [unrolled: 3-line block ×3, first 2 shown]
	v_fmac_f64_e32 v[10:11], v[42:43], v[32:33]
	v_fmac_f64_e32 v[8:9], v[44:45], v[32:33]
	;; [unrolled: 1-line block ×4, first 2 shown]
	s_waitcnt lgkmcnt(2)
	v_fmac_f64_e32 v[10:11], v[50:51], v[34:35]
	v_fmac_f64_e32 v[8:9], v[52:53], v[34:35]
	s_waitcnt lgkmcnt(1)
	v_fmac_f64_e32 v[6:7], v[50:51], v[46:47]
	v_fmac_f64_e32 v[4:5], v[52:53], v[46:47]
	;; [unrolled: 3-line block ×3, first 2 shown]
	v_fmac_f64_e32 v[6:7], v[26:27], v[48:49]
	v_fmac_f64_e32 v[4:5], v[28:29], v[48:49]
	s_barrier
	s_cbranch_vccnz .LBB214_2
	s_branch .LBB214_4
.LBB214_3:
	v_mov_b64_e32 v[10:11], 0
	v_mov_b64_e32 v[8:9], 0
	;; [unrolled: 1-line block ×4, first 2 shown]
.LBB214_4:
	s_lshl_b64 s[8:9], s[40:41], 3
	s_waitcnt lgkmcnt(0)
	s_add_u32 s4, s4, s8
	s_addc_u32 s5, s5, s9
	v_lshl_add_u64 v[2:3], s[6:7], 0, v[2:3]
	v_cmp_neq_f64_e64 s[8:9], s[24:25], 0
	v_lshl_add_u64 v[0:1], s[2:3], 0, v[0:1]
	s_mov_b64 s[6:7], 0
	s_and_b64 vcc, exec, s[8:9]
	v_mul_lo_u32 v12, v3, s38
	v_mul_lo_u32 v13, v2, s39
	v_lshlrev_b64 v[0:1], 3, v[0:1]
	s_cbranch_vccnz .LBB214_8
; %bb.5:
	v_mad_u64_u32 v[14:15], s[2:3], v2, s38, 0
	v_add3_u32 v15, v15, v13, v12
	v_lshl_add_u64 v[14:15], v[14:15], 3, s[4:5]
	v_mul_f64 v[16:17], s[10:11], v[10:11]
	v_lshl_add_u64 v[18:19], v[14:15], 0, v[0:1]
	s_lshl_b64 s[2:3], s[38:39], 7
	flat_store_dwordx2 v[18:19], v[16:17]
	v_mul_f64 v[16:17], s[10:11], v[8:9]
	v_lshl_add_u64 v[14:15], v[14:15], 0, s[2:3]
	flat_store_dwordx2 v[18:19], v[16:17] offset:128
	v_mul_f64 v[16:17], s[10:11], v[6:7]
	v_lshl_add_u64 v[14:15], v[14:15], 0, v[0:1]
	flat_store_dwordx2 v[14:15], v[16:17]
	v_mul_f64 v[16:17], s[10:11], v[4:5]
	flat_store_dwordx2 v[14:15], v[16:17] offset:128
	s_andn2_b64 vcc, exec, s[6:7]
	s_cbranch_vccnz .LBB214_7
.LBB214_6:
	s_lshl_b64 s[2:3], s[30:31], 3
	s_add_u32 s0, s0, s2
	s_addc_u32 s1, s1, s3
	v_mul_lo_u32 v3, v3, s28
	v_mul_lo_u32 v16, v2, s29
	v_mad_u64_u32 v[14:15], s[2:3], v2, s28, 0
	v_add3_u32 v15, v15, v16, v3
	v_lshl_add_u64 v[14:15], v[14:15], 3, s[0:1]
	v_lshl_add_u64 v[16:17], v[14:15], 0, v[0:1]
	flat_load_dwordx2 v[18:19], v[16:17]
	v_mad_u64_u32 v[2:3], s[0:1], v2, s38, 0
	v_add3_u32 v3, v3, v13, v12
	v_lshl_add_u64 v[2:3], v[2:3], 3, s[4:5]
	v_lshl_add_u64 v[12:13], v[2:3], 0, v[0:1]
	s_lshl_b64 s[0:1], s[28:29], 7
	v_lshl_add_u64 v[14:15], v[14:15], 0, s[0:1]
	v_lshl_add_u64 v[14:15], v[14:15], 0, v[0:1]
	s_lshl_b64 s[0:1], s[38:39], 7
	v_lshl_add_u64 v[2:3], v[2:3], 0, s[0:1]
	v_lshl_add_u64 v[0:1], v[2:3], 0, v[0:1]
	s_waitcnt vmcnt(0) lgkmcnt(0)
	v_mul_f64 v[18:19], s[24:25], v[18:19]
	v_fmac_f64_e32 v[18:19], s[10:11], v[10:11]
	flat_store_dwordx2 v[12:13], v[18:19]
	flat_load_dwordx2 v[10:11], v[16:17] offset:128
	s_waitcnt vmcnt(0) lgkmcnt(0)
	v_mul_f64 v[10:11], s[24:25], v[10:11]
	v_fmac_f64_e32 v[10:11], s[10:11], v[8:9]
	flat_store_dwordx2 v[12:13], v[10:11] offset:128
	flat_load_dwordx2 v[8:9], v[14:15]
	s_waitcnt vmcnt(0) lgkmcnt(0)
	v_mul_f64 v[8:9], s[24:25], v[8:9]
	v_fmac_f64_e32 v[8:9], s[10:11], v[6:7]
	flat_store_dwordx2 v[0:1], v[8:9]
	flat_load_dwordx2 v[2:3], v[14:15] offset:128
	s_waitcnt vmcnt(0) lgkmcnt(0)
	v_mul_f64 v[2:3], s[24:25], v[2:3]
	v_fmac_f64_e32 v[2:3], s[10:11], v[4:5]
	flat_store_dwordx2 v[0:1], v[2:3] offset:128
.LBB214_7:
	s_endpgm
.LBB214_8:
	s_branch .LBB214_6
	.section	.rodata,"a",@progbits
	.p2align	6, 0x0
	.amdhsa_kernel _ZN12_GLOBAL__N_127rocblas_gemm_batched_kernelIdLi16ELi16ELi32ELi32ELi8ELi32ELi8ELi8ELi32ELc78ELc78EKPKdS3_KPdEEvlllT_PT11_llS8_llS6_PT12_llPT13_lli
		.amdhsa_group_segment_fixed_size 4096
		.amdhsa_private_segment_fixed_size 0
		.amdhsa_kernarg_size 140
		.amdhsa_user_sgpr_count 2
		.amdhsa_user_sgpr_dispatch_ptr 0
		.amdhsa_user_sgpr_queue_ptr 0
		.amdhsa_user_sgpr_kernarg_segment_ptr 1
		.amdhsa_user_sgpr_dispatch_id 0
		.amdhsa_user_sgpr_kernarg_preload_length 0
		.amdhsa_user_sgpr_kernarg_preload_offset 0
		.amdhsa_user_sgpr_private_segment_size 0
		.amdhsa_uses_dynamic_stack 0
		.amdhsa_enable_private_segment 0
		.amdhsa_system_sgpr_workgroup_id_x 1
		.amdhsa_system_sgpr_workgroup_id_y 1
		.amdhsa_system_sgpr_workgroup_id_z 1
		.amdhsa_system_sgpr_workgroup_info 0
		.amdhsa_system_vgpr_workitem_id 1
		.amdhsa_next_free_vgpr 62
		.amdhsa_next_free_sgpr 44
		.amdhsa_accum_offset 64
		.amdhsa_reserve_vcc 1
		.amdhsa_float_round_mode_32 0
		.amdhsa_float_round_mode_16_64 0
		.amdhsa_float_denorm_mode_32 3
		.amdhsa_float_denorm_mode_16_64 3
		.amdhsa_dx10_clamp 1
		.amdhsa_ieee_mode 1
		.amdhsa_fp16_overflow 0
		.amdhsa_tg_split 0
		.amdhsa_exception_fp_ieee_invalid_op 0
		.amdhsa_exception_fp_denorm_src 0
		.amdhsa_exception_fp_ieee_div_zero 0
		.amdhsa_exception_fp_ieee_overflow 0
		.amdhsa_exception_fp_ieee_underflow 0
		.amdhsa_exception_fp_ieee_inexact 0
		.amdhsa_exception_int_div_zero 0
	.end_amdhsa_kernel
	.section	.text._ZN12_GLOBAL__N_127rocblas_gemm_batched_kernelIdLi16ELi16ELi32ELi32ELi8ELi32ELi8ELi8ELi32ELc78ELc78EKPKdS3_KPdEEvlllT_PT11_llS8_llS6_PT12_llPT13_lli,"axG",@progbits,_ZN12_GLOBAL__N_127rocblas_gemm_batched_kernelIdLi16ELi16ELi32ELi32ELi8ELi32ELi8ELi8ELi32ELc78ELc78EKPKdS3_KPdEEvlllT_PT11_llS8_llS6_PT12_llPT13_lli,comdat
.Lfunc_end214:
	.size	_ZN12_GLOBAL__N_127rocblas_gemm_batched_kernelIdLi16ELi16ELi32ELi32ELi8ELi32ELi8ELi8ELi32ELc78ELc78EKPKdS3_KPdEEvlllT_PT11_llS8_llS6_PT12_llPT13_lli, .Lfunc_end214-_ZN12_GLOBAL__N_127rocblas_gemm_batched_kernelIdLi16ELi16ELi32ELi32ELi8ELi32ELi8ELi8ELi32ELc78ELc78EKPKdS3_KPdEEvlllT_PT11_llS8_llS6_PT12_llPT13_lli
                                        ; -- End function
	.set _ZN12_GLOBAL__N_127rocblas_gemm_batched_kernelIdLi16ELi16ELi32ELi32ELi8ELi32ELi8ELi8ELi32ELc78ELc78EKPKdS3_KPdEEvlllT_PT11_llS8_llS6_PT12_llPT13_lli.num_vgpr, 62
	.set _ZN12_GLOBAL__N_127rocblas_gemm_batched_kernelIdLi16ELi16ELi32ELi32ELi8ELi32ELi8ELi8ELi32ELc78ELc78EKPKdS3_KPdEEvlllT_PT11_llS8_llS6_PT12_llPT13_lli.num_agpr, 0
	.set _ZN12_GLOBAL__N_127rocblas_gemm_batched_kernelIdLi16ELi16ELi32ELi32ELi8ELi32ELi8ELi8ELi32ELc78ELc78EKPKdS3_KPdEEvlllT_PT11_llS8_llS6_PT12_llPT13_lli.numbered_sgpr, 44
	.set _ZN12_GLOBAL__N_127rocblas_gemm_batched_kernelIdLi16ELi16ELi32ELi32ELi8ELi32ELi8ELi8ELi32ELc78ELc78EKPKdS3_KPdEEvlllT_PT11_llS8_llS6_PT12_llPT13_lli.num_named_barrier, 0
	.set _ZN12_GLOBAL__N_127rocblas_gemm_batched_kernelIdLi16ELi16ELi32ELi32ELi8ELi32ELi8ELi8ELi32ELc78ELc78EKPKdS3_KPdEEvlllT_PT11_llS8_llS6_PT12_llPT13_lli.private_seg_size, 0
	.set _ZN12_GLOBAL__N_127rocblas_gemm_batched_kernelIdLi16ELi16ELi32ELi32ELi8ELi32ELi8ELi8ELi32ELc78ELc78EKPKdS3_KPdEEvlllT_PT11_llS8_llS6_PT12_llPT13_lli.uses_vcc, 1
	.set _ZN12_GLOBAL__N_127rocblas_gemm_batched_kernelIdLi16ELi16ELi32ELi32ELi8ELi32ELi8ELi8ELi32ELc78ELc78EKPKdS3_KPdEEvlllT_PT11_llS8_llS6_PT12_llPT13_lli.uses_flat_scratch, 0
	.set _ZN12_GLOBAL__N_127rocblas_gemm_batched_kernelIdLi16ELi16ELi32ELi32ELi8ELi32ELi8ELi8ELi32ELc78ELc78EKPKdS3_KPdEEvlllT_PT11_llS8_llS6_PT12_llPT13_lli.has_dyn_sized_stack, 0
	.set _ZN12_GLOBAL__N_127rocblas_gemm_batched_kernelIdLi16ELi16ELi32ELi32ELi8ELi32ELi8ELi8ELi32ELc78ELc78EKPKdS3_KPdEEvlllT_PT11_llS8_llS6_PT12_llPT13_lli.has_recursion, 0
	.set _ZN12_GLOBAL__N_127rocblas_gemm_batched_kernelIdLi16ELi16ELi32ELi32ELi8ELi32ELi8ELi8ELi32ELc78ELc78EKPKdS3_KPdEEvlllT_PT11_llS8_llS6_PT12_llPT13_lli.has_indirect_call, 0
	.section	.AMDGPU.csdata,"",@progbits
; Kernel info:
; codeLenInByte = 1276
; TotalNumSgprs: 50
; NumVgprs: 62
; NumAgprs: 0
; TotalNumVgprs: 62
; ScratchSize: 0
; MemoryBound: 0
; FloatMode: 240
; IeeeMode: 1
; LDSByteSize: 4096 bytes/workgroup (compile time only)
; SGPRBlocks: 6
; VGPRBlocks: 7
; NumSGPRsForWavesPerEU: 50
; NumVGPRsForWavesPerEU: 62
; AccumOffset: 64
; Occupancy: 8
; WaveLimiterHint : 1
; COMPUTE_PGM_RSRC2:SCRATCH_EN: 0
; COMPUTE_PGM_RSRC2:USER_SGPR: 2
; COMPUTE_PGM_RSRC2:TRAP_HANDLER: 0
; COMPUTE_PGM_RSRC2:TGID_X_EN: 1
; COMPUTE_PGM_RSRC2:TGID_Y_EN: 1
; COMPUTE_PGM_RSRC2:TGID_Z_EN: 1
; COMPUTE_PGM_RSRC2:TIDIG_COMP_CNT: 1
; COMPUTE_PGM_RSRC3_GFX90A:ACCUM_OFFSET: 15
; COMPUTE_PGM_RSRC3_GFX90A:TG_SPLIT: 0
	.section	.text._ZN12_GLOBAL__N_127rocblas_gemm_batched_kernelIdLi16ELi16ELi32ELi32ELi8ELi32ELi8ELi8ELi32ELc84ELc78EKPKdS3_KPdEEvlllT_PT11_llS8_llS6_PT12_llPT13_lli,"axG",@progbits,_ZN12_GLOBAL__N_127rocblas_gemm_batched_kernelIdLi16ELi16ELi32ELi32ELi8ELi32ELi8ELi8ELi32ELc84ELc78EKPKdS3_KPdEEvlllT_PT11_llS8_llS6_PT12_llPT13_lli,comdat
	.globl	_ZN12_GLOBAL__N_127rocblas_gemm_batched_kernelIdLi16ELi16ELi32ELi32ELi8ELi32ELi8ELi8ELi32ELc84ELc78EKPKdS3_KPdEEvlllT_PT11_llS8_llS6_PT12_llPT13_lli ; -- Begin function _ZN12_GLOBAL__N_127rocblas_gemm_batched_kernelIdLi16ELi16ELi32ELi32ELi8ELi32ELi8ELi8ELi32ELc84ELc78EKPKdS3_KPdEEvlllT_PT11_llS8_llS6_PT12_llPT13_lli
	.p2align	8
	.type	_ZN12_GLOBAL__N_127rocblas_gemm_batched_kernelIdLi16ELi16ELi32ELi32ELi8ELi32ELi8ELi8ELi32ELc84ELc78EKPKdS3_KPdEEvlllT_PT11_llS8_llS6_PT12_llPT13_lli,@function
_ZN12_GLOBAL__N_127rocblas_gemm_batched_kernelIdLi16ELi16ELi32ELi32ELi8ELi32ELi8ELi8ELi32ELc84ELc78EKPKdS3_KPdEEvlllT_PT11_llS8_llS6_PT12_llPT13_lli: ; @_ZN12_GLOBAL__N_127rocblas_gemm_batched_kernelIdLi16ELi16ELi32ELi32ELi8ELi32ELi8ELi8ELi32ELc84ELc78EKPKdS3_KPdEEvlllT_PT11_llS8_llS6_PT12_llPT13_lli
; %bb.0:
	s_load_dwordx16 s[8:23], s[0:1], 0x10
	s_load_dwordx8 s[36:43], s[0:1], 0x70
	s_load_dwordx8 s[24:31], s[0:1], 0x50
	s_mov_b32 s5, 0
	s_lshl_b64 s[34:35], s[4:5], 3
	s_mov_b32 s6, s3
	v_mov_b32_e32 v3, 0
	s_waitcnt lgkmcnt(0)
	s_add_u32 s0, s26, s34
	s_addc_u32 s1, s27, s35
	s_add_u32 s4, s36, s34
	s_addc_u32 s5, s37, s35
	s_load_dwordx2 s[0:1], s[0:1], 0x0
	s_ashr_i32 s3, s2, 31
	s_load_dwordx2 s[4:5], s[4:5], 0x0
	s_ashr_i32 s7, s6, 31
	v_cmp_lt_i64_e64 s[26:27], s[8:9], 1
	v_bfe_u32 v2, v0, 10, 10
	v_and_b32_e32 v4, 0x3ff, v0
	v_mov_b32_e32 v5, v3
	s_lshl_b64 s[2:3], s[2:3], 5
	s_lshl_b64 s[6:7], s[6:7], 5
	s_and_b64 vcc, exec, s[26:27]
	s_cbranch_vccnz .LBB215_3
; %bb.1:
	v_lshl_add_u32 v10, v2, 4, v4
	s_add_u32 s12, s12, s34
	v_lshrrev_b32_e32 v0, 3, v10
	v_mov_b32_e32 v1, v3
	v_and_b32_e32 v8, 31, v10
	s_addc_u32 s13, s13, s35
	v_lshl_add_u64 v[6:7], v[0:1], 0, s[6:7]
	v_and_b32_e32 v1, 7, v4
	v_lshrrev_b32_e32 v14, 5, v10
	v_lshlrev_b32_e32 v10, 3, v8
	s_add_u32 s18, s18, s34
	v_lshl_or_b32 v18, v14, 8, v10
	v_lshlrev_b32_e32 v10, 3, v1
	s_addc_u32 s19, s19, s35
	v_lshl_or_b32 v0, v0, 6, v10
	s_load_dwordx2 s[18:19], s[18:19], 0x0
	v_add_u32_e32 v19, 0x800, v0
	v_mov_b32_e32 v0, 0x800
	v_lshl_add_u32 v21, v2, 6, v0
	v_mul_lo_u32 v11, s21, v6
	v_mul_lo_u32 v7, s20, v7
	v_mad_u64_u32 v[0:1], s[20:21], s20, v6, 0
	v_add3_u32 v1, v1, v7, v11
	s_lshl_b64 s[20:21], s[22:23], 3
	v_lshl_add_u64 v[0:1], v[0:1], 3, s[20:21]
	v_mov_b32_e32 v11, v3
	v_mov_b32_e32 v9, v3
	v_lshl_add_u64 v[0:1], v[0:1], 0, v[10:11]
	s_load_dwordx2 s[12:13], s[12:13], 0x0
	s_waitcnt lgkmcnt(0)
	v_lshl_add_u64 v[12:13], s[18:19], 0, v[0:1]
	v_lshl_add_u64 v[0:1], s[2:3], 0, v[8:9]
	v_mul_lo_u32 v6, s15, v0
	v_mul_lo_u32 v7, s14, v1
	v_mad_u64_u32 v[0:1], s[14:15], s14, v0, 0
	v_add3_u32 v1, v1, v7, v6
	s_lshl_b64 s[14:15], s[16:17], 3
	v_lshl_add_u64 v[0:1], v[0:1], 3, s[14:15]
	v_lshlrev_b32_e32 v6, 3, v14
	v_mov_b32_e32 v7, v3
	v_lshl_add_u64 v[0:1], v[0:1], 0, v[6:7]
	v_lshlrev_b32_e32 v20, 3, v4
	v_lshl_add_u64 v[14:15], s[12:13], 0, v[0:1]
	s_mov_b64 s[12:13], 0
	v_mov_b64_e32 v[0:1], 0
	v_mov_b64_e32 v[16:17], s[8:9]
	;; [unrolled: 1-line block ×5, first 2 shown]
.LBB215_2:                              ; =>This Inner Loop Header: Depth=1
	flat_load_dwordx2 v[22:23], v[14:15]
	s_add_u32 s12, s12, 8
	s_addc_u32 s13, s13, 0
	v_cmp_lt_i64_e32 vcc, s[12:13], v[16:17]
	v_lshl_add_u64 v[14:15], v[14:15], 0, 64
	s_and_b64 vcc, exec, vcc
	s_waitcnt vmcnt(0) lgkmcnt(0)
	ds_write_b64 v18, v[22:23]
	flat_load_dwordx2 v[22:23], v[12:13]
	v_lshl_add_u64 v[12:13], v[12:13], 0, 64
	s_waitcnt vmcnt(0) lgkmcnt(0)
	ds_write_b64 v19, v[22:23]
	s_waitcnt lgkmcnt(0)
	s_barrier
	ds_read_b128 v[22:25], v21
	ds_read_b128 v[26:29], v21 offset:16
	ds_read_b128 v[30:33], v21 offset:32
	;; [unrolled: 1-line block ×3, first 2 shown]
	ds_read2_b64 v[38:41], v20 offset1:16
	ds_read2_b64 v[42:45], v20 offset0:32 offset1:48
	ds_read2_b64 v[46:49], v20 offset0:64 offset1:80
	ds_read_b128 v[50:53], v21 offset:1024
	ds_read_b128 v[54:57], v21 offset:1040
	ds_read2_b64 v[58:61], v20 offset0:96 offset1:112
	s_waitcnt lgkmcnt(5)
	v_fmac_f64_e32 v[10:11], v[38:39], v[22:23]
	v_fmac_f64_e32 v[8:9], v[40:41], v[22:23]
	s_waitcnt lgkmcnt(2)
	v_fmac_f64_e32 v[6:7], v[38:39], v[50:51]
	v_fmac_f64_e32 v[0:1], v[40:41], v[50:51]
	ds_read2_b64 v[38:41], v20 offset0:128 offset1:144
	v_fmac_f64_e32 v[10:11], v[42:43], v[24:25]
	v_fmac_f64_e32 v[8:9], v[44:45], v[24:25]
	ds_read_b128 v[22:25], v21 offset:1056
	v_fmac_f64_e32 v[6:7], v[42:43], v[52:53]
	v_fmac_f64_e32 v[0:1], v[44:45], v[52:53]
	ds_read2_b64 v[42:45], v20 offset0:160 offset1:176
	ds_read2_b64 v[50:53], v20 offset0:192 offset1:208
	v_fmac_f64_e32 v[10:11], v[46:47], v[26:27]
	v_fmac_f64_e32 v[8:9], v[48:49], v[26:27]
	s_waitcnt lgkmcnt(5)
	v_fmac_f64_e32 v[6:7], v[46:47], v[54:55]
	v_fmac_f64_e32 v[0:1], v[48:49], v[54:55]
	ds_read_b128 v[46:49], v21 offset:1072
	s_waitcnt lgkmcnt(5)
	v_fmac_f64_e32 v[10:11], v[58:59], v[28:29]
	v_fmac_f64_e32 v[8:9], v[60:61], v[28:29]
	ds_read2_b64 v[26:29], v20 offset0:224 offset1:240
	v_fmac_f64_e32 v[6:7], v[58:59], v[56:57]
	v_fmac_f64_e32 v[0:1], v[60:61], v[56:57]
	s_waitcnt lgkmcnt(5)
	v_fmac_f64_e32 v[10:11], v[38:39], v[30:31]
	v_fmac_f64_e32 v[8:9], v[40:41], v[30:31]
	s_waitcnt lgkmcnt(4)
	;; [unrolled: 3-line block ×3, first 2 shown]
	v_fmac_f64_e32 v[10:11], v[42:43], v[32:33]
	v_fmac_f64_e32 v[8:9], v[44:45], v[32:33]
	;; [unrolled: 1-line block ×4, first 2 shown]
	s_waitcnt lgkmcnt(2)
	v_fmac_f64_e32 v[10:11], v[50:51], v[34:35]
	v_fmac_f64_e32 v[8:9], v[52:53], v[34:35]
	s_waitcnt lgkmcnt(1)
	v_fmac_f64_e32 v[6:7], v[50:51], v[46:47]
	v_fmac_f64_e32 v[0:1], v[52:53], v[46:47]
	;; [unrolled: 3-line block ×3, first 2 shown]
	v_fmac_f64_e32 v[6:7], v[26:27], v[48:49]
	v_fmac_f64_e32 v[0:1], v[28:29], v[48:49]
	s_barrier
	s_cbranch_vccnz .LBB215_2
	s_branch .LBB215_4
.LBB215_3:
	v_mov_b64_e32 v[10:11], 0
	v_mov_b64_e32 v[8:9], 0
	v_mov_b64_e32 v[6:7], 0
	v_mov_b64_e32 v[0:1], 0
.LBB215_4:
	s_lshl_b64 s[8:9], s[40:41], 3
	s_waitcnt lgkmcnt(0)
	s_add_u32 s4, s4, s8
	s_addc_u32 s5, s5, s9
	v_lshl_add_u64 v[12:13], s[6:7], 0, v[2:3]
	v_cmp_neq_f64_e64 s[8:9], s[24:25], 0
	v_lshl_add_u64 v[2:3], s[2:3], 0, v[4:5]
	s_mov_b64 s[6:7], 0
	s_and_b64 vcc, exec, s[8:9]
	v_mul_lo_u32 v4, v13, s38
	v_mul_lo_u32 v5, v12, s39
	v_lshlrev_b64 v[2:3], 3, v[2:3]
	s_cbranch_vccnz .LBB215_8
; %bb.5:
	v_mad_u64_u32 v[14:15], s[2:3], v12, s38, 0
	v_add3_u32 v15, v15, v5, v4
	v_lshl_add_u64 v[14:15], v[14:15], 3, s[4:5]
	v_mul_f64 v[16:17], s[10:11], v[10:11]
	v_lshl_add_u64 v[18:19], v[14:15], 0, v[2:3]
	s_lshl_b64 s[2:3], s[38:39], 7
	flat_store_dwordx2 v[18:19], v[16:17]
	v_mul_f64 v[16:17], s[10:11], v[8:9]
	v_lshl_add_u64 v[14:15], v[14:15], 0, s[2:3]
	flat_store_dwordx2 v[18:19], v[16:17] offset:128
	v_mul_f64 v[16:17], s[10:11], v[6:7]
	v_lshl_add_u64 v[14:15], v[14:15], 0, v[2:3]
	flat_store_dwordx2 v[14:15], v[16:17]
	v_mul_f64 v[16:17], s[10:11], v[0:1]
	flat_store_dwordx2 v[14:15], v[16:17] offset:128
	s_andn2_b64 vcc, exec, s[6:7]
	s_cbranch_vccnz .LBB215_7
.LBB215_6:
	s_lshl_b64 s[2:3], s[30:31], 3
	s_add_u32 s0, s0, s2
	s_addc_u32 s1, s1, s3
	v_mul_lo_u32 v13, v13, s28
	v_mul_lo_u32 v16, v12, s29
	v_mad_u64_u32 v[14:15], s[2:3], v12, s28, 0
	v_add3_u32 v15, v15, v16, v13
	v_lshl_add_u64 v[14:15], v[14:15], 3, s[0:1]
	v_lshl_add_u64 v[16:17], v[14:15], 0, v[2:3]
	flat_load_dwordx2 v[18:19], v[16:17]
	v_mad_u64_u32 v[12:13], s[0:1], v12, s38, 0
	v_add3_u32 v13, v13, v5, v4
	v_lshl_add_u64 v[4:5], v[12:13], 3, s[4:5]
	v_lshl_add_u64 v[12:13], v[4:5], 0, v[2:3]
	s_lshl_b64 s[0:1], s[28:29], 7
	v_lshl_add_u64 v[14:15], v[14:15], 0, s[0:1]
	v_lshl_add_u64 v[14:15], v[14:15], 0, v[2:3]
	s_lshl_b64 s[0:1], s[38:39], 7
	v_lshl_add_u64 v[4:5], v[4:5], 0, s[0:1]
	v_lshl_add_u64 v[2:3], v[4:5], 0, v[2:3]
	s_waitcnt vmcnt(0) lgkmcnt(0)
	v_mul_f64 v[18:19], s[24:25], v[18:19]
	v_fmac_f64_e32 v[18:19], s[10:11], v[10:11]
	flat_store_dwordx2 v[12:13], v[18:19]
	flat_load_dwordx2 v[10:11], v[16:17] offset:128
	s_waitcnt vmcnt(0) lgkmcnt(0)
	v_mul_f64 v[10:11], s[24:25], v[10:11]
	v_fmac_f64_e32 v[10:11], s[10:11], v[8:9]
	flat_store_dwordx2 v[12:13], v[10:11] offset:128
	flat_load_dwordx2 v[8:9], v[14:15]
	s_waitcnt vmcnt(0) lgkmcnt(0)
	v_mul_f64 v[8:9], s[24:25], v[8:9]
	v_fmac_f64_e32 v[8:9], s[10:11], v[6:7]
	flat_store_dwordx2 v[2:3], v[8:9]
	flat_load_dwordx2 v[4:5], v[14:15] offset:128
	s_waitcnt vmcnt(0) lgkmcnt(0)
	v_mul_f64 v[4:5], s[24:25], v[4:5]
	v_fmac_f64_e32 v[4:5], s[10:11], v[0:1]
	flat_store_dwordx2 v[2:3], v[4:5] offset:128
.LBB215_7:
	s_endpgm
.LBB215_8:
	s_branch .LBB215_6
	.section	.rodata,"a",@progbits
	.p2align	6, 0x0
	.amdhsa_kernel _ZN12_GLOBAL__N_127rocblas_gemm_batched_kernelIdLi16ELi16ELi32ELi32ELi8ELi32ELi8ELi8ELi32ELc84ELc78EKPKdS3_KPdEEvlllT_PT11_llS8_llS6_PT12_llPT13_lli
		.amdhsa_group_segment_fixed_size 4096
		.amdhsa_private_segment_fixed_size 0
		.amdhsa_kernarg_size 140
		.amdhsa_user_sgpr_count 2
		.amdhsa_user_sgpr_dispatch_ptr 0
		.amdhsa_user_sgpr_queue_ptr 0
		.amdhsa_user_sgpr_kernarg_segment_ptr 1
		.amdhsa_user_sgpr_dispatch_id 0
		.amdhsa_user_sgpr_kernarg_preload_length 0
		.amdhsa_user_sgpr_kernarg_preload_offset 0
		.amdhsa_user_sgpr_private_segment_size 0
		.amdhsa_uses_dynamic_stack 0
		.amdhsa_enable_private_segment 0
		.amdhsa_system_sgpr_workgroup_id_x 1
		.amdhsa_system_sgpr_workgroup_id_y 1
		.amdhsa_system_sgpr_workgroup_id_z 1
		.amdhsa_system_sgpr_workgroup_info 0
		.amdhsa_system_vgpr_workitem_id 1
		.amdhsa_next_free_vgpr 62
		.amdhsa_next_free_sgpr 44
		.amdhsa_accum_offset 64
		.amdhsa_reserve_vcc 1
		.amdhsa_float_round_mode_32 0
		.amdhsa_float_round_mode_16_64 0
		.amdhsa_float_denorm_mode_32 3
		.amdhsa_float_denorm_mode_16_64 3
		.amdhsa_dx10_clamp 1
		.amdhsa_ieee_mode 1
		.amdhsa_fp16_overflow 0
		.amdhsa_tg_split 0
		.amdhsa_exception_fp_ieee_invalid_op 0
		.amdhsa_exception_fp_denorm_src 0
		.amdhsa_exception_fp_ieee_div_zero 0
		.amdhsa_exception_fp_ieee_overflow 0
		.amdhsa_exception_fp_ieee_underflow 0
		.amdhsa_exception_fp_ieee_inexact 0
		.amdhsa_exception_int_div_zero 0
	.end_amdhsa_kernel
	.section	.text._ZN12_GLOBAL__N_127rocblas_gemm_batched_kernelIdLi16ELi16ELi32ELi32ELi8ELi32ELi8ELi8ELi32ELc84ELc78EKPKdS3_KPdEEvlllT_PT11_llS8_llS6_PT12_llPT13_lli,"axG",@progbits,_ZN12_GLOBAL__N_127rocblas_gemm_batched_kernelIdLi16ELi16ELi32ELi32ELi8ELi32ELi8ELi8ELi32ELc84ELc78EKPKdS3_KPdEEvlllT_PT11_llS8_llS6_PT12_llPT13_lli,comdat
.Lfunc_end215:
	.size	_ZN12_GLOBAL__N_127rocblas_gemm_batched_kernelIdLi16ELi16ELi32ELi32ELi8ELi32ELi8ELi8ELi32ELc84ELc78EKPKdS3_KPdEEvlllT_PT11_llS8_llS6_PT12_llPT13_lli, .Lfunc_end215-_ZN12_GLOBAL__N_127rocblas_gemm_batched_kernelIdLi16ELi16ELi32ELi32ELi8ELi32ELi8ELi8ELi32ELc84ELc78EKPKdS3_KPdEEvlllT_PT11_llS8_llS6_PT12_llPT13_lli
                                        ; -- End function
	.set _ZN12_GLOBAL__N_127rocblas_gemm_batched_kernelIdLi16ELi16ELi32ELi32ELi8ELi32ELi8ELi8ELi32ELc84ELc78EKPKdS3_KPdEEvlllT_PT11_llS8_llS6_PT12_llPT13_lli.num_vgpr, 62
	.set _ZN12_GLOBAL__N_127rocblas_gemm_batched_kernelIdLi16ELi16ELi32ELi32ELi8ELi32ELi8ELi8ELi32ELc84ELc78EKPKdS3_KPdEEvlllT_PT11_llS8_llS6_PT12_llPT13_lli.num_agpr, 0
	.set _ZN12_GLOBAL__N_127rocblas_gemm_batched_kernelIdLi16ELi16ELi32ELi32ELi8ELi32ELi8ELi8ELi32ELc84ELc78EKPKdS3_KPdEEvlllT_PT11_llS8_llS6_PT12_llPT13_lli.numbered_sgpr, 44
	.set _ZN12_GLOBAL__N_127rocblas_gemm_batched_kernelIdLi16ELi16ELi32ELi32ELi8ELi32ELi8ELi8ELi32ELc84ELc78EKPKdS3_KPdEEvlllT_PT11_llS8_llS6_PT12_llPT13_lli.num_named_barrier, 0
	.set _ZN12_GLOBAL__N_127rocblas_gemm_batched_kernelIdLi16ELi16ELi32ELi32ELi8ELi32ELi8ELi8ELi32ELc84ELc78EKPKdS3_KPdEEvlllT_PT11_llS8_llS6_PT12_llPT13_lli.private_seg_size, 0
	.set _ZN12_GLOBAL__N_127rocblas_gemm_batched_kernelIdLi16ELi16ELi32ELi32ELi8ELi32ELi8ELi8ELi32ELc84ELc78EKPKdS3_KPdEEvlllT_PT11_llS8_llS6_PT12_llPT13_lli.uses_vcc, 1
	.set _ZN12_GLOBAL__N_127rocblas_gemm_batched_kernelIdLi16ELi16ELi32ELi32ELi8ELi32ELi8ELi8ELi32ELc84ELc78EKPKdS3_KPdEEvlllT_PT11_llS8_llS6_PT12_llPT13_lli.uses_flat_scratch, 0
	.set _ZN12_GLOBAL__N_127rocblas_gemm_batched_kernelIdLi16ELi16ELi32ELi32ELi8ELi32ELi8ELi8ELi32ELc84ELc78EKPKdS3_KPdEEvlllT_PT11_llS8_llS6_PT12_llPT13_lli.has_dyn_sized_stack, 0
	.set _ZN12_GLOBAL__N_127rocblas_gemm_batched_kernelIdLi16ELi16ELi32ELi32ELi8ELi32ELi8ELi8ELi32ELc84ELc78EKPKdS3_KPdEEvlllT_PT11_llS8_llS6_PT12_llPT13_lli.has_recursion, 0
	.set _ZN12_GLOBAL__N_127rocblas_gemm_batched_kernelIdLi16ELi16ELi32ELi32ELi8ELi32ELi8ELi8ELi32ELc84ELc78EKPKdS3_KPdEEvlllT_PT11_llS8_llS6_PT12_llPT13_lli.has_indirect_call, 0
	.section	.AMDGPU.csdata,"",@progbits
; Kernel info:
; codeLenInByte = 1292
; TotalNumSgprs: 50
; NumVgprs: 62
; NumAgprs: 0
; TotalNumVgprs: 62
; ScratchSize: 0
; MemoryBound: 0
; FloatMode: 240
; IeeeMode: 1
; LDSByteSize: 4096 bytes/workgroup (compile time only)
; SGPRBlocks: 6
; VGPRBlocks: 7
; NumSGPRsForWavesPerEU: 50
; NumVGPRsForWavesPerEU: 62
; AccumOffset: 64
; Occupancy: 8
; WaveLimiterHint : 1
; COMPUTE_PGM_RSRC2:SCRATCH_EN: 0
; COMPUTE_PGM_RSRC2:USER_SGPR: 2
; COMPUTE_PGM_RSRC2:TRAP_HANDLER: 0
; COMPUTE_PGM_RSRC2:TGID_X_EN: 1
; COMPUTE_PGM_RSRC2:TGID_Y_EN: 1
; COMPUTE_PGM_RSRC2:TGID_Z_EN: 1
; COMPUTE_PGM_RSRC2:TIDIG_COMP_CNT: 1
; COMPUTE_PGM_RSRC3_GFX90A:ACCUM_OFFSET: 15
; COMPUTE_PGM_RSRC3_GFX90A:TG_SPLIT: 0
	.section	.text._ZN12_GLOBAL__N_127rocblas_gemm_batched_kernelIdLi16ELi16ELi32ELi32ELi8ELi32ELi8ELi8ELi32ELc78ELc84EKPKdS3_KPdEEvlllT_PT11_llS8_llS6_PT12_llPT13_lli,"axG",@progbits,_ZN12_GLOBAL__N_127rocblas_gemm_batched_kernelIdLi16ELi16ELi32ELi32ELi8ELi32ELi8ELi8ELi32ELc78ELc84EKPKdS3_KPdEEvlllT_PT11_llS8_llS6_PT12_llPT13_lli,comdat
	.globl	_ZN12_GLOBAL__N_127rocblas_gemm_batched_kernelIdLi16ELi16ELi32ELi32ELi8ELi32ELi8ELi8ELi32ELc78ELc84EKPKdS3_KPdEEvlllT_PT11_llS8_llS6_PT12_llPT13_lli ; -- Begin function _ZN12_GLOBAL__N_127rocblas_gemm_batched_kernelIdLi16ELi16ELi32ELi32ELi8ELi32ELi8ELi8ELi32ELc78ELc84EKPKdS3_KPdEEvlllT_PT11_llS8_llS6_PT12_llPT13_lli
	.p2align	8
	.type	_ZN12_GLOBAL__N_127rocblas_gemm_batched_kernelIdLi16ELi16ELi32ELi32ELi8ELi32ELi8ELi8ELi32ELc78ELc84EKPKdS3_KPdEEvlllT_PT11_llS8_llS6_PT12_llPT13_lli,@function
_ZN12_GLOBAL__N_127rocblas_gemm_batched_kernelIdLi16ELi16ELi32ELi32ELi8ELi32ELi8ELi8ELi32ELc78ELc84EKPKdS3_KPdEEvlllT_PT11_llS8_llS6_PT12_llPT13_lli: ; @_ZN12_GLOBAL__N_127rocblas_gemm_batched_kernelIdLi16ELi16ELi32ELi32ELi8ELi32ELi8ELi8ELi32ELc78ELc84EKPKdS3_KPdEEvlllT_PT11_llS8_llS6_PT12_llPT13_lli
; %bb.0:
	s_load_dwordx16 s[8:23], s[0:1], 0x10
	s_load_dwordx8 s[36:43], s[0:1], 0x70
	s_load_dwordx8 s[24:31], s[0:1], 0x50
	s_mov_b32 s5, 0
	s_lshl_b64 s[34:35], s[4:5], 3
	s_mov_b32 s6, s3
	v_mov_b32_e32 v3, 0
	s_waitcnt lgkmcnt(0)
	s_add_u32 s0, s26, s34
	s_addc_u32 s1, s27, s35
	s_add_u32 s4, s36, s34
	s_addc_u32 s5, s37, s35
	s_load_dwordx2 s[0:1], s[0:1], 0x0
	s_ashr_i32 s3, s2, 31
	s_load_dwordx2 s[4:5], s[4:5], 0x0
	s_ashr_i32 s7, s6, 31
	v_cmp_lt_i64_e64 s[26:27], s[8:9], 1
	v_bfe_u32 v2, v0, 10, 10
	v_and_b32_e32 v0, 0x3ff, v0
	v_mov_b32_e32 v1, v3
	s_lshl_b64 s[2:3], s[2:3], 5
	s_lshl_b64 s[6:7], s[6:7], 5
	s_and_b64 vcc, exec, s[26:27]
	s_cbranch_vccnz .LBB216_3
; %bb.1:
	s_add_u32 s12, s12, s34
	s_addc_u32 s13, s13, s35
	v_lshl_add_u32 v8, v2, 4, v0
	s_load_dwordx2 s[26:27], s[12:13], 0x0
	s_add_u32 s12, s18, s34
	v_and_b32_e32 v6, 31, v8
	s_addc_u32 s13, s19, s35
	v_lshrrev_b32_e32 v4, 3, v8
	v_and_b32_e32 v9, 7, v0
	v_lshrrev_b32_e32 v10, 5, v8
	v_lshlrev_b32_e32 v8, 3, v6
	s_load_dwordx2 s[12:13], s[12:13], 0x0
	v_lshl_or_b32 v18, v10, 8, v8
	v_lshlrev_b32_e32 v8, 3, v9
	v_mov_b32_e32 v5, v3
	v_lshl_or_b32 v8, v4, 6, v8
	v_add_u32_e32 v19, 0x800, v8
	v_mov_b32_e32 v8, 0x800
	s_lshl_b64 s[18:19], s[22:23], 3
	v_mad_u64_u32 v[4:5], s[22:23], s20, v9, v[4:5]
	v_lshl_add_u32 v21, v2, 6, v8
	v_mov_b32_e32 v8, v5
	v_mad_u64_u32 v[8:9], s[22:23], s21, v9, v[8:9]
	v_mov_b32_e32 v5, v8
	s_waitcnt lgkmcnt(0)
	s_add_u32 s12, s12, s18
	v_lshl_add_u64 v[4:5], v[4:5], 0, s[6:7]
	s_addc_u32 s13, s13, s19
	v_lshl_add_u64 v[12:13], v[4:5], 3, s[12:13]
	v_mov_b64_e32 v[4:5], s[2:3]
	v_mad_u64_u32 v[4:5], s[18:19], s14, v10, v[4:5]
	v_mov_b32_e32 v8, v5
	s_lshl_b64 s[12:13], s[20:21], 6
	s_lshl_b64 s[16:17], s[16:17], 3
	v_mad_u64_u32 v[8:9], s[18:19], s15, v10, v[8:9]
	v_mov_b32_e32 v7, v3
	v_mov_b32_e32 v5, v8
	s_add_u32 s16, s26, s16
	v_lshl_add_u64 v[4:5], v[4:5], 0, v[6:7]
	s_addc_u32 s17, s27, s17
	v_lshlrev_b32_e32 v20, 3, v0
	v_lshl_add_u64 v[14:15], v[4:5], 3, s[16:17]
	s_lshl_b64 s[14:15], s[14:15], 6
	s_mov_b64 s[16:17], 0
	v_mov_b64_e32 v[4:5], 0
	v_mov_b64_e32 v[16:17], s[8:9]
	v_mov_b64_e32 v[6:7], 0
	v_mov_b64_e32 v[8:9], 0
	v_mov_b64_e32 v[10:11], 0
.LBB216_2:                              ; =>This Inner Loop Header: Depth=1
	flat_load_dwordx2 v[22:23], v[14:15]
	s_add_u32 s16, s16, 8
	s_addc_u32 s17, s17, 0
	v_cmp_lt_i64_e32 vcc, s[16:17], v[16:17]
	v_lshl_add_u64 v[14:15], v[14:15], 0, s[14:15]
	s_and_b64 vcc, exec, vcc
	s_waitcnt vmcnt(0) lgkmcnt(0)
	ds_write_b64 v18, v[22:23]
	flat_load_dwordx2 v[22:23], v[12:13]
	v_lshl_add_u64 v[12:13], v[12:13], 0, s[12:13]
	s_waitcnt vmcnt(0) lgkmcnt(0)
	ds_write_b64 v19, v[22:23]
	s_waitcnt lgkmcnt(0)
	s_barrier
	ds_read_b128 v[22:25], v21
	ds_read_b128 v[26:29], v21 offset:16
	ds_read_b128 v[30:33], v21 offset:32
	;; [unrolled: 1-line block ×3, first 2 shown]
	ds_read2_b64 v[38:41], v20 offset1:16
	ds_read2_b64 v[42:45], v20 offset0:32 offset1:48
	ds_read2_b64 v[46:49], v20 offset0:64 offset1:80
	ds_read_b128 v[50:53], v21 offset:1024
	ds_read_b128 v[54:57], v21 offset:1040
	ds_read2_b64 v[58:61], v20 offset0:96 offset1:112
	s_waitcnt lgkmcnt(5)
	v_fmac_f64_e32 v[10:11], v[38:39], v[22:23]
	v_fmac_f64_e32 v[8:9], v[40:41], v[22:23]
	s_waitcnt lgkmcnt(2)
	v_fmac_f64_e32 v[6:7], v[38:39], v[50:51]
	v_fmac_f64_e32 v[4:5], v[40:41], v[50:51]
	ds_read2_b64 v[38:41], v20 offset0:128 offset1:144
	v_fmac_f64_e32 v[10:11], v[42:43], v[24:25]
	v_fmac_f64_e32 v[8:9], v[44:45], v[24:25]
	ds_read_b128 v[22:25], v21 offset:1056
	v_fmac_f64_e32 v[6:7], v[42:43], v[52:53]
	v_fmac_f64_e32 v[4:5], v[44:45], v[52:53]
	ds_read2_b64 v[42:45], v20 offset0:160 offset1:176
	ds_read2_b64 v[50:53], v20 offset0:192 offset1:208
	v_fmac_f64_e32 v[10:11], v[46:47], v[26:27]
	v_fmac_f64_e32 v[8:9], v[48:49], v[26:27]
	s_waitcnt lgkmcnt(5)
	v_fmac_f64_e32 v[6:7], v[46:47], v[54:55]
	v_fmac_f64_e32 v[4:5], v[48:49], v[54:55]
	ds_read_b128 v[46:49], v21 offset:1072
	s_waitcnt lgkmcnt(5)
	v_fmac_f64_e32 v[10:11], v[58:59], v[28:29]
	v_fmac_f64_e32 v[8:9], v[60:61], v[28:29]
	ds_read2_b64 v[26:29], v20 offset0:224 offset1:240
	v_fmac_f64_e32 v[6:7], v[58:59], v[56:57]
	v_fmac_f64_e32 v[4:5], v[60:61], v[56:57]
	s_waitcnt lgkmcnt(5)
	v_fmac_f64_e32 v[10:11], v[38:39], v[30:31]
	v_fmac_f64_e32 v[8:9], v[40:41], v[30:31]
	s_waitcnt lgkmcnt(4)
	;; [unrolled: 3-line block ×3, first 2 shown]
	v_fmac_f64_e32 v[10:11], v[42:43], v[32:33]
	v_fmac_f64_e32 v[8:9], v[44:45], v[32:33]
	;; [unrolled: 1-line block ×4, first 2 shown]
	s_waitcnt lgkmcnt(2)
	v_fmac_f64_e32 v[10:11], v[50:51], v[34:35]
	v_fmac_f64_e32 v[8:9], v[52:53], v[34:35]
	s_waitcnt lgkmcnt(1)
	v_fmac_f64_e32 v[6:7], v[50:51], v[46:47]
	v_fmac_f64_e32 v[4:5], v[52:53], v[46:47]
	;; [unrolled: 3-line block ×3, first 2 shown]
	v_fmac_f64_e32 v[6:7], v[26:27], v[48:49]
	v_fmac_f64_e32 v[4:5], v[28:29], v[48:49]
	s_barrier
	s_cbranch_vccnz .LBB216_2
	s_branch .LBB216_4
.LBB216_3:
	v_mov_b64_e32 v[10:11], 0
	v_mov_b64_e32 v[8:9], 0
	;; [unrolled: 1-line block ×4, first 2 shown]
.LBB216_4:
	s_lshl_b64 s[8:9], s[40:41], 3
	s_waitcnt lgkmcnt(0)
	s_add_u32 s4, s4, s8
	s_addc_u32 s5, s5, s9
	v_lshl_add_u64 v[2:3], s[6:7], 0, v[2:3]
	v_cmp_neq_f64_e64 s[8:9], s[24:25], 0
	v_lshl_add_u64 v[0:1], s[2:3], 0, v[0:1]
	s_mov_b64 s[6:7], 0
	s_and_b64 vcc, exec, s[8:9]
	v_mul_lo_u32 v12, v3, s38
	v_mul_lo_u32 v13, v2, s39
	v_lshlrev_b64 v[0:1], 3, v[0:1]
	s_cbranch_vccnz .LBB216_8
; %bb.5:
	v_mad_u64_u32 v[14:15], s[2:3], v2, s38, 0
	v_add3_u32 v15, v15, v13, v12
	v_lshl_add_u64 v[14:15], v[14:15], 3, s[4:5]
	v_mul_f64 v[16:17], s[10:11], v[10:11]
	v_lshl_add_u64 v[18:19], v[14:15], 0, v[0:1]
	s_lshl_b64 s[2:3], s[38:39], 7
	flat_store_dwordx2 v[18:19], v[16:17]
	v_mul_f64 v[16:17], s[10:11], v[8:9]
	v_lshl_add_u64 v[14:15], v[14:15], 0, s[2:3]
	flat_store_dwordx2 v[18:19], v[16:17] offset:128
	v_mul_f64 v[16:17], s[10:11], v[6:7]
	v_lshl_add_u64 v[14:15], v[14:15], 0, v[0:1]
	flat_store_dwordx2 v[14:15], v[16:17]
	v_mul_f64 v[16:17], s[10:11], v[4:5]
	flat_store_dwordx2 v[14:15], v[16:17] offset:128
	s_andn2_b64 vcc, exec, s[6:7]
	s_cbranch_vccnz .LBB216_7
.LBB216_6:
	s_lshl_b64 s[2:3], s[30:31], 3
	s_add_u32 s0, s0, s2
	s_addc_u32 s1, s1, s3
	v_mul_lo_u32 v3, v3, s28
	v_mul_lo_u32 v16, v2, s29
	v_mad_u64_u32 v[14:15], s[2:3], v2, s28, 0
	v_add3_u32 v15, v15, v16, v3
	v_lshl_add_u64 v[14:15], v[14:15], 3, s[0:1]
	v_lshl_add_u64 v[16:17], v[14:15], 0, v[0:1]
	flat_load_dwordx2 v[18:19], v[16:17]
	v_mad_u64_u32 v[2:3], s[0:1], v2, s38, 0
	v_add3_u32 v3, v3, v13, v12
	v_lshl_add_u64 v[2:3], v[2:3], 3, s[4:5]
	v_lshl_add_u64 v[12:13], v[2:3], 0, v[0:1]
	s_lshl_b64 s[0:1], s[28:29], 7
	v_lshl_add_u64 v[14:15], v[14:15], 0, s[0:1]
	v_lshl_add_u64 v[14:15], v[14:15], 0, v[0:1]
	s_lshl_b64 s[0:1], s[38:39], 7
	v_lshl_add_u64 v[2:3], v[2:3], 0, s[0:1]
	v_lshl_add_u64 v[0:1], v[2:3], 0, v[0:1]
	s_waitcnt vmcnt(0) lgkmcnt(0)
	v_mul_f64 v[18:19], s[24:25], v[18:19]
	v_fmac_f64_e32 v[18:19], s[10:11], v[10:11]
	flat_store_dwordx2 v[12:13], v[18:19]
	flat_load_dwordx2 v[10:11], v[16:17] offset:128
	s_waitcnt vmcnt(0) lgkmcnt(0)
	v_mul_f64 v[10:11], s[24:25], v[10:11]
	v_fmac_f64_e32 v[10:11], s[10:11], v[8:9]
	flat_store_dwordx2 v[12:13], v[10:11] offset:128
	flat_load_dwordx2 v[8:9], v[14:15]
	s_waitcnt vmcnt(0) lgkmcnt(0)
	v_mul_f64 v[8:9], s[24:25], v[8:9]
	v_fmac_f64_e32 v[8:9], s[10:11], v[6:7]
	flat_store_dwordx2 v[0:1], v[8:9]
	flat_load_dwordx2 v[2:3], v[14:15] offset:128
	s_waitcnt vmcnt(0) lgkmcnt(0)
	v_mul_f64 v[2:3], s[24:25], v[2:3]
	v_fmac_f64_e32 v[2:3], s[10:11], v[4:5]
	flat_store_dwordx2 v[0:1], v[2:3] offset:128
.LBB216_7:
	s_endpgm
.LBB216_8:
	s_branch .LBB216_6
	.section	.rodata,"a",@progbits
	.p2align	6, 0x0
	.amdhsa_kernel _ZN12_GLOBAL__N_127rocblas_gemm_batched_kernelIdLi16ELi16ELi32ELi32ELi8ELi32ELi8ELi8ELi32ELc78ELc84EKPKdS3_KPdEEvlllT_PT11_llS8_llS6_PT12_llPT13_lli
		.amdhsa_group_segment_fixed_size 4096
		.amdhsa_private_segment_fixed_size 0
		.amdhsa_kernarg_size 140
		.amdhsa_user_sgpr_count 2
		.amdhsa_user_sgpr_dispatch_ptr 0
		.amdhsa_user_sgpr_queue_ptr 0
		.amdhsa_user_sgpr_kernarg_segment_ptr 1
		.amdhsa_user_sgpr_dispatch_id 0
		.amdhsa_user_sgpr_kernarg_preload_length 0
		.amdhsa_user_sgpr_kernarg_preload_offset 0
		.amdhsa_user_sgpr_private_segment_size 0
		.amdhsa_uses_dynamic_stack 0
		.amdhsa_enable_private_segment 0
		.amdhsa_system_sgpr_workgroup_id_x 1
		.amdhsa_system_sgpr_workgroup_id_y 1
		.amdhsa_system_sgpr_workgroup_id_z 1
		.amdhsa_system_sgpr_workgroup_info 0
		.amdhsa_system_vgpr_workitem_id 1
		.amdhsa_next_free_vgpr 62
		.amdhsa_next_free_sgpr 44
		.amdhsa_accum_offset 64
		.amdhsa_reserve_vcc 1
		.amdhsa_float_round_mode_32 0
		.amdhsa_float_round_mode_16_64 0
		.amdhsa_float_denorm_mode_32 3
		.amdhsa_float_denorm_mode_16_64 3
		.amdhsa_dx10_clamp 1
		.amdhsa_ieee_mode 1
		.amdhsa_fp16_overflow 0
		.amdhsa_tg_split 0
		.amdhsa_exception_fp_ieee_invalid_op 0
		.amdhsa_exception_fp_denorm_src 0
		.amdhsa_exception_fp_ieee_div_zero 0
		.amdhsa_exception_fp_ieee_overflow 0
		.amdhsa_exception_fp_ieee_underflow 0
		.amdhsa_exception_fp_ieee_inexact 0
		.amdhsa_exception_int_div_zero 0
	.end_amdhsa_kernel
	.section	.text._ZN12_GLOBAL__N_127rocblas_gemm_batched_kernelIdLi16ELi16ELi32ELi32ELi8ELi32ELi8ELi8ELi32ELc78ELc84EKPKdS3_KPdEEvlllT_PT11_llS8_llS6_PT12_llPT13_lli,"axG",@progbits,_ZN12_GLOBAL__N_127rocblas_gemm_batched_kernelIdLi16ELi16ELi32ELi32ELi8ELi32ELi8ELi8ELi32ELc78ELc84EKPKdS3_KPdEEvlllT_PT11_llS8_llS6_PT12_llPT13_lli,comdat
.Lfunc_end216:
	.size	_ZN12_GLOBAL__N_127rocblas_gemm_batched_kernelIdLi16ELi16ELi32ELi32ELi8ELi32ELi8ELi8ELi32ELc78ELc84EKPKdS3_KPdEEvlllT_PT11_llS8_llS6_PT12_llPT13_lli, .Lfunc_end216-_ZN12_GLOBAL__N_127rocblas_gemm_batched_kernelIdLi16ELi16ELi32ELi32ELi8ELi32ELi8ELi8ELi32ELc78ELc84EKPKdS3_KPdEEvlllT_PT11_llS8_llS6_PT12_llPT13_lli
                                        ; -- End function
	.set _ZN12_GLOBAL__N_127rocblas_gemm_batched_kernelIdLi16ELi16ELi32ELi32ELi8ELi32ELi8ELi8ELi32ELc78ELc84EKPKdS3_KPdEEvlllT_PT11_llS8_llS6_PT12_llPT13_lli.num_vgpr, 62
	.set _ZN12_GLOBAL__N_127rocblas_gemm_batched_kernelIdLi16ELi16ELi32ELi32ELi8ELi32ELi8ELi8ELi32ELc78ELc84EKPKdS3_KPdEEvlllT_PT11_llS8_llS6_PT12_llPT13_lli.num_agpr, 0
	.set _ZN12_GLOBAL__N_127rocblas_gemm_batched_kernelIdLi16ELi16ELi32ELi32ELi8ELi32ELi8ELi8ELi32ELc78ELc84EKPKdS3_KPdEEvlllT_PT11_llS8_llS6_PT12_llPT13_lli.numbered_sgpr, 44
	.set _ZN12_GLOBAL__N_127rocblas_gemm_batched_kernelIdLi16ELi16ELi32ELi32ELi8ELi32ELi8ELi8ELi32ELc78ELc84EKPKdS3_KPdEEvlllT_PT11_llS8_llS6_PT12_llPT13_lli.num_named_barrier, 0
	.set _ZN12_GLOBAL__N_127rocblas_gemm_batched_kernelIdLi16ELi16ELi32ELi32ELi8ELi32ELi8ELi8ELi32ELc78ELc84EKPKdS3_KPdEEvlllT_PT11_llS8_llS6_PT12_llPT13_lli.private_seg_size, 0
	.set _ZN12_GLOBAL__N_127rocblas_gemm_batched_kernelIdLi16ELi16ELi32ELi32ELi8ELi32ELi8ELi8ELi32ELc78ELc84EKPKdS3_KPdEEvlllT_PT11_llS8_llS6_PT12_llPT13_lli.uses_vcc, 1
	.set _ZN12_GLOBAL__N_127rocblas_gemm_batched_kernelIdLi16ELi16ELi32ELi32ELi8ELi32ELi8ELi8ELi32ELc78ELc84EKPKdS3_KPdEEvlllT_PT11_llS8_llS6_PT12_llPT13_lli.uses_flat_scratch, 0
	.set _ZN12_GLOBAL__N_127rocblas_gemm_batched_kernelIdLi16ELi16ELi32ELi32ELi8ELi32ELi8ELi8ELi32ELc78ELc84EKPKdS3_KPdEEvlllT_PT11_llS8_llS6_PT12_llPT13_lli.has_dyn_sized_stack, 0
	.set _ZN12_GLOBAL__N_127rocblas_gemm_batched_kernelIdLi16ELi16ELi32ELi32ELi8ELi32ELi8ELi8ELi32ELc78ELc84EKPKdS3_KPdEEvlllT_PT11_llS8_llS6_PT12_llPT13_lli.has_recursion, 0
	.set _ZN12_GLOBAL__N_127rocblas_gemm_batched_kernelIdLi16ELi16ELi32ELi32ELi8ELi32ELi8ELi8ELi32ELc78ELc84EKPKdS3_KPdEEvlllT_PT11_llS8_llS6_PT12_llPT13_lli.has_indirect_call, 0
	.section	.AMDGPU.csdata,"",@progbits
; Kernel info:
; codeLenInByte = 1260
; TotalNumSgprs: 50
; NumVgprs: 62
; NumAgprs: 0
; TotalNumVgprs: 62
; ScratchSize: 0
; MemoryBound: 0
; FloatMode: 240
; IeeeMode: 1
; LDSByteSize: 4096 bytes/workgroup (compile time only)
; SGPRBlocks: 6
; VGPRBlocks: 7
; NumSGPRsForWavesPerEU: 50
; NumVGPRsForWavesPerEU: 62
; AccumOffset: 64
; Occupancy: 8
; WaveLimiterHint : 1
; COMPUTE_PGM_RSRC2:SCRATCH_EN: 0
; COMPUTE_PGM_RSRC2:USER_SGPR: 2
; COMPUTE_PGM_RSRC2:TRAP_HANDLER: 0
; COMPUTE_PGM_RSRC2:TGID_X_EN: 1
; COMPUTE_PGM_RSRC2:TGID_Y_EN: 1
; COMPUTE_PGM_RSRC2:TGID_Z_EN: 1
; COMPUTE_PGM_RSRC2:TIDIG_COMP_CNT: 1
; COMPUTE_PGM_RSRC3_GFX90A:ACCUM_OFFSET: 15
; COMPUTE_PGM_RSRC3_GFX90A:TG_SPLIT: 0
	.section	.text._ZN12_GLOBAL__N_127rocblas_gemm_batched_kernelIdLi16ELi16ELi32ELi32ELi8ELi32ELi8ELi8ELi32ELc84ELc84EKPKdS3_KPdEEvlllT_PT11_llS8_llS6_PT12_llPT13_lli,"axG",@progbits,_ZN12_GLOBAL__N_127rocblas_gemm_batched_kernelIdLi16ELi16ELi32ELi32ELi8ELi32ELi8ELi8ELi32ELc84ELc84EKPKdS3_KPdEEvlllT_PT11_llS8_llS6_PT12_llPT13_lli,comdat
	.globl	_ZN12_GLOBAL__N_127rocblas_gemm_batched_kernelIdLi16ELi16ELi32ELi32ELi8ELi32ELi8ELi8ELi32ELc84ELc84EKPKdS3_KPdEEvlllT_PT11_llS8_llS6_PT12_llPT13_lli ; -- Begin function _ZN12_GLOBAL__N_127rocblas_gemm_batched_kernelIdLi16ELi16ELi32ELi32ELi8ELi32ELi8ELi8ELi32ELc84ELc84EKPKdS3_KPdEEvlllT_PT11_llS8_llS6_PT12_llPT13_lli
	.p2align	8
	.type	_ZN12_GLOBAL__N_127rocblas_gemm_batched_kernelIdLi16ELi16ELi32ELi32ELi8ELi32ELi8ELi8ELi32ELc84ELc84EKPKdS3_KPdEEvlllT_PT11_llS8_llS6_PT12_llPT13_lli,@function
_ZN12_GLOBAL__N_127rocblas_gemm_batched_kernelIdLi16ELi16ELi32ELi32ELi8ELi32ELi8ELi8ELi32ELc84ELc84EKPKdS3_KPdEEvlllT_PT11_llS8_llS6_PT12_llPT13_lli: ; @_ZN12_GLOBAL__N_127rocblas_gemm_batched_kernelIdLi16ELi16ELi32ELi32ELi8ELi32ELi8ELi8ELi32ELc84ELc84EKPKdS3_KPdEEvlllT_PT11_llS8_llS6_PT12_llPT13_lli
; %bb.0:
	s_load_dwordx16 s[8:23], s[0:1], 0x10
	s_load_dwordx8 s[36:43], s[0:1], 0x70
	s_load_dwordx8 s[24:31], s[0:1], 0x50
	s_mov_b32 s5, 0
	s_lshl_b64 s[34:35], s[4:5], 3
	s_mov_b32 s6, s3
	v_mov_b32_e32 v3, 0
	s_waitcnt lgkmcnt(0)
	s_add_u32 s0, s26, s34
	s_addc_u32 s1, s27, s35
	s_add_u32 s4, s36, s34
	s_addc_u32 s5, s37, s35
	s_load_dwordx2 s[0:1], s[0:1], 0x0
	s_ashr_i32 s3, s2, 31
	s_load_dwordx2 s[4:5], s[4:5], 0x0
	s_ashr_i32 s7, s6, 31
	v_cmp_lt_i64_e64 s[26:27], s[8:9], 1
	v_bfe_u32 v2, v0, 10, 10
	v_and_b32_e32 v0, 0x3ff, v0
	v_mov_b32_e32 v1, v3
	s_lshl_b64 s[2:3], s[2:3], 5
	s_lshl_b64 s[6:7], s[6:7], 5
	s_and_b64 vcc, exec, s[26:27]
	s_cbranch_vccnz .LBB217_3
; %bb.1:
	s_add_u32 s12, s12, s34
	s_addc_u32 s13, s13, s35
	v_lshl_add_u32 v8, v2, 4, v0
	s_load_dwordx2 s[26:27], s[12:13], 0x0
	s_add_u32 s12, s18, s34
	v_and_b32_e32 v6, 31, v8
	s_addc_u32 s13, s19, s35
	v_lshrrev_b32_e32 v4, 3, v8
	v_and_b32_e32 v9, 7, v0
	v_lshrrev_b32_e32 v10, 5, v8
	v_lshlrev_b32_e32 v8, 3, v6
	s_load_dwordx2 s[12:13], s[12:13], 0x0
	v_lshl_or_b32 v18, v10, 8, v8
	v_lshlrev_b32_e32 v8, 3, v9
	v_mov_b32_e32 v5, v3
	v_lshl_or_b32 v8, v4, 6, v8
	v_add_u32_e32 v19, 0x800, v8
	v_mov_b32_e32 v8, 0x800
	s_lshl_b64 s[18:19], s[22:23], 3
	v_mad_u64_u32 v[4:5], s[22:23], s20, v9, v[4:5]
	v_lshl_add_u32 v21, v2, 6, v8
	v_mov_b32_e32 v8, v5
	v_mad_u64_u32 v[8:9], s[22:23], s21, v9, v[8:9]
	v_mov_b32_e32 v5, v8
	s_waitcnt lgkmcnt(0)
	s_add_u32 s12, s12, s18
	v_mov_b32_e32 v7, v3
	v_lshl_add_u64 v[4:5], v[4:5], 0, s[6:7]
	s_addc_u32 s13, s13, s19
	v_lshl_add_u64 v[12:13], v[4:5], 3, s[12:13]
	v_lshl_add_u64 v[4:5], s[2:3], 0, v[6:7]
	v_mul_lo_u32 v6, s15, v4
	v_mul_lo_u32 v7, s14, v5
	v_mad_u64_u32 v[4:5], s[14:15], s14, v4, 0
	v_add3_u32 v5, v5, v7, v6
	s_lshl_b64 s[14:15], s[16:17], 3
	v_lshl_add_u64 v[4:5], v[4:5], 3, s[14:15]
	v_lshlrev_b32_e32 v6, 3, v10
	v_mov_b32_e32 v7, v3
	v_lshl_add_u64 v[4:5], v[4:5], 0, v[6:7]
	v_lshlrev_b32_e32 v20, 3, v0
	s_lshl_b64 s[12:13], s[20:21], 6
	v_lshl_add_u64 v[14:15], s[26:27], 0, v[4:5]
	s_mov_b64 s[14:15], 0
	v_mov_b64_e32 v[4:5], 0
	v_mov_b64_e32 v[16:17], s[8:9]
	;; [unrolled: 1-line block ×5, first 2 shown]
.LBB217_2:                              ; =>This Inner Loop Header: Depth=1
	flat_load_dwordx2 v[22:23], v[14:15]
	s_add_u32 s14, s14, 8
	s_addc_u32 s15, s15, 0
	v_cmp_lt_i64_e32 vcc, s[14:15], v[16:17]
	v_lshl_add_u64 v[14:15], v[14:15], 0, 64
	s_and_b64 vcc, exec, vcc
	s_waitcnt vmcnt(0) lgkmcnt(0)
	ds_write_b64 v18, v[22:23]
	flat_load_dwordx2 v[22:23], v[12:13]
	v_lshl_add_u64 v[12:13], v[12:13], 0, s[12:13]
	s_waitcnt vmcnt(0) lgkmcnt(0)
	ds_write_b64 v19, v[22:23]
	s_waitcnt lgkmcnt(0)
	s_barrier
	ds_read_b128 v[22:25], v21
	ds_read_b128 v[26:29], v21 offset:16
	ds_read_b128 v[30:33], v21 offset:32
	;; [unrolled: 1-line block ×3, first 2 shown]
	ds_read2_b64 v[38:41], v20 offset1:16
	ds_read2_b64 v[42:45], v20 offset0:32 offset1:48
	ds_read2_b64 v[46:49], v20 offset0:64 offset1:80
	ds_read_b128 v[50:53], v21 offset:1024
	ds_read_b128 v[54:57], v21 offset:1040
	ds_read2_b64 v[58:61], v20 offset0:96 offset1:112
	s_waitcnt lgkmcnt(5)
	v_fmac_f64_e32 v[10:11], v[38:39], v[22:23]
	v_fmac_f64_e32 v[8:9], v[40:41], v[22:23]
	s_waitcnt lgkmcnt(2)
	v_fmac_f64_e32 v[6:7], v[38:39], v[50:51]
	v_fmac_f64_e32 v[4:5], v[40:41], v[50:51]
	ds_read2_b64 v[38:41], v20 offset0:128 offset1:144
	v_fmac_f64_e32 v[10:11], v[42:43], v[24:25]
	v_fmac_f64_e32 v[8:9], v[44:45], v[24:25]
	ds_read_b128 v[22:25], v21 offset:1056
	v_fmac_f64_e32 v[6:7], v[42:43], v[52:53]
	v_fmac_f64_e32 v[4:5], v[44:45], v[52:53]
	ds_read2_b64 v[42:45], v20 offset0:160 offset1:176
	ds_read2_b64 v[50:53], v20 offset0:192 offset1:208
	v_fmac_f64_e32 v[10:11], v[46:47], v[26:27]
	v_fmac_f64_e32 v[8:9], v[48:49], v[26:27]
	s_waitcnt lgkmcnt(5)
	v_fmac_f64_e32 v[6:7], v[46:47], v[54:55]
	v_fmac_f64_e32 v[4:5], v[48:49], v[54:55]
	ds_read_b128 v[46:49], v21 offset:1072
	s_waitcnt lgkmcnt(5)
	v_fmac_f64_e32 v[10:11], v[58:59], v[28:29]
	v_fmac_f64_e32 v[8:9], v[60:61], v[28:29]
	ds_read2_b64 v[26:29], v20 offset0:224 offset1:240
	v_fmac_f64_e32 v[6:7], v[58:59], v[56:57]
	v_fmac_f64_e32 v[4:5], v[60:61], v[56:57]
	s_waitcnt lgkmcnt(5)
	v_fmac_f64_e32 v[10:11], v[38:39], v[30:31]
	v_fmac_f64_e32 v[8:9], v[40:41], v[30:31]
	s_waitcnt lgkmcnt(4)
	;; [unrolled: 3-line block ×3, first 2 shown]
	v_fmac_f64_e32 v[10:11], v[42:43], v[32:33]
	v_fmac_f64_e32 v[8:9], v[44:45], v[32:33]
	;; [unrolled: 1-line block ×4, first 2 shown]
	s_waitcnt lgkmcnt(2)
	v_fmac_f64_e32 v[10:11], v[50:51], v[34:35]
	v_fmac_f64_e32 v[8:9], v[52:53], v[34:35]
	s_waitcnt lgkmcnt(1)
	v_fmac_f64_e32 v[6:7], v[50:51], v[46:47]
	v_fmac_f64_e32 v[4:5], v[52:53], v[46:47]
	;; [unrolled: 3-line block ×3, first 2 shown]
	v_fmac_f64_e32 v[6:7], v[26:27], v[48:49]
	v_fmac_f64_e32 v[4:5], v[28:29], v[48:49]
	s_barrier
	s_cbranch_vccnz .LBB217_2
	s_branch .LBB217_4
.LBB217_3:
	v_mov_b64_e32 v[10:11], 0
	v_mov_b64_e32 v[8:9], 0
	;; [unrolled: 1-line block ×4, first 2 shown]
.LBB217_4:
	s_lshl_b64 s[8:9], s[40:41], 3
	s_waitcnt lgkmcnt(0)
	s_add_u32 s4, s4, s8
	s_addc_u32 s5, s5, s9
	v_lshl_add_u64 v[2:3], s[6:7], 0, v[2:3]
	v_cmp_neq_f64_e64 s[8:9], s[24:25], 0
	v_lshl_add_u64 v[0:1], s[2:3], 0, v[0:1]
	s_mov_b64 s[6:7], 0
	s_and_b64 vcc, exec, s[8:9]
	v_mul_lo_u32 v12, v3, s38
	v_mul_lo_u32 v13, v2, s39
	v_lshlrev_b64 v[0:1], 3, v[0:1]
	s_cbranch_vccnz .LBB217_8
; %bb.5:
	v_mad_u64_u32 v[14:15], s[2:3], v2, s38, 0
	v_add3_u32 v15, v15, v13, v12
	v_lshl_add_u64 v[14:15], v[14:15], 3, s[4:5]
	v_mul_f64 v[16:17], s[10:11], v[10:11]
	v_lshl_add_u64 v[18:19], v[14:15], 0, v[0:1]
	s_lshl_b64 s[2:3], s[38:39], 7
	flat_store_dwordx2 v[18:19], v[16:17]
	v_mul_f64 v[16:17], s[10:11], v[8:9]
	v_lshl_add_u64 v[14:15], v[14:15], 0, s[2:3]
	flat_store_dwordx2 v[18:19], v[16:17] offset:128
	v_mul_f64 v[16:17], s[10:11], v[6:7]
	v_lshl_add_u64 v[14:15], v[14:15], 0, v[0:1]
	flat_store_dwordx2 v[14:15], v[16:17]
	v_mul_f64 v[16:17], s[10:11], v[4:5]
	flat_store_dwordx2 v[14:15], v[16:17] offset:128
	s_andn2_b64 vcc, exec, s[6:7]
	s_cbranch_vccnz .LBB217_7
.LBB217_6:
	s_lshl_b64 s[2:3], s[30:31], 3
	s_add_u32 s0, s0, s2
	s_addc_u32 s1, s1, s3
	v_mul_lo_u32 v3, v3, s28
	v_mul_lo_u32 v16, v2, s29
	v_mad_u64_u32 v[14:15], s[2:3], v2, s28, 0
	v_add3_u32 v15, v15, v16, v3
	v_lshl_add_u64 v[14:15], v[14:15], 3, s[0:1]
	v_lshl_add_u64 v[16:17], v[14:15], 0, v[0:1]
	flat_load_dwordx2 v[18:19], v[16:17]
	v_mad_u64_u32 v[2:3], s[0:1], v2, s38, 0
	v_add3_u32 v3, v3, v13, v12
	v_lshl_add_u64 v[2:3], v[2:3], 3, s[4:5]
	v_lshl_add_u64 v[12:13], v[2:3], 0, v[0:1]
	s_lshl_b64 s[0:1], s[28:29], 7
	v_lshl_add_u64 v[14:15], v[14:15], 0, s[0:1]
	v_lshl_add_u64 v[14:15], v[14:15], 0, v[0:1]
	s_lshl_b64 s[0:1], s[38:39], 7
	v_lshl_add_u64 v[2:3], v[2:3], 0, s[0:1]
	v_lshl_add_u64 v[0:1], v[2:3], 0, v[0:1]
	s_waitcnt vmcnt(0) lgkmcnt(0)
	v_mul_f64 v[18:19], s[24:25], v[18:19]
	v_fmac_f64_e32 v[18:19], s[10:11], v[10:11]
	flat_store_dwordx2 v[12:13], v[18:19]
	flat_load_dwordx2 v[10:11], v[16:17] offset:128
	s_waitcnt vmcnt(0) lgkmcnt(0)
	v_mul_f64 v[10:11], s[24:25], v[10:11]
	v_fmac_f64_e32 v[10:11], s[10:11], v[8:9]
	flat_store_dwordx2 v[12:13], v[10:11] offset:128
	flat_load_dwordx2 v[8:9], v[14:15]
	s_waitcnt vmcnt(0) lgkmcnt(0)
	v_mul_f64 v[8:9], s[24:25], v[8:9]
	v_fmac_f64_e32 v[8:9], s[10:11], v[6:7]
	flat_store_dwordx2 v[0:1], v[8:9]
	flat_load_dwordx2 v[2:3], v[14:15] offset:128
	s_waitcnt vmcnt(0) lgkmcnt(0)
	v_mul_f64 v[2:3], s[24:25], v[2:3]
	v_fmac_f64_e32 v[2:3], s[10:11], v[4:5]
	flat_store_dwordx2 v[0:1], v[2:3] offset:128
.LBB217_7:
	s_endpgm
.LBB217_8:
	s_branch .LBB217_6
	.section	.rodata,"a",@progbits
	.p2align	6, 0x0
	.amdhsa_kernel _ZN12_GLOBAL__N_127rocblas_gemm_batched_kernelIdLi16ELi16ELi32ELi32ELi8ELi32ELi8ELi8ELi32ELc84ELc84EKPKdS3_KPdEEvlllT_PT11_llS8_llS6_PT12_llPT13_lli
		.amdhsa_group_segment_fixed_size 4096
		.amdhsa_private_segment_fixed_size 0
		.amdhsa_kernarg_size 140
		.amdhsa_user_sgpr_count 2
		.amdhsa_user_sgpr_dispatch_ptr 0
		.amdhsa_user_sgpr_queue_ptr 0
		.amdhsa_user_sgpr_kernarg_segment_ptr 1
		.amdhsa_user_sgpr_dispatch_id 0
		.amdhsa_user_sgpr_kernarg_preload_length 0
		.amdhsa_user_sgpr_kernarg_preload_offset 0
		.amdhsa_user_sgpr_private_segment_size 0
		.amdhsa_uses_dynamic_stack 0
		.amdhsa_enable_private_segment 0
		.amdhsa_system_sgpr_workgroup_id_x 1
		.amdhsa_system_sgpr_workgroup_id_y 1
		.amdhsa_system_sgpr_workgroup_id_z 1
		.amdhsa_system_sgpr_workgroup_info 0
		.amdhsa_system_vgpr_workitem_id 1
		.amdhsa_next_free_vgpr 62
		.amdhsa_next_free_sgpr 44
		.amdhsa_accum_offset 64
		.amdhsa_reserve_vcc 1
		.amdhsa_float_round_mode_32 0
		.amdhsa_float_round_mode_16_64 0
		.amdhsa_float_denorm_mode_32 3
		.amdhsa_float_denorm_mode_16_64 3
		.amdhsa_dx10_clamp 1
		.amdhsa_ieee_mode 1
		.amdhsa_fp16_overflow 0
		.amdhsa_tg_split 0
		.amdhsa_exception_fp_ieee_invalid_op 0
		.amdhsa_exception_fp_denorm_src 0
		.amdhsa_exception_fp_ieee_div_zero 0
		.amdhsa_exception_fp_ieee_overflow 0
		.amdhsa_exception_fp_ieee_underflow 0
		.amdhsa_exception_fp_ieee_inexact 0
		.amdhsa_exception_int_div_zero 0
	.end_amdhsa_kernel
	.section	.text._ZN12_GLOBAL__N_127rocblas_gemm_batched_kernelIdLi16ELi16ELi32ELi32ELi8ELi32ELi8ELi8ELi32ELc84ELc84EKPKdS3_KPdEEvlllT_PT11_llS8_llS6_PT12_llPT13_lli,"axG",@progbits,_ZN12_GLOBAL__N_127rocblas_gemm_batched_kernelIdLi16ELi16ELi32ELi32ELi8ELi32ELi8ELi8ELi32ELc84ELc84EKPKdS3_KPdEEvlllT_PT11_llS8_llS6_PT12_llPT13_lli,comdat
.Lfunc_end217:
	.size	_ZN12_GLOBAL__N_127rocblas_gemm_batched_kernelIdLi16ELi16ELi32ELi32ELi8ELi32ELi8ELi8ELi32ELc84ELc84EKPKdS3_KPdEEvlllT_PT11_llS8_llS6_PT12_llPT13_lli, .Lfunc_end217-_ZN12_GLOBAL__N_127rocblas_gemm_batched_kernelIdLi16ELi16ELi32ELi32ELi8ELi32ELi8ELi8ELi32ELc84ELc84EKPKdS3_KPdEEvlllT_PT11_llS8_llS6_PT12_llPT13_lli
                                        ; -- End function
	.set _ZN12_GLOBAL__N_127rocblas_gemm_batched_kernelIdLi16ELi16ELi32ELi32ELi8ELi32ELi8ELi8ELi32ELc84ELc84EKPKdS3_KPdEEvlllT_PT11_llS8_llS6_PT12_llPT13_lli.num_vgpr, 62
	.set _ZN12_GLOBAL__N_127rocblas_gemm_batched_kernelIdLi16ELi16ELi32ELi32ELi8ELi32ELi8ELi8ELi32ELc84ELc84EKPKdS3_KPdEEvlllT_PT11_llS8_llS6_PT12_llPT13_lli.num_agpr, 0
	.set _ZN12_GLOBAL__N_127rocblas_gemm_batched_kernelIdLi16ELi16ELi32ELi32ELi8ELi32ELi8ELi8ELi32ELc84ELc84EKPKdS3_KPdEEvlllT_PT11_llS8_llS6_PT12_llPT13_lli.numbered_sgpr, 44
	.set _ZN12_GLOBAL__N_127rocblas_gemm_batched_kernelIdLi16ELi16ELi32ELi32ELi8ELi32ELi8ELi8ELi32ELc84ELc84EKPKdS3_KPdEEvlllT_PT11_llS8_llS6_PT12_llPT13_lli.num_named_barrier, 0
	.set _ZN12_GLOBAL__N_127rocblas_gemm_batched_kernelIdLi16ELi16ELi32ELi32ELi8ELi32ELi8ELi8ELi32ELc84ELc84EKPKdS3_KPdEEvlllT_PT11_llS8_llS6_PT12_llPT13_lli.private_seg_size, 0
	.set _ZN12_GLOBAL__N_127rocblas_gemm_batched_kernelIdLi16ELi16ELi32ELi32ELi8ELi32ELi8ELi8ELi32ELc84ELc84EKPKdS3_KPdEEvlllT_PT11_llS8_llS6_PT12_llPT13_lli.uses_vcc, 1
	.set _ZN12_GLOBAL__N_127rocblas_gemm_batched_kernelIdLi16ELi16ELi32ELi32ELi8ELi32ELi8ELi8ELi32ELc84ELc84EKPKdS3_KPdEEvlllT_PT11_llS8_llS6_PT12_llPT13_lli.uses_flat_scratch, 0
	.set _ZN12_GLOBAL__N_127rocblas_gemm_batched_kernelIdLi16ELi16ELi32ELi32ELi8ELi32ELi8ELi8ELi32ELc84ELc84EKPKdS3_KPdEEvlllT_PT11_llS8_llS6_PT12_llPT13_lli.has_dyn_sized_stack, 0
	.set _ZN12_GLOBAL__N_127rocblas_gemm_batched_kernelIdLi16ELi16ELi32ELi32ELi8ELi32ELi8ELi8ELi32ELc84ELc84EKPKdS3_KPdEEvlllT_PT11_llS8_llS6_PT12_llPT13_lli.has_recursion, 0
	.set _ZN12_GLOBAL__N_127rocblas_gemm_batched_kernelIdLi16ELi16ELi32ELi32ELi8ELi32ELi8ELi8ELi32ELc84ELc84EKPKdS3_KPdEEvlllT_PT11_llS8_llS6_PT12_llPT13_lli.has_indirect_call, 0
	.section	.AMDGPU.csdata,"",@progbits
; Kernel info:
; codeLenInByte = 1276
; TotalNumSgprs: 50
; NumVgprs: 62
; NumAgprs: 0
; TotalNumVgprs: 62
; ScratchSize: 0
; MemoryBound: 0
; FloatMode: 240
; IeeeMode: 1
; LDSByteSize: 4096 bytes/workgroup (compile time only)
; SGPRBlocks: 6
; VGPRBlocks: 7
; NumSGPRsForWavesPerEU: 50
; NumVGPRsForWavesPerEU: 62
; AccumOffset: 64
; Occupancy: 8
; WaveLimiterHint : 1
; COMPUTE_PGM_RSRC2:SCRATCH_EN: 0
; COMPUTE_PGM_RSRC2:USER_SGPR: 2
; COMPUTE_PGM_RSRC2:TRAP_HANDLER: 0
; COMPUTE_PGM_RSRC2:TGID_X_EN: 1
; COMPUTE_PGM_RSRC2:TGID_Y_EN: 1
; COMPUTE_PGM_RSRC2:TGID_Z_EN: 1
; COMPUTE_PGM_RSRC2:TIDIG_COMP_CNT: 1
; COMPUTE_PGM_RSRC3_GFX90A:ACCUM_OFFSET: 15
; COMPUTE_PGM_RSRC3_GFX90A:TG_SPLIT: 0
	.section	.text._ZN12_GLOBAL__N_127rocblas_gemm_batched_kernelIdLi16ELi16ELi32ELi32ELi8ELi32ELi8ELi8ELi32ELc67ELc67EKPKdS3_KPdEEvlllT_PT11_llS8_llS6_PT12_llPT13_lli,"axG",@progbits,_ZN12_GLOBAL__N_127rocblas_gemm_batched_kernelIdLi16ELi16ELi32ELi32ELi8ELi32ELi8ELi8ELi32ELc67ELc67EKPKdS3_KPdEEvlllT_PT11_llS8_llS6_PT12_llPT13_lli,comdat
	.globl	_ZN12_GLOBAL__N_127rocblas_gemm_batched_kernelIdLi16ELi16ELi32ELi32ELi8ELi32ELi8ELi8ELi32ELc67ELc67EKPKdS3_KPdEEvlllT_PT11_llS8_llS6_PT12_llPT13_lli ; -- Begin function _ZN12_GLOBAL__N_127rocblas_gemm_batched_kernelIdLi16ELi16ELi32ELi32ELi8ELi32ELi8ELi8ELi32ELc67ELc67EKPKdS3_KPdEEvlllT_PT11_llS8_llS6_PT12_llPT13_lli
	.p2align	8
	.type	_ZN12_GLOBAL__N_127rocblas_gemm_batched_kernelIdLi16ELi16ELi32ELi32ELi8ELi32ELi8ELi8ELi32ELc67ELc67EKPKdS3_KPdEEvlllT_PT11_llS8_llS6_PT12_llPT13_lli,@function
_ZN12_GLOBAL__N_127rocblas_gemm_batched_kernelIdLi16ELi16ELi32ELi32ELi8ELi32ELi8ELi8ELi32ELc67ELc67EKPKdS3_KPdEEvlllT_PT11_llS8_llS6_PT12_llPT13_lli: ; @_ZN12_GLOBAL__N_127rocblas_gemm_batched_kernelIdLi16ELi16ELi32ELi32ELi8ELi32ELi8ELi8ELi32ELc67ELc67EKPKdS3_KPdEEvlllT_PT11_llS8_llS6_PT12_llPT13_lli
; %bb.0:
	s_load_dwordx16 s[8:23], s[0:1], 0x10
	s_load_dwordx8 s[36:43], s[0:1], 0x70
	s_load_dwordx8 s[24:31], s[0:1], 0x50
	s_mov_b32 s5, 0
	s_lshl_b64 s[34:35], s[4:5], 3
	s_mov_b32 s6, s3
	v_mov_b32_e32 v3, 0
	s_waitcnt lgkmcnt(0)
	s_add_u32 s0, s26, s34
	s_addc_u32 s1, s27, s35
	s_add_u32 s4, s36, s34
	s_addc_u32 s5, s37, s35
	s_load_dwordx2 s[0:1], s[0:1], 0x0
	s_ashr_i32 s3, s2, 31
	s_load_dwordx2 s[4:5], s[4:5], 0x0
	s_ashr_i32 s7, s6, 31
	v_cmp_lt_i64_e64 s[26:27], s[8:9], 1
	v_bfe_u32 v2, v0, 10, 10
	v_and_b32_e32 v0, 0x3ff, v0
	v_mov_b32_e32 v1, v3
	s_lshl_b64 s[2:3], s[2:3], 5
	s_lshl_b64 s[6:7], s[6:7], 5
	s_and_b64 vcc, exec, s[26:27]
	s_cbranch_vccnz .LBB218_3
; %bb.1:
	s_add_u32 s12, s12, s34
	s_addc_u32 s13, s13, s35
	v_lshl_add_u32 v8, v2, 4, v0
	s_load_dwordx2 s[26:27], s[12:13], 0x0
	s_add_u32 s12, s18, s34
	v_and_b32_e32 v6, 31, v8
	s_addc_u32 s13, s19, s35
	v_lshrrev_b32_e32 v4, 3, v8
	v_and_b32_e32 v9, 7, v0
	v_lshrrev_b32_e32 v10, 5, v8
	v_lshlrev_b32_e32 v8, 3, v6
	s_load_dwordx2 s[12:13], s[12:13], 0x0
	v_lshl_or_b32 v18, v10, 8, v8
	v_lshlrev_b32_e32 v8, 3, v9
	v_mov_b32_e32 v5, v3
	v_lshl_or_b32 v8, v4, 6, v8
	v_add_u32_e32 v19, 0x800, v8
	v_mov_b32_e32 v8, 0x800
	s_lshl_b64 s[18:19], s[22:23], 3
	v_mad_u64_u32 v[4:5], s[22:23], s20, v9, v[4:5]
	v_lshl_add_u32 v21, v2, 6, v8
	v_mov_b32_e32 v8, v5
	v_mad_u64_u32 v[8:9], s[22:23], s21, v9, v[8:9]
	v_mov_b32_e32 v5, v8
	s_waitcnt lgkmcnt(0)
	s_add_u32 s12, s12, s18
	v_mov_b32_e32 v7, v3
	v_lshl_add_u64 v[4:5], v[4:5], 0, s[6:7]
	s_addc_u32 s13, s13, s19
	v_lshl_add_u64 v[12:13], v[4:5], 3, s[12:13]
	v_lshl_add_u64 v[4:5], s[2:3], 0, v[6:7]
	v_mul_lo_u32 v6, s15, v4
	v_mul_lo_u32 v7, s14, v5
	v_mad_u64_u32 v[4:5], s[14:15], s14, v4, 0
	v_add3_u32 v5, v5, v7, v6
	s_lshl_b64 s[14:15], s[16:17], 3
	v_lshl_add_u64 v[4:5], v[4:5], 3, s[14:15]
	v_lshlrev_b32_e32 v6, 3, v10
	v_mov_b32_e32 v7, v3
	v_lshl_add_u64 v[4:5], v[4:5], 0, v[6:7]
	v_lshlrev_b32_e32 v20, 3, v0
	s_lshl_b64 s[12:13], s[20:21], 6
	v_lshl_add_u64 v[14:15], s[26:27], 0, v[4:5]
	s_mov_b64 s[14:15], 0
	v_mov_b64_e32 v[4:5], 0
	v_mov_b64_e32 v[16:17], s[8:9]
	;; [unrolled: 1-line block ×5, first 2 shown]
.LBB218_2:                              ; =>This Inner Loop Header: Depth=1
	flat_load_dwordx2 v[22:23], v[14:15]
	s_add_u32 s14, s14, 8
	s_addc_u32 s15, s15, 0
	v_cmp_lt_i64_e32 vcc, s[14:15], v[16:17]
	v_lshl_add_u64 v[14:15], v[14:15], 0, 64
	s_and_b64 vcc, exec, vcc
	s_waitcnt vmcnt(0) lgkmcnt(0)
	ds_write_b64 v18, v[22:23]
	flat_load_dwordx2 v[22:23], v[12:13]
	v_lshl_add_u64 v[12:13], v[12:13], 0, s[12:13]
	s_waitcnt vmcnt(0) lgkmcnt(0)
	ds_write_b64 v19, v[22:23]
	s_waitcnt lgkmcnt(0)
	s_barrier
	ds_read_b128 v[22:25], v21
	ds_read_b128 v[26:29], v21 offset:16
	ds_read_b128 v[30:33], v21 offset:32
	;; [unrolled: 1-line block ×3, first 2 shown]
	ds_read2_b64 v[38:41], v20 offset1:16
	ds_read2_b64 v[42:45], v20 offset0:32 offset1:48
	ds_read2_b64 v[46:49], v20 offset0:64 offset1:80
	ds_read_b128 v[50:53], v21 offset:1024
	ds_read_b128 v[54:57], v21 offset:1040
	ds_read2_b64 v[58:61], v20 offset0:96 offset1:112
	s_waitcnt lgkmcnt(5)
	v_fmac_f64_e32 v[10:11], v[38:39], v[22:23]
	v_fmac_f64_e32 v[8:9], v[40:41], v[22:23]
	s_waitcnt lgkmcnt(2)
	v_fmac_f64_e32 v[6:7], v[38:39], v[50:51]
	v_fmac_f64_e32 v[4:5], v[40:41], v[50:51]
	ds_read2_b64 v[38:41], v20 offset0:128 offset1:144
	v_fmac_f64_e32 v[10:11], v[42:43], v[24:25]
	v_fmac_f64_e32 v[8:9], v[44:45], v[24:25]
	ds_read_b128 v[22:25], v21 offset:1056
	v_fmac_f64_e32 v[6:7], v[42:43], v[52:53]
	v_fmac_f64_e32 v[4:5], v[44:45], v[52:53]
	ds_read2_b64 v[42:45], v20 offset0:160 offset1:176
	ds_read2_b64 v[50:53], v20 offset0:192 offset1:208
	v_fmac_f64_e32 v[10:11], v[46:47], v[26:27]
	v_fmac_f64_e32 v[8:9], v[48:49], v[26:27]
	s_waitcnt lgkmcnt(5)
	v_fmac_f64_e32 v[6:7], v[46:47], v[54:55]
	v_fmac_f64_e32 v[4:5], v[48:49], v[54:55]
	ds_read_b128 v[46:49], v21 offset:1072
	s_waitcnt lgkmcnt(5)
	v_fmac_f64_e32 v[10:11], v[58:59], v[28:29]
	v_fmac_f64_e32 v[8:9], v[60:61], v[28:29]
	ds_read2_b64 v[26:29], v20 offset0:224 offset1:240
	v_fmac_f64_e32 v[6:7], v[58:59], v[56:57]
	v_fmac_f64_e32 v[4:5], v[60:61], v[56:57]
	s_waitcnt lgkmcnt(5)
	v_fmac_f64_e32 v[10:11], v[38:39], v[30:31]
	v_fmac_f64_e32 v[8:9], v[40:41], v[30:31]
	s_waitcnt lgkmcnt(4)
	;; [unrolled: 3-line block ×3, first 2 shown]
	v_fmac_f64_e32 v[10:11], v[42:43], v[32:33]
	v_fmac_f64_e32 v[8:9], v[44:45], v[32:33]
	;; [unrolled: 1-line block ×4, first 2 shown]
	s_waitcnt lgkmcnt(2)
	v_fmac_f64_e32 v[10:11], v[50:51], v[34:35]
	v_fmac_f64_e32 v[8:9], v[52:53], v[34:35]
	s_waitcnt lgkmcnt(1)
	v_fmac_f64_e32 v[6:7], v[50:51], v[46:47]
	v_fmac_f64_e32 v[4:5], v[52:53], v[46:47]
	;; [unrolled: 3-line block ×3, first 2 shown]
	v_fmac_f64_e32 v[6:7], v[26:27], v[48:49]
	v_fmac_f64_e32 v[4:5], v[28:29], v[48:49]
	s_barrier
	s_cbranch_vccnz .LBB218_2
	s_branch .LBB218_4
.LBB218_3:
	v_mov_b64_e32 v[10:11], 0
	v_mov_b64_e32 v[8:9], 0
	;; [unrolled: 1-line block ×4, first 2 shown]
.LBB218_4:
	s_lshl_b64 s[8:9], s[40:41], 3
	s_waitcnt lgkmcnt(0)
	s_add_u32 s4, s4, s8
	s_addc_u32 s5, s5, s9
	v_lshl_add_u64 v[2:3], s[6:7], 0, v[2:3]
	v_cmp_neq_f64_e64 s[8:9], s[24:25], 0
	v_lshl_add_u64 v[0:1], s[2:3], 0, v[0:1]
	s_mov_b64 s[6:7], 0
	s_and_b64 vcc, exec, s[8:9]
	v_mul_lo_u32 v12, v3, s38
	v_mul_lo_u32 v13, v2, s39
	v_lshlrev_b64 v[0:1], 3, v[0:1]
	s_cbranch_vccnz .LBB218_8
; %bb.5:
	v_mad_u64_u32 v[14:15], s[2:3], v2, s38, 0
	v_add3_u32 v15, v15, v13, v12
	v_lshl_add_u64 v[14:15], v[14:15], 3, s[4:5]
	v_mul_f64 v[16:17], s[10:11], v[10:11]
	v_lshl_add_u64 v[18:19], v[14:15], 0, v[0:1]
	s_lshl_b64 s[2:3], s[38:39], 7
	flat_store_dwordx2 v[18:19], v[16:17]
	v_mul_f64 v[16:17], s[10:11], v[8:9]
	v_lshl_add_u64 v[14:15], v[14:15], 0, s[2:3]
	flat_store_dwordx2 v[18:19], v[16:17] offset:128
	v_mul_f64 v[16:17], s[10:11], v[6:7]
	v_lshl_add_u64 v[14:15], v[14:15], 0, v[0:1]
	flat_store_dwordx2 v[14:15], v[16:17]
	v_mul_f64 v[16:17], s[10:11], v[4:5]
	flat_store_dwordx2 v[14:15], v[16:17] offset:128
	s_andn2_b64 vcc, exec, s[6:7]
	s_cbranch_vccnz .LBB218_7
.LBB218_6:
	s_lshl_b64 s[2:3], s[30:31], 3
	s_add_u32 s0, s0, s2
	s_addc_u32 s1, s1, s3
	v_mul_lo_u32 v3, v3, s28
	v_mul_lo_u32 v16, v2, s29
	v_mad_u64_u32 v[14:15], s[2:3], v2, s28, 0
	v_add3_u32 v15, v15, v16, v3
	v_lshl_add_u64 v[14:15], v[14:15], 3, s[0:1]
	v_lshl_add_u64 v[16:17], v[14:15], 0, v[0:1]
	flat_load_dwordx2 v[18:19], v[16:17]
	v_mad_u64_u32 v[2:3], s[0:1], v2, s38, 0
	v_add3_u32 v3, v3, v13, v12
	v_lshl_add_u64 v[2:3], v[2:3], 3, s[4:5]
	v_lshl_add_u64 v[12:13], v[2:3], 0, v[0:1]
	s_lshl_b64 s[0:1], s[28:29], 7
	v_lshl_add_u64 v[14:15], v[14:15], 0, s[0:1]
	v_lshl_add_u64 v[14:15], v[14:15], 0, v[0:1]
	s_lshl_b64 s[0:1], s[38:39], 7
	v_lshl_add_u64 v[2:3], v[2:3], 0, s[0:1]
	v_lshl_add_u64 v[0:1], v[2:3], 0, v[0:1]
	s_waitcnt vmcnt(0) lgkmcnt(0)
	v_mul_f64 v[18:19], s[24:25], v[18:19]
	v_fmac_f64_e32 v[18:19], s[10:11], v[10:11]
	flat_store_dwordx2 v[12:13], v[18:19]
	flat_load_dwordx2 v[10:11], v[16:17] offset:128
	s_waitcnt vmcnt(0) lgkmcnt(0)
	v_mul_f64 v[10:11], s[24:25], v[10:11]
	v_fmac_f64_e32 v[10:11], s[10:11], v[8:9]
	flat_store_dwordx2 v[12:13], v[10:11] offset:128
	flat_load_dwordx2 v[8:9], v[14:15]
	s_waitcnt vmcnt(0) lgkmcnt(0)
	v_mul_f64 v[8:9], s[24:25], v[8:9]
	v_fmac_f64_e32 v[8:9], s[10:11], v[6:7]
	flat_store_dwordx2 v[0:1], v[8:9]
	flat_load_dwordx2 v[2:3], v[14:15] offset:128
	s_waitcnt vmcnt(0) lgkmcnt(0)
	v_mul_f64 v[2:3], s[24:25], v[2:3]
	v_fmac_f64_e32 v[2:3], s[10:11], v[4:5]
	flat_store_dwordx2 v[0:1], v[2:3] offset:128
.LBB218_7:
	s_endpgm
.LBB218_8:
	s_branch .LBB218_6
	.section	.rodata,"a",@progbits
	.p2align	6, 0x0
	.amdhsa_kernel _ZN12_GLOBAL__N_127rocblas_gemm_batched_kernelIdLi16ELi16ELi32ELi32ELi8ELi32ELi8ELi8ELi32ELc67ELc67EKPKdS3_KPdEEvlllT_PT11_llS8_llS6_PT12_llPT13_lli
		.amdhsa_group_segment_fixed_size 4096
		.amdhsa_private_segment_fixed_size 0
		.amdhsa_kernarg_size 140
		.amdhsa_user_sgpr_count 2
		.amdhsa_user_sgpr_dispatch_ptr 0
		.amdhsa_user_sgpr_queue_ptr 0
		.amdhsa_user_sgpr_kernarg_segment_ptr 1
		.amdhsa_user_sgpr_dispatch_id 0
		.amdhsa_user_sgpr_kernarg_preload_length 0
		.amdhsa_user_sgpr_kernarg_preload_offset 0
		.amdhsa_user_sgpr_private_segment_size 0
		.amdhsa_uses_dynamic_stack 0
		.amdhsa_enable_private_segment 0
		.amdhsa_system_sgpr_workgroup_id_x 1
		.amdhsa_system_sgpr_workgroup_id_y 1
		.amdhsa_system_sgpr_workgroup_id_z 1
		.amdhsa_system_sgpr_workgroup_info 0
		.amdhsa_system_vgpr_workitem_id 1
		.amdhsa_next_free_vgpr 62
		.amdhsa_next_free_sgpr 44
		.amdhsa_accum_offset 64
		.amdhsa_reserve_vcc 1
		.amdhsa_float_round_mode_32 0
		.amdhsa_float_round_mode_16_64 0
		.amdhsa_float_denorm_mode_32 3
		.amdhsa_float_denorm_mode_16_64 3
		.amdhsa_dx10_clamp 1
		.amdhsa_ieee_mode 1
		.amdhsa_fp16_overflow 0
		.amdhsa_tg_split 0
		.amdhsa_exception_fp_ieee_invalid_op 0
		.amdhsa_exception_fp_denorm_src 0
		.amdhsa_exception_fp_ieee_div_zero 0
		.amdhsa_exception_fp_ieee_overflow 0
		.amdhsa_exception_fp_ieee_underflow 0
		.amdhsa_exception_fp_ieee_inexact 0
		.amdhsa_exception_int_div_zero 0
	.end_amdhsa_kernel
	.section	.text._ZN12_GLOBAL__N_127rocblas_gemm_batched_kernelIdLi16ELi16ELi32ELi32ELi8ELi32ELi8ELi8ELi32ELc67ELc67EKPKdS3_KPdEEvlllT_PT11_llS8_llS6_PT12_llPT13_lli,"axG",@progbits,_ZN12_GLOBAL__N_127rocblas_gemm_batched_kernelIdLi16ELi16ELi32ELi32ELi8ELi32ELi8ELi8ELi32ELc67ELc67EKPKdS3_KPdEEvlllT_PT11_llS8_llS6_PT12_llPT13_lli,comdat
.Lfunc_end218:
	.size	_ZN12_GLOBAL__N_127rocblas_gemm_batched_kernelIdLi16ELi16ELi32ELi32ELi8ELi32ELi8ELi8ELi32ELc67ELc67EKPKdS3_KPdEEvlllT_PT11_llS8_llS6_PT12_llPT13_lli, .Lfunc_end218-_ZN12_GLOBAL__N_127rocblas_gemm_batched_kernelIdLi16ELi16ELi32ELi32ELi8ELi32ELi8ELi8ELi32ELc67ELc67EKPKdS3_KPdEEvlllT_PT11_llS8_llS6_PT12_llPT13_lli
                                        ; -- End function
	.set _ZN12_GLOBAL__N_127rocblas_gemm_batched_kernelIdLi16ELi16ELi32ELi32ELi8ELi32ELi8ELi8ELi32ELc67ELc67EKPKdS3_KPdEEvlllT_PT11_llS8_llS6_PT12_llPT13_lli.num_vgpr, 62
	.set _ZN12_GLOBAL__N_127rocblas_gemm_batched_kernelIdLi16ELi16ELi32ELi32ELi8ELi32ELi8ELi8ELi32ELc67ELc67EKPKdS3_KPdEEvlllT_PT11_llS8_llS6_PT12_llPT13_lli.num_agpr, 0
	.set _ZN12_GLOBAL__N_127rocblas_gemm_batched_kernelIdLi16ELi16ELi32ELi32ELi8ELi32ELi8ELi8ELi32ELc67ELc67EKPKdS3_KPdEEvlllT_PT11_llS8_llS6_PT12_llPT13_lli.numbered_sgpr, 44
	.set _ZN12_GLOBAL__N_127rocblas_gemm_batched_kernelIdLi16ELi16ELi32ELi32ELi8ELi32ELi8ELi8ELi32ELc67ELc67EKPKdS3_KPdEEvlllT_PT11_llS8_llS6_PT12_llPT13_lli.num_named_barrier, 0
	.set _ZN12_GLOBAL__N_127rocblas_gemm_batched_kernelIdLi16ELi16ELi32ELi32ELi8ELi32ELi8ELi8ELi32ELc67ELc67EKPKdS3_KPdEEvlllT_PT11_llS8_llS6_PT12_llPT13_lli.private_seg_size, 0
	.set _ZN12_GLOBAL__N_127rocblas_gemm_batched_kernelIdLi16ELi16ELi32ELi32ELi8ELi32ELi8ELi8ELi32ELc67ELc67EKPKdS3_KPdEEvlllT_PT11_llS8_llS6_PT12_llPT13_lli.uses_vcc, 1
	.set _ZN12_GLOBAL__N_127rocblas_gemm_batched_kernelIdLi16ELi16ELi32ELi32ELi8ELi32ELi8ELi8ELi32ELc67ELc67EKPKdS3_KPdEEvlllT_PT11_llS8_llS6_PT12_llPT13_lli.uses_flat_scratch, 0
	.set _ZN12_GLOBAL__N_127rocblas_gemm_batched_kernelIdLi16ELi16ELi32ELi32ELi8ELi32ELi8ELi8ELi32ELc67ELc67EKPKdS3_KPdEEvlllT_PT11_llS8_llS6_PT12_llPT13_lli.has_dyn_sized_stack, 0
	.set _ZN12_GLOBAL__N_127rocblas_gemm_batched_kernelIdLi16ELi16ELi32ELi32ELi8ELi32ELi8ELi8ELi32ELc67ELc67EKPKdS3_KPdEEvlllT_PT11_llS8_llS6_PT12_llPT13_lli.has_recursion, 0
	.set _ZN12_GLOBAL__N_127rocblas_gemm_batched_kernelIdLi16ELi16ELi32ELi32ELi8ELi32ELi8ELi8ELi32ELc67ELc67EKPKdS3_KPdEEvlllT_PT11_llS8_llS6_PT12_llPT13_lli.has_indirect_call, 0
	.section	.AMDGPU.csdata,"",@progbits
; Kernel info:
; codeLenInByte = 1276
; TotalNumSgprs: 50
; NumVgprs: 62
; NumAgprs: 0
; TotalNumVgprs: 62
; ScratchSize: 0
; MemoryBound: 0
; FloatMode: 240
; IeeeMode: 1
; LDSByteSize: 4096 bytes/workgroup (compile time only)
; SGPRBlocks: 6
; VGPRBlocks: 7
; NumSGPRsForWavesPerEU: 50
; NumVGPRsForWavesPerEU: 62
; AccumOffset: 64
; Occupancy: 8
; WaveLimiterHint : 1
; COMPUTE_PGM_RSRC2:SCRATCH_EN: 0
; COMPUTE_PGM_RSRC2:USER_SGPR: 2
; COMPUTE_PGM_RSRC2:TRAP_HANDLER: 0
; COMPUTE_PGM_RSRC2:TGID_X_EN: 1
; COMPUTE_PGM_RSRC2:TGID_Y_EN: 1
; COMPUTE_PGM_RSRC2:TGID_Z_EN: 1
; COMPUTE_PGM_RSRC2:TIDIG_COMP_CNT: 1
; COMPUTE_PGM_RSRC3_GFX90A:ACCUM_OFFSET: 15
; COMPUTE_PGM_RSRC3_GFX90A:TG_SPLIT: 0
	.section	.text._ZN12_GLOBAL__N_127rocblas_gemm_batched_kernelIdLi16ELi16ELi32ELi32ELi8ELi32ELi8ELi8ELi32ELc67ELc78EKPKdS3_KPdEEvlllT_PT11_llS8_llS6_PT12_llPT13_lli,"axG",@progbits,_ZN12_GLOBAL__N_127rocblas_gemm_batched_kernelIdLi16ELi16ELi32ELi32ELi8ELi32ELi8ELi8ELi32ELc67ELc78EKPKdS3_KPdEEvlllT_PT11_llS8_llS6_PT12_llPT13_lli,comdat
	.globl	_ZN12_GLOBAL__N_127rocblas_gemm_batched_kernelIdLi16ELi16ELi32ELi32ELi8ELi32ELi8ELi8ELi32ELc67ELc78EKPKdS3_KPdEEvlllT_PT11_llS8_llS6_PT12_llPT13_lli ; -- Begin function _ZN12_GLOBAL__N_127rocblas_gemm_batched_kernelIdLi16ELi16ELi32ELi32ELi8ELi32ELi8ELi8ELi32ELc67ELc78EKPKdS3_KPdEEvlllT_PT11_llS8_llS6_PT12_llPT13_lli
	.p2align	8
	.type	_ZN12_GLOBAL__N_127rocblas_gemm_batched_kernelIdLi16ELi16ELi32ELi32ELi8ELi32ELi8ELi8ELi32ELc67ELc78EKPKdS3_KPdEEvlllT_PT11_llS8_llS6_PT12_llPT13_lli,@function
_ZN12_GLOBAL__N_127rocblas_gemm_batched_kernelIdLi16ELi16ELi32ELi32ELi8ELi32ELi8ELi8ELi32ELc67ELc78EKPKdS3_KPdEEvlllT_PT11_llS8_llS6_PT12_llPT13_lli: ; @_ZN12_GLOBAL__N_127rocblas_gemm_batched_kernelIdLi16ELi16ELi32ELi32ELi8ELi32ELi8ELi8ELi32ELc67ELc78EKPKdS3_KPdEEvlllT_PT11_llS8_llS6_PT12_llPT13_lli
; %bb.0:
	s_load_dwordx16 s[8:23], s[0:1], 0x10
	s_load_dwordx8 s[36:43], s[0:1], 0x70
	s_load_dwordx8 s[24:31], s[0:1], 0x50
	s_mov_b32 s5, 0
	s_lshl_b64 s[34:35], s[4:5], 3
	s_mov_b32 s6, s3
	v_mov_b32_e32 v3, 0
	s_waitcnt lgkmcnt(0)
	s_add_u32 s0, s26, s34
	s_addc_u32 s1, s27, s35
	s_add_u32 s4, s36, s34
	s_addc_u32 s5, s37, s35
	s_load_dwordx2 s[0:1], s[0:1], 0x0
	s_ashr_i32 s3, s2, 31
	s_load_dwordx2 s[4:5], s[4:5], 0x0
	s_ashr_i32 s7, s6, 31
	v_cmp_lt_i64_e64 s[26:27], s[8:9], 1
	v_bfe_u32 v2, v0, 10, 10
	v_and_b32_e32 v4, 0x3ff, v0
	v_mov_b32_e32 v5, v3
	s_lshl_b64 s[2:3], s[2:3], 5
	s_lshl_b64 s[6:7], s[6:7], 5
	s_and_b64 vcc, exec, s[26:27]
	s_cbranch_vccnz .LBB219_3
; %bb.1:
	v_lshl_add_u32 v10, v2, 4, v4
	s_add_u32 s12, s12, s34
	v_lshrrev_b32_e32 v0, 3, v10
	v_mov_b32_e32 v1, v3
	v_and_b32_e32 v8, 31, v10
	s_addc_u32 s13, s13, s35
	v_lshl_add_u64 v[6:7], v[0:1], 0, s[6:7]
	v_and_b32_e32 v1, 7, v4
	v_lshrrev_b32_e32 v14, 5, v10
	v_lshlrev_b32_e32 v10, 3, v8
	s_add_u32 s18, s18, s34
	v_lshl_or_b32 v18, v14, 8, v10
	v_lshlrev_b32_e32 v10, 3, v1
	s_addc_u32 s19, s19, s35
	v_lshl_or_b32 v0, v0, 6, v10
	s_load_dwordx2 s[18:19], s[18:19], 0x0
	v_add_u32_e32 v19, 0x800, v0
	v_mov_b32_e32 v0, 0x800
	v_lshl_add_u32 v21, v2, 6, v0
	v_mul_lo_u32 v11, s21, v6
	v_mul_lo_u32 v7, s20, v7
	v_mad_u64_u32 v[0:1], s[20:21], s20, v6, 0
	v_add3_u32 v1, v1, v7, v11
	s_lshl_b64 s[20:21], s[22:23], 3
	v_lshl_add_u64 v[0:1], v[0:1], 3, s[20:21]
	v_mov_b32_e32 v11, v3
	v_mov_b32_e32 v9, v3
	v_lshl_add_u64 v[0:1], v[0:1], 0, v[10:11]
	s_load_dwordx2 s[12:13], s[12:13], 0x0
	s_waitcnt lgkmcnt(0)
	v_lshl_add_u64 v[12:13], s[18:19], 0, v[0:1]
	v_lshl_add_u64 v[0:1], s[2:3], 0, v[8:9]
	v_mul_lo_u32 v6, s15, v0
	v_mul_lo_u32 v7, s14, v1
	v_mad_u64_u32 v[0:1], s[14:15], s14, v0, 0
	v_add3_u32 v1, v1, v7, v6
	s_lshl_b64 s[14:15], s[16:17], 3
	v_lshl_add_u64 v[0:1], v[0:1], 3, s[14:15]
	v_lshlrev_b32_e32 v6, 3, v14
	v_mov_b32_e32 v7, v3
	v_lshl_add_u64 v[0:1], v[0:1], 0, v[6:7]
	v_lshlrev_b32_e32 v20, 3, v4
	v_lshl_add_u64 v[14:15], s[12:13], 0, v[0:1]
	s_mov_b64 s[12:13], 0
	v_mov_b64_e32 v[0:1], 0
	v_mov_b64_e32 v[16:17], s[8:9]
	;; [unrolled: 1-line block ×5, first 2 shown]
.LBB219_2:                              ; =>This Inner Loop Header: Depth=1
	flat_load_dwordx2 v[22:23], v[14:15]
	s_add_u32 s12, s12, 8
	s_addc_u32 s13, s13, 0
	v_cmp_lt_i64_e32 vcc, s[12:13], v[16:17]
	v_lshl_add_u64 v[14:15], v[14:15], 0, 64
	s_and_b64 vcc, exec, vcc
	s_waitcnt vmcnt(0) lgkmcnt(0)
	ds_write_b64 v18, v[22:23]
	flat_load_dwordx2 v[22:23], v[12:13]
	v_lshl_add_u64 v[12:13], v[12:13], 0, 64
	s_waitcnt vmcnt(0) lgkmcnt(0)
	ds_write_b64 v19, v[22:23]
	s_waitcnt lgkmcnt(0)
	s_barrier
	ds_read_b128 v[22:25], v21
	ds_read_b128 v[26:29], v21 offset:16
	ds_read_b128 v[30:33], v21 offset:32
	;; [unrolled: 1-line block ×3, first 2 shown]
	ds_read2_b64 v[38:41], v20 offset1:16
	ds_read2_b64 v[42:45], v20 offset0:32 offset1:48
	ds_read2_b64 v[46:49], v20 offset0:64 offset1:80
	ds_read_b128 v[50:53], v21 offset:1024
	ds_read_b128 v[54:57], v21 offset:1040
	ds_read2_b64 v[58:61], v20 offset0:96 offset1:112
	s_waitcnt lgkmcnt(5)
	v_fmac_f64_e32 v[10:11], v[38:39], v[22:23]
	v_fmac_f64_e32 v[8:9], v[40:41], v[22:23]
	s_waitcnt lgkmcnt(2)
	v_fmac_f64_e32 v[6:7], v[38:39], v[50:51]
	v_fmac_f64_e32 v[0:1], v[40:41], v[50:51]
	ds_read2_b64 v[38:41], v20 offset0:128 offset1:144
	v_fmac_f64_e32 v[10:11], v[42:43], v[24:25]
	v_fmac_f64_e32 v[8:9], v[44:45], v[24:25]
	ds_read_b128 v[22:25], v21 offset:1056
	v_fmac_f64_e32 v[6:7], v[42:43], v[52:53]
	v_fmac_f64_e32 v[0:1], v[44:45], v[52:53]
	ds_read2_b64 v[42:45], v20 offset0:160 offset1:176
	ds_read2_b64 v[50:53], v20 offset0:192 offset1:208
	v_fmac_f64_e32 v[10:11], v[46:47], v[26:27]
	v_fmac_f64_e32 v[8:9], v[48:49], v[26:27]
	s_waitcnt lgkmcnt(5)
	v_fmac_f64_e32 v[6:7], v[46:47], v[54:55]
	v_fmac_f64_e32 v[0:1], v[48:49], v[54:55]
	ds_read_b128 v[46:49], v21 offset:1072
	s_waitcnt lgkmcnt(5)
	v_fmac_f64_e32 v[10:11], v[58:59], v[28:29]
	v_fmac_f64_e32 v[8:9], v[60:61], v[28:29]
	ds_read2_b64 v[26:29], v20 offset0:224 offset1:240
	v_fmac_f64_e32 v[6:7], v[58:59], v[56:57]
	v_fmac_f64_e32 v[0:1], v[60:61], v[56:57]
	s_waitcnt lgkmcnt(5)
	v_fmac_f64_e32 v[10:11], v[38:39], v[30:31]
	v_fmac_f64_e32 v[8:9], v[40:41], v[30:31]
	s_waitcnt lgkmcnt(4)
	;; [unrolled: 3-line block ×3, first 2 shown]
	v_fmac_f64_e32 v[10:11], v[42:43], v[32:33]
	v_fmac_f64_e32 v[8:9], v[44:45], v[32:33]
	;; [unrolled: 1-line block ×4, first 2 shown]
	s_waitcnt lgkmcnt(2)
	v_fmac_f64_e32 v[10:11], v[50:51], v[34:35]
	v_fmac_f64_e32 v[8:9], v[52:53], v[34:35]
	s_waitcnt lgkmcnt(1)
	v_fmac_f64_e32 v[6:7], v[50:51], v[46:47]
	v_fmac_f64_e32 v[0:1], v[52:53], v[46:47]
	;; [unrolled: 3-line block ×3, first 2 shown]
	v_fmac_f64_e32 v[6:7], v[26:27], v[48:49]
	v_fmac_f64_e32 v[0:1], v[28:29], v[48:49]
	s_barrier
	s_cbranch_vccnz .LBB219_2
	s_branch .LBB219_4
.LBB219_3:
	v_mov_b64_e32 v[10:11], 0
	v_mov_b64_e32 v[8:9], 0
	;; [unrolled: 1-line block ×4, first 2 shown]
.LBB219_4:
	s_lshl_b64 s[8:9], s[40:41], 3
	s_waitcnt lgkmcnt(0)
	s_add_u32 s4, s4, s8
	s_addc_u32 s5, s5, s9
	v_lshl_add_u64 v[12:13], s[6:7], 0, v[2:3]
	v_cmp_neq_f64_e64 s[8:9], s[24:25], 0
	v_lshl_add_u64 v[2:3], s[2:3], 0, v[4:5]
	s_mov_b64 s[6:7], 0
	s_and_b64 vcc, exec, s[8:9]
	v_mul_lo_u32 v4, v13, s38
	v_mul_lo_u32 v5, v12, s39
	v_lshlrev_b64 v[2:3], 3, v[2:3]
	s_cbranch_vccnz .LBB219_8
; %bb.5:
	v_mad_u64_u32 v[14:15], s[2:3], v12, s38, 0
	v_add3_u32 v15, v15, v5, v4
	v_lshl_add_u64 v[14:15], v[14:15], 3, s[4:5]
	v_mul_f64 v[16:17], s[10:11], v[10:11]
	v_lshl_add_u64 v[18:19], v[14:15], 0, v[2:3]
	s_lshl_b64 s[2:3], s[38:39], 7
	flat_store_dwordx2 v[18:19], v[16:17]
	v_mul_f64 v[16:17], s[10:11], v[8:9]
	v_lshl_add_u64 v[14:15], v[14:15], 0, s[2:3]
	flat_store_dwordx2 v[18:19], v[16:17] offset:128
	v_mul_f64 v[16:17], s[10:11], v[6:7]
	v_lshl_add_u64 v[14:15], v[14:15], 0, v[2:3]
	flat_store_dwordx2 v[14:15], v[16:17]
	v_mul_f64 v[16:17], s[10:11], v[0:1]
	flat_store_dwordx2 v[14:15], v[16:17] offset:128
	s_andn2_b64 vcc, exec, s[6:7]
	s_cbranch_vccnz .LBB219_7
.LBB219_6:
	s_lshl_b64 s[2:3], s[30:31], 3
	s_add_u32 s0, s0, s2
	s_addc_u32 s1, s1, s3
	v_mul_lo_u32 v13, v13, s28
	v_mul_lo_u32 v16, v12, s29
	v_mad_u64_u32 v[14:15], s[2:3], v12, s28, 0
	v_add3_u32 v15, v15, v16, v13
	v_lshl_add_u64 v[14:15], v[14:15], 3, s[0:1]
	v_lshl_add_u64 v[16:17], v[14:15], 0, v[2:3]
	flat_load_dwordx2 v[18:19], v[16:17]
	v_mad_u64_u32 v[12:13], s[0:1], v12, s38, 0
	v_add3_u32 v13, v13, v5, v4
	v_lshl_add_u64 v[4:5], v[12:13], 3, s[4:5]
	v_lshl_add_u64 v[12:13], v[4:5], 0, v[2:3]
	s_lshl_b64 s[0:1], s[28:29], 7
	v_lshl_add_u64 v[14:15], v[14:15], 0, s[0:1]
	v_lshl_add_u64 v[14:15], v[14:15], 0, v[2:3]
	s_lshl_b64 s[0:1], s[38:39], 7
	v_lshl_add_u64 v[4:5], v[4:5], 0, s[0:1]
	v_lshl_add_u64 v[2:3], v[4:5], 0, v[2:3]
	s_waitcnt vmcnt(0) lgkmcnt(0)
	v_mul_f64 v[18:19], s[24:25], v[18:19]
	v_fmac_f64_e32 v[18:19], s[10:11], v[10:11]
	flat_store_dwordx2 v[12:13], v[18:19]
	flat_load_dwordx2 v[10:11], v[16:17] offset:128
	s_waitcnt vmcnt(0) lgkmcnt(0)
	v_mul_f64 v[10:11], s[24:25], v[10:11]
	v_fmac_f64_e32 v[10:11], s[10:11], v[8:9]
	flat_store_dwordx2 v[12:13], v[10:11] offset:128
	flat_load_dwordx2 v[8:9], v[14:15]
	s_waitcnt vmcnt(0) lgkmcnt(0)
	v_mul_f64 v[8:9], s[24:25], v[8:9]
	v_fmac_f64_e32 v[8:9], s[10:11], v[6:7]
	flat_store_dwordx2 v[2:3], v[8:9]
	flat_load_dwordx2 v[4:5], v[14:15] offset:128
	s_waitcnt vmcnt(0) lgkmcnt(0)
	v_mul_f64 v[4:5], s[24:25], v[4:5]
	v_fmac_f64_e32 v[4:5], s[10:11], v[0:1]
	flat_store_dwordx2 v[2:3], v[4:5] offset:128
.LBB219_7:
	s_endpgm
.LBB219_8:
	s_branch .LBB219_6
	.section	.rodata,"a",@progbits
	.p2align	6, 0x0
	.amdhsa_kernel _ZN12_GLOBAL__N_127rocblas_gemm_batched_kernelIdLi16ELi16ELi32ELi32ELi8ELi32ELi8ELi8ELi32ELc67ELc78EKPKdS3_KPdEEvlllT_PT11_llS8_llS6_PT12_llPT13_lli
		.amdhsa_group_segment_fixed_size 4096
		.amdhsa_private_segment_fixed_size 0
		.amdhsa_kernarg_size 140
		.amdhsa_user_sgpr_count 2
		.amdhsa_user_sgpr_dispatch_ptr 0
		.amdhsa_user_sgpr_queue_ptr 0
		.amdhsa_user_sgpr_kernarg_segment_ptr 1
		.amdhsa_user_sgpr_dispatch_id 0
		.amdhsa_user_sgpr_kernarg_preload_length 0
		.amdhsa_user_sgpr_kernarg_preload_offset 0
		.amdhsa_user_sgpr_private_segment_size 0
		.amdhsa_uses_dynamic_stack 0
		.amdhsa_enable_private_segment 0
		.amdhsa_system_sgpr_workgroup_id_x 1
		.amdhsa_system_sgpr_workgroup_id_y 1
		.amdhsa_system_sgpr_workgroup_id_z 1
		.amdhsa_system_sgpr_workgroup_info 0
		.amdhsa_system_vgpr_workitem_id 1
		.amdhsa_next_free_vgpr 62
		.amdhsa_next_free_sgpr 44
		.amdhsa_accum_offset 64
		.amdhsa_reserve_vcc 1
		.amdhsa_float_round_mode_32 0
		.amdhsa_float_round_mode_16_64 0
		.amdhsa_float_denorm_mode_32 3
		.amdhsa_float_denorm_mode_16_64 3
		.amdhsa_dx10_clamp 1
		.amdhsa_ieee_mode 1
		.amdhsa_fp16_overflow 0
		.amdhsa_tg_split 0
		.amdhsa_exception_fp_ieee_invalid_op 0
		.amdhsa_exception_fp_denorm_src 0
		.amdhsa_exception_fp_ieee_div_zero 0
		.amdhsa_exception_fp_ieee_overflow 0
		.amdhsa_exception_fp_ieee_underflow 0
		.amdhsa_exception_fp_ieee_inexact 0
		.amdhsa_exception_int_div_zero 0
	.end_amdhsa_kernel
	.section	.text._ZN12_GLOBAL__N_127rocblas_gemm_batched_kernelIdLi16ELi16ELi32ELi32ELi8ELi32ELi8ELi8ELi32ELc67ELc78EKPKdS3_KPdEEvlllT_PT11_llS8_llS6_PT12_llPT13_lli,"axG",@progbits,_ZN12_GLOBAL__N_127rocblas_gemm_batched_kernelIdLi16ELi16ELi32ELi32ELi8ELi32ELi8ELi8ELi32ELc67ELc78EKPKdS3_KPdEEvlllT_PT11_llS8_llS6_PT12_llPT13_lli,comdat
.Lfunc_end219:
	.size	_ZN12_GLOBAL__N_127rocblas_gemm_batched_kernelIdLi16ELi16ELi32ELi32ELi8ELi32ELi8ELi8ELi32ELc67ELc78EKPKdS3_KPdEEvlllT_PT11_llS8_llS6_PT12_llPT13_lli, .Lfunc_end219-_ZN12_GLOBAL__N_127rocblas_gemm_batched_kernelIdLi16ELi16ELi32ELi32ELi8ELi32ELi8ELi8ELi32ELc67ELc78EKPKdS3_KPdEEvlllT_PT11_llS8_llS6_PT12_llPT13_lli
                                        ; -- End function
	.set _ZN12_GLOBAL__N_127rocblas_gemm_batched_kernelIdLi16ELi16ELi32ELi32ELi8ELi32ELi8ELi8ELi32ELc67ELc78EKPKdS3_KPdEEvlllT_PT11_llS8_llS6_PT12_llPT13_lli.num_vgpr, 62
	.set _ZN12_GLOBAL__N_127rocblas_gemm_batched_kernelIdLi16ELi16ELi32ELi32ELi8ELi32ELi8ELi8ELi32ELc67ELc78EKPKdS3_KPdEEvlllT_PT11_llS8_llS6_PT12_llPT13_lli.num_agpr, 0
	.set _ZN12_GLOBAL__N_127rocblas_gemm_batched_kernelIdLi16ELi16ELi32ELi32ELi8ELi32ELi8ELi8ELi32ELc67ELc78EKPKdS3_KPdEEvlllT_PT11_llS8_llS6_PT12_llPT13_lli.numbered_sgpr, 44
	.set _ZN12_GLOBAL__N_127rocblas_gemm_batched_kernelIdLi16ELi16ELi32ELi32ELi8ELi32ELi8ELi8ELi32ELc67ELc78EKPKdS3_KPdEEvlllT_PT11_llS8_llS6_PT12_llPT13_lli.num_named_barrier, 0
	.set _ZN12_GLOBAL__N_127rocblas_gemm_batched_kernelIdLi16ELi16ELi32ELi32ELi8ELi32ELi8ELi8ELi32ELc67ELc78EKPKdS3_KPdEEvlllT_PT11_llS8_llS6_PT12_llPT13_lli.private_seg_size, 0
	.set _ZN12_GLOBAL__N_127rocblas_gemm_batched_kernelIdLi16ELi16ELi32ELi32ELi8ELi32ELi8ELi8ELi32ELc67ELc78EKPKdS3_KPdEEvlllT_PT11_llS8_llS6_PT12_llPT13_lli.uses_vcc, 1
	.set _ZN12_GLOBAL__N_127rocblas_gemm_batched_kernelIdLi16ELi16ELi32ELi32ELi8ELi32ELi8ELi8ELi32ELc67ELc78EKPKdS3_KPdEEvlllT_PT11_llS8_llS6_PT12_llPT13_lli.uses_flat_scratch, 0
	.set _ZN12_GLOBAL__N_127rocblas_gemm_batched_kernelIdLi16ELi16ELi32ELi32ELi8ELi32ELi8ELi8ELi32ELc67ELc78EKPKdS3_KPdEEvlllT_PT11_llS8_llS6_PT12_llPT13_lli.has_dyn_sized_stack, 0
	.set _ZN12_GLOBAL__N_127rocblas_gemm_batched_kernelIdLi16ELi16ELi32ELi32ELi8ELi32ELi8ELi8ELi32ELc67ELc78EKPKdS3_KPdEEvlllT_PT11_llS8_llS6_PT12_llPT13_lli.has_recursion, 0
	.set _ZN12_GLOBAL__N_127rocblas_gemm_batched_kernelIdLi16ELi16ELi32ELi32ELi8ELi32ELi8ELi8ELi32ELc67ELc78EKPKdS3_KPdEEvlllT_PT11_llS8_llS6_PT12_llPT13_lli.has_indirect_call, 0
	.section	.AMDGPU.csdata,"",@progbits
; Kernel info:
; codeLenInByte = 1292
; TotalNumSgprs: 50
; NumVgprs: 62
; NumAgprs: 0
; TotalNumVgprs: 62
; ScratchSize: 0
; MemoryBound: 0
; FloatMode: 240
; IeeeMode: 1
; LDSByteSize: 4096 bytes/workgroup (compile time only)
; SGPRBlocks: 6
; VGPRBlocks: 7
; NumSGPRsForWavesPerEU: 50
; NumVGPRsForWavesPerEU: 62
; AccumOffset: 64
; Occupancy: 8
; WaveLimiterHint : 1
; COMPUTE_PGM_RSRC2:SCRATCH_EN: 0
; COMPUTE_PGM_RSRC2:USER_SGPR: 2
; COMPUTE_PGM_RSRC2:TRAP_HANDLER: 0
; COMPUTE_PGM_RSRC2:TGID_X_EN: 1
; COMPUTE_PGM_RSRC2:TGID_Y_EN: 1
; COMPUTE_PGM_RSRC2:TGID_Z_EN: 1
; COMPUTE_PGM_RSRC2:TIDIG_COMP_CNT: 1
; COMPUTE_PGM_RSRC3_GFX90A:ACCUM_OFFSET: 15
; COMPUTE_PGM_RSRC3_GFX90A:TG_SPLIT: 0
	.section	.text._ZN12_GLOBAL__N_127rocblas_gemm_batched_kernelIdLi16ELi16ELi32ELi32ELi8ELi32ELi8ELi8ELi32ELc67ELc84EKPKdS3_KPdEEvlllT_PT11_llS8_llS6_PT12_llPT13_lli,"axG",@progbits,_ZN12_GLOBAL__N_127rocblas_gemm_batched_kernelIdLi16ELi16ELi32ELi32ELi8ELi32ELi8ELi8ELi32ELc67ELc84EKPKdS3_KPdEEvlllT_PT11_llS8_llS6_PT12_llPT13_lli,comdat
	.globl	_ZN12_GLOBAL__N_127rocblas_gemm_batched_kernelIdLi16ELi16ELi32ELi32ELi8ELi32ELi8ELi8ELi32ELc67ELc84EKPKdS3_KPdEEvlllT_PT11_llS8_llS6_PT12_llPT13_lli ; -- Begin function _ZN12_GLOBAL__N_127rocblas_gemm_batched_kernelIdLi16ELi16ELi32ELi32ELi8ELi32ELi8ELi8ELi32ELc67ELc84EKPKdS3_KPdEEvlllT_PT11_llS8_llS6_PT12_llPT13_lli
	.p2align	8
	.type	_ZN12_GLOBAL__N_127rocblas_gemm_batched_kernelIdLi16ELi16ELi32ELi32ELi8ELi32ELi8ELi8ELi32ELc67ELc84EKPKdS3_KPdEEvlllT_PT11_llS8_llS6_PT12_llPT13_lli,@function
_ZN12_GLOBAL__N_127rocblas_gemm_batched_kernelIdLi16ELi16ELi32ELi32ELi8ELi32ELi8ELi8ELi32ELc67ELc84EKPKdS3_KPdEEvlllT_PT11_llS8_llS6_PT12_llPT13_lli: ; @_ZN12_GLOBAL__N_127rocblas_gemm_batched_kernelIdLi16ELi16ELi32ELi32ELi8ELi32ELi8ELi8ELi32ELc67ELc84EKPKdS3_KPdEEvlllT_PT11_llS8_llS6_PT12_llPT13_lli
; %bb.0:
	s_load_dwordx16 s[8:23], s[0:1], 0x10
	s_load_dwordx8 s[36:43], s[0:1], 0x70
	s_load_dwordx8 s[24:31], s[0:1], 0x50
	s_mov_b32 s5, 0
	s_lshl_b64 s[34:35], s[4:5], 3
	s_mov_b32 s6, s3
	v_mov_b32_e32 v3, 0
	s_waitcnt lgkmcnt(0)
	s_add_u32 s0, s26, s34
	s_addc_u32 s1, s27, s35
	s_add_u32 s4, s36, s34
	s_addc_u32 s5, s37, s35
	s_load_dwordx2 s[0:1], s[0:1], 0x0
	s_ashr_i32 s3, s2, 31
	s_load_dwordx2 s[4:5], s[4:5], 0x0
	s_ashr_i32 s7, s6, 31
	v_cmp_lt_i64_e64 s[26:27], s[8:9], 1
	v_bfe_u32 v2, v0, 10, 10
	v_and_b32_e32 v0, 0x3ff, v0
	v_mov_b32_e32 v1, v3
	s_lshl_b64 s[2:3], s[2:3], 5
	s_lshl_b64 s[6:7], s[6:7], 5
	s_and_b64 vcc, exec, s[26:27]
	s_cbranch_vccnz .LBB220_3
; %bb.1:
	s_add_u32 s12, s12, s34
	s_addc_u32 s13, s13, s35
	v_lshl_add_u32 v8, v2, 4, v0
	s_load_dwordx2 s[26:27], s[12:13], 0x0
	s_add_u32 s12, s18, s34
	v_and_b32_e32 v6, 31, v8
	s_addc_u32 s13, s19, s35
	v_lshrrev_b32_e32 v4, 3, v8
	v_and_b32_e32 v9, 7, v0
	v_lshrrev_b32_e32 v10, 5, v8
	v_lshlrev_b32_e32 v8, 3, v6
	s_load_dwordx2 s[12:13], s[12:13], 0x0
	v_lshl_or_b32 v18, v10, 8, v8
	v_lshlrev_b32_e32 v8, 3, v9
	v_mov_b32_e32 v5, v3
	v_lshl_or_b32 v8, v4, 6, v8
	v_add_u32_e32 v19, 0x800, v8
	v_mov_b32_e32 v8, 0x800
	s_lshl_b64 s[18:19], s[22:23], 3
	v_mad_u64_u32 v[4:5], s[22:23], s20, v9, v[4:5]
	v_lshl_add_u32 v21, v2, 6, v8
	v_mov_b32_e32 v8, v5
	v_mad_u64_u32 v[8:9], s[22:23], s21, v9, v[8:9]
	v_mov_b32_e32 v5, v8
	s_waitcnt lgkmcnt(0)
	s_add_u32 s12, s12, s18
	v_mov_b32_e32 v7, v3
	v_lshl_add_u64 v[4:5], v[4:5], 0, s[6:7]
	s_addc_u32 s13, s13, s19
	v_lshl_add_u64 v[12:13], v[4:5], 3, s[12:13]
	v_lshl_add_u64 v[4:5], s[2:3], 0, v[6:7]
	v_mul_lo_u32 v6, s15, v4
	v_mul_lo_u32 v7, s14, v5
	v_mad_u64_u32 v[4:5], s[14:15], s14, v4, 0
	v_add3_u32 v5, v5, v7, v6
	s_lshl_b64 s[14:15], s[16:17], 3
	v_lshl_add_u64 v[4:5], v[4:5], 3, s[14:15]
	v_lshlrev_b32_e32 v6, 3, v10
	v_mov_b32_e32 v7, v3
	v_lshl_add_u64 v[4:5], v[4:5], 0, v[6:7]
	v_lshlrev_b32_e32 v20, 3, v0
	s_lshl_b64 s[12:13], s[20:21], 6
	v_lshl_add_u64 v[14:15], s[26:27], 0, v[4:5]
	s_mov_b64 s[14:15], 0
	v_mov_b64_e32 v[4:5], 0
	v_mov_b64_e32 v[16:17], s[8:9]
	;; [unrolled: 1-line block ×5, first 2 shown]
.LBB220_2:                              ; =>This Inner Loop Header: Depth=1
	flat_load_dwordx2 v[22:23], v[14:15]
	s_add_u32 s14, s14, 8
	s_addc_u32 s15, s15, 0
	v_cmp_lt_i64_e32 vcc, s[14:15], v[16:17]
	v_lshl_add_u64 v[14:15], v[14:15], 0, 64
	s_and_b64 vcc, exec, vcc
	s_waitcnt vmcnt(0) lgkmcnt(0)
	ds_write_b64 v18, v[22:23]
	flat_load_dwordx2 v[22:23], v[12:13]
	v_lshl_add_u64 v[12:13], v[12:13], 0, s[12:13]
	s_waitcnt vmcnt(0) lgkmcnt(0)
	ds_write_b64 v19, v[22:23]
	s_waitcnt lgkmcnt(0)
	s_barrier
	ds_read_b128 v[22:25], v21
	ds_read_b128 v[26:29], v21 offset:16
	ds_read_b128 v[30:33], v21 offset:32
	;; [unrolled: 1-line block ×3, first 2 shown]
	ds_read2_b64 v[38:41], v20 offset1:16
	ds_read2_b64 v[42:45], v20 offset0:32 offset1:48
	ds_read2_b64 v[46:49], v20 offset0:64 offset1:80
	ds_read_b128 v[50:53], v21 offset:1024
	ds_read_b128 v[54:57], v21 offset:1040
	ds_read2_b64 v[58:61], v20 offset0:96 offset1:112
	s_waitcnt lgkmcnt(5)
	v_fmac_f64_e32 v[10:11], v[38:39], v[22:23]
	v_fmac_f64_e32 v[8:9], v[40:41], v[22:23]
	s_waitcnt lgkmcnt(2)
	v_fmac_f64_e32 v[6:7], v[38:39], v[50:51]
	v_fmac_f64_e32 v[4:5], v[40:41], v[50:51]
	ds_read2_b64 v[38:41], v20 offset0:128 offset1:144
	v_fmac_f64_e32 v[10:11], v[42:43], v[24:25]
	v_fmac_f64_e32 v[8:9], v[44:45], v[24:25]
	ds_read_b128 v[22:25], v21 offset:1056
	v_fmac_f64_e32 v[6:7], v[42:43], v[52:53]
	v_fmac_f64_e32 v[4:5], v[44:45], v[52:53]
	ds_read2_b64 v[42:45], v20 offset0:160 offset1:176
	ds_read2_b64 v[50:53], v20 offset0:192 offset1:208
	v_fmac_f64_e32 v[10:11], v[46:47], v[26:27]
	v_fmac_f64_e32 v[8:9], v[48:49], v[26:27]
	s_waitcnt lgkmcnt(5)
	v_fmac_f64_e32 v[6:7], v[46:47], v[54:55]
	v_fmac_f64_e32 v[4:5], v[48:49], v[54:55]
	ds_read_b128 v[46:49], v21 offset:1072
	s_waitcnt lgkmcnt(5)
	v_fmac_f64_e32 v[10:11], v[58:59], v[28:29]
	v_fmac_f64_e32 v[8:9], v[60:61], v[28:29]
	ds_read2_b64 v[26:29], v20 offset0:224 offset1:240
	v_fmac_f64_e32 v[6:7], v[58:59], v[56:57]
	v_fmac_f64_e32 v[4:5], v[60:61], v[56:57]
	s_waitcnt lgkmcnt(5)
	v_fmac_f64_e32 v[10:11], v[38:39], v[30:31]
	v_fmac_f64_e32 v[8:9], v[40:41], v[30:31]
	s_waitcnt lgkmcnt(4)
	;; [unrolled: 3-line block ×3, first 2 shown]
	v_fmac_f64_e32 v[10:11], v[42:43], v[32:33]
	v_fmac_f64_e32 v[8:9], v[44:45], v[32:33]
	;; [unrolled: 1-line block ×4, first 2 shown]
	s_waitcnt lgkmcnt(2)
	v_fmac_f64_e32 v[10:11], v[50:51], v[34:35]
	v_fmac_f64_e32 v[8:9], v[52:53], v[34:35]
	s_waitcnt lgkmcnt(1)
	v_fmac_f64_e32 v[6:7], v[50:51], v[46:47]
	v_fmac_f64_e32 v[4:5], v[52:53], v[46:47]
	s_waitcnt lgkmcnt(0)
	v_fmac_f64_e32 v[10:11], v[26:27], v[36:37]
	v_fmac_f64_e32 v[8:9], v[28:29], v[36:37]
	v_fmac_f64_e32 v[6:7], v[26:27], v[48:49]
	v_fmac_f64_e32 v[4:5], v[28:29], v[48:49]
	s_barrier
	s_cbranch_vccnz .LBB220_2
	s_branch .LBB220_4
.LBB220_3:
	v_mov_b64_e32 v[10:11], 0
	v_mov_b64_e32 v[8:9], 0
	;; [unrolled: 1-line block ×4, first 2 shown]
.LBB220_4:
	s_lshl_b64 s[8:9], s[40:41], 3
	s_waitcnt lgkmcnt(0)
	s_add_u32 s4, s4, s8
	s_addc_u32 s5, s5, s9
	v_lshl_add_u64 v[2:3], s[6:7], 0, v[2:3]
	v_cmp_neq_f64_e64 s[8:9], s[24:25], 0
	v_lshl_add_u64 v[0:1], s[2:3], 0, v[0:1]
	s_mov_b64 s[6:7], 0
	s_and_b64 vcc, exec, s[8:9]
	v_mul_lo_u32 v12, v3, s38
	v_mul_lo_u32 v13, v2, s39
	v_lshlrev_b64 v[0:1], 3, v[0:1]
	s_cbranch_vccnz .LBB220_8
; %bb.5:
	v_mad_u64_u32 v[14:15], s[2:3], v2, s38, 0
	v_add3_u32 v15, v15, v13, v12
	v_lshl_add_u64 v[14:15], v[14:15], 3, s[4:5]
	v_mul_f64 v[16:17], s[10:11], v[10:11]
	v_lshl_add_u64 v[18:19], v[14:15], 0, v[0:1]
	s_lshl_b64 s[2:3], s[38:39], 7
	flat_store_dwordx2 v[18:19], v[16:17]
	v_mul_f64 v[16:17], s[10:11], v[8:9]
	v_lshl_add_u64 v[14:15], v[14:15], 0, s[2:3]
	flat_store_dwordx2 v[18:19], v[16:17] offset:128
	v_mul_f64 v[16:17], s[10:11], v[6:7]
	v_lshl_add_u64 v[14:15], v[14:15], 0, v[0:1]
	flat_store_dwordx2 v[14:15], v[16:17]
	v_mul_f64 v[16:17], s[10:11], v[4:5]
	flat_store_dwordx2 v[14:15], v[16:17] offset:128
	s_andn2_b64 vcc, exec, s[6:7]
	s_cbranch_vccnz .LBB220_7
.LBB220_6:
	s_lshl_b64 s[2:3], s[30:31], 3
	s_add_u32 s0, s0, s2
	s_addc_u32 s1, s1, s3
	v_mul_lo_u32 v3, v3, s28
	v_mul_lo_u32 v16, v2, s29
	v_mad_u64_u32 v[14:15], s[2:3], v2, s28, 0
	v_add3_u32 v15, v15, v16, v3
	v_lshl_add_u64 v[14:15], v[14:15], 3, s[0:1]
	v_lshl_add_u64 v[16:17], v[14:15], 0, v[0:1]
	flat_load_dwordx2 v[18:19], v[16:17]
	v_mad_u64_u32 v[2:3], s[0:1], v2, s38, 0
	v_add3_u32 v3, v3, v13, v12
	v_lshl_add_u64 v[2:3], v[2:3], 3, s[4:5]
	v_lshl_add_u64 v[12:13], v[2:3], 0, v[0:1]
	s_lshl_b64 s[0:1], s[28:29], 7
	v_lshl_add_u64 v[14:15], v[14:15], 0, s[0:1]
	v_lshl_add_u64 v[14:15], v[14:15], 0, v[0:1]
	s_lshl_b64 s[0:1], s[38:39], 7
	v_lshl_add_u64 v[2:3], v[2:3], 0, s[0:1]
	v_lshl_add_u64 v[0:1], v[2:3], 0, v[0:1]
	s_waitcnt vmcnt(0) lgkmcnt(0)
	v_mul_f64 v[18:19], s[24:25], v[18:19]
	v_fmac_f64_e32 v[18:19], s[10:11], v[10:11]
	flat_store_dwordx2 v[12:13], v[18:19]
	flat_load_dwordx2 v[10:11], v[16:17] offset:128
	s_waitcnt vmcnt(0) lgkmcnt(0)
	v_mul_f64 v[10:11], s[24:25], v[10:11]
	v_fmac_f64_e32 v[10:11], s[10:11], v[8:9]
	flat_store_dwordx2 v[12:13], v[10:11] offset:128
	flat_load_dwordx2 v[8:9], v[14:15]
	s_waitcnt vmcnt(0) lgkmcnt(0)
	v_mul_f64 v[8:9], s[24:25], v[8:9]
	v_fmac_f64_e32 v[8:9], s[10:11], v[6:7]
	flat_store_dwordx2 v[0:1], v[8:9]
	flat_load_dwordx2 v[2:3], v[14:15] offset:128
	s_waitcnt vmcnt(0) lgkmcnt(0)
	v_mul_f64 v[2:3], s[24:25], v[2:3]
	v_fmac_f64_e32 v[2:3], s[10:11], v[4:5]
	flat_store_dwordx2 v[0:1], v[2:3] offset:128
.LBB220_7:
	s_endpgm
.LBB220_8:
	s_branch .LBB220_6
	.section	.rodata,"a",@progbits
	.p2align	6, 0x0
	.amdhsa_kernel _ZN12_GLOBAL__N_127rocblas_gemm_batched_kernelIdLi16ELi16ELi32ELi32ELi8ELi32ELi8ELi8ELi32ELc67ELc84EKPKdS3_KPdEEvlllT_PT11_llS8_llS6_PT12_llPT13_lli
		.amdhsa_group_segment_fixed_size 4096
		.amdhsa_private_segment_fixed_size 0
		.amdhsa_kernarg_size 140
		.amdhsa_user_sgpr_count 2
		.amdhsa_user_sgpr_dispatch_ptr 0
		.amdhsa_user_sgpr_queue_ptr 0
		.amdhsa_user_sgpr_kernarg_segment_ptr 1
		.amdhsa_user_sgpr_dispatch_id 0
		.amdhsa_user_sgpr_kernarg_preload_length 0
		.amdhsa_user_sgpr_kernarg_preload_offset 0
		.amdhsa_user_sgpr_private_segment_size 0
		.amdhsa_uses_dynamic_stack 0
		.amdhsa_enable_private_segment 0
		.amdhsa_system_sgpr_workgroup_id_x 1
		.amdhsa_system_sgpr_workgroup_id_y 1
		.amdhsa_system_sgpr_workgroup_id_z 1
		.amdhsa_system_sgpr_workgroup_info 0
		.amdhsa_system_vgpr_workitem_id 1
		.amdhsa_next_free_vgpr 62
		.amdhsa_next_free_sgpr 44
		.amdhsa_accum_offset 64
		.amdhsa_reserve_vcc 1
		.amdhsa_float_round_mode_32 0
		.amdhsa_float_round_mode_16_64 0
		.amdhsa_float_denorm_mode_32 3
		.amdhsa_float_denorm_mode_16_64 3
		.amdhsa_dx10_clamp 1
		.amdhsa_ieee_mode 1
		.amdhsa_fp16_overflow 0
		.amdhsa_tg_split 0
		.amdhsa_exception_fp_ieee_invalid_op 0
		.amdhsa_exception_fp_denorm_src 0
		.amdhsa_exception_fp_ieee_div_zero 0
		.amdhsa_exception_fp_ieee_overflow 0
		.amdhsa_exception_fp_ieee_underflow 0
		.amdhsa_exception_fp_ieee_inexact 0
		.amdhsa_exception_int_div_zero 0
	.end_amdhsa_kernel
	.section	.text._ZN12_GLOBAL__N_127rocblas_gemm_batched_kernelIdLi16ELi16ELi32ELi32ELi8ELi32ELi8ELi8ELi32ELc67ELc84EKPKdS3_KPdEEvlllT_PT11_llS8_llS6_PT12_llPT13_lli,"axG",@progbits,_ZN12_GLOBAL__N_127rocblas_gemm_batched_kernelIdLi16ELi16ELi32ELi32ELi8ELi32ELi8ELi8ELi32ELc67ELc84EKPKdS3_KPdEEvlllT_PT11_llS8_llS6_PT12_llPT13_lli,comdat
.Lfunc_end220:
	.size	_ZN12_GLOBAL__N_127rocblas_gemm_batched_kernelIdLi16ELi16ELi32ELi32ELi8ELi32ELi8ELi8ELi32ELc67ELc84EKPKdS3_KPdEEvlllT_PT11_llS8_llS6_PT12_llPT13_lli, .Lfunc_end220-_ZN12_GLOBAL__N_127rocblas_gemm_batched_kernelIdLi16ELi16ELi32ELi32ELi8ELi32ELi8ELi8ELi32ELc67ELc84EKPKdS3_KPdEEvlllT_PT11_llS8_llS6_PT12_llPT13_lli
                                        ; -- End function
	.set _ZN12_GLOBAL__N_127rocblas_gemm_batched_kernelIdLi16ELi16ELi32ELi32ELi8ELi32ELi8ELi8ELi32ELc67ELc84EKPKdS3_KPdEEvlllT_PT11_llS8_llS6_PT12_llPT13_lli.num_vgpr, 62
	.set _ZN12_GLOBAL__N_127rocblas_gemm_batched_kernelIdLi16ELi16ELi32ELi32ELi8ELi32ELi8ELi8ELi32ELc67ELc84EKPKdS3_KPdEEvlllT_PT11_llS8_llS6_PT12_llPT13_lli.num_agpr, 0
	.set _ZN12_GLOBAL__N_127rocblas_gemm_batched_kernelIdLi16ELi16ELi32ELi32ELi8ELi32ELi8ELi8ELi32ELc67ELc84EKPKdS3_KPdEEvlllT_PT11_llS8_llS6_PT12_llPT13_lli.numbered_sgpr, 44
	.set _ZN12_GLOBAL__N_127rocblas_gemm_batched_kernelIdLi16ELi16ELi32ELi32ELi8ELi32ELi8ELi8ELi32ELc67ELc84EKPKdS3_KPdEEvlllT_PT11_llS8_llS6_PT12_llPT13_lli.num_named_barrier, 0
	.set _ZN12_GLOBAL__N_127rocblas_gemm_batched_kernelIdLi16ELi16ELi32ELi32ELi8ELi32ELi8ELi8ELi32ELc67ELc84EKPKdS3_KPdEEvlllT_PT11_llS8_llS6_PT12_llPT13_lli.private_seg_size, 0
	.set _ZN12_GLOBAL__N_127rocblas_gemm_batched_kernelIdLi16ELi16ELi32ELi32ELi8ELi32ELi8ELi8ELi32ELc67ELc84EKPKdS3_KPdEEvlllT_PT11_llS8_llS6_PT12_llPT13_lli.uses_vcc, 1
	.set _ZN12_GLOBAL__N_127rocblas_gemm_batched_kernelIdLi16ELi16ELi32ELi32ELi8ELi32ELi8ELi8ELi32ELc67ELc84EKPKdS3_KPdEEvlllT_PT11_llS8_llS6_PT12_llPT13_lli.uses_flat_scratch, 0
	.set _ZN12_GLOBAL__N_127rocblas_gemm_batched_kernelIdLi16ELi16ELi32ELi32ELi8ELi32ELi8ELi8ELi32ELc67ELc84EKPKdS3_KPdEEvlllT_PT11_llS8_llS6_PT12_llPT13_lli.has_dyn_sized_stack, 0
	.set _ZN12_GLOBAL__N_127rocblas_gemm_batched_kernelIdLi16ELi16ELi32ELi32ELi8ELi32ELi8ELi8ELi32ELc67ELc84EKPKdS3_KPdEEvlllT_PT11_llS8_llS6_PT12_llPT13_lli.has_recursion, 0
	.set _ZN12_GLOBAL__N_127rocblas_gemm_batched_kernelIdLi16ELi16ELi32ELi32ELi8ELi32ELi8ELi8ELi32ELc67ELc84EKPKdS3_KPdEEvlllT_PT11_llS8_llS6_PT12_llPT13_lli.has_indirect_call, 0
	.section	.AMDGPU.csdata,"",@progbits
; Kernel info:
; codeLenInByte = 1276
; TotalNumSgprs: 50
; NumVgprs: 62
; NumAgprs: 0
; TotalNumVgprs: 62
; ScratchSize: 0
; MemoryBound: 0
; FloatMode: 240
; IeeeMode: 1
; LDSByteSize: 4096 bytes/workgroup (compile time only)
; SGPRBlocks: 6
; VGPRBlocks: 7
; NumSGPRsForWavesPerEU: 50
; NumVGPRsForWavesPerEU: 62
; AccumOffset: 64
; Occupancy: 8
; WaveLimiterHint : 1
; COMPUTE_PGM_RSRC2:SCRATCH_EN: 0
; COMPUTE_PGM_RSRC2:USER_SGPR: 2
; COMPUTE_PGM_RSRC2:TRAP_HANDLER: 0
; COMPUTE_PGM_RSRC2:TGID_X_EN: 1
; COMPUTE_PGM_RSRC2:TGID_Y_EN: 1
; COMPUTE_PGM_RSRC2:TGID_Z_EN: 1
; COMPUTE_PGM_RSRC2:TIDIG_COMP_CNT: 1
; COMPUTE_PGM_RSRC3_GFX90A:ACCUM_OFFSET: 15
; COMPUTE_PGM_RSRC3_GFX90A:TG_SPLIT: 0
	.section	.text._ZN12_GLOBAL__N_127rocblas_gemm_batched_kernelIdLi16ELi16ELi32ELi32ELi8ELi32ELi8ELi8ELi32ELc78ELc67EKPKdS3_KPdEEvlllT_PT11_llS8_llS6_PT12_llPT13_lli,"axG",@progbits,_ZN12_GLOBAL__N_127rocblas_gemm_batched_kernelIdLi16ELi16ELi32ELi32ELi8ELi32ELi8ELi8ELi32ELc78ELc67EKPKdS3_KPdEEvlllT_PT11_llS8_llS6_PT12_llPT13_lli,comdat
	.globl	_ZN12_GLOBAL__N_127rocblas_gemm_batched_kernelIdLi16ELi16ELi32ELi32ELi8ELi32ELi8ELi8ELi32ELc78ELc67EKPKdS3_KPdEEvlllT_PT11_llS8_llS6_PT12_llPT13_lli ; -- Begin function _ZN12_GLOBAL__N_127rocblas_gemm_batched_kernelIdLi16ELi16ELi32ELi32ELi8ELi32ELi8ELi8ELi32ELc78ELc67EKPKdS3_KPdEEvlllT_PT11_llS8_llS6_PT12_llPT13_lli
	.p2align	8
	.type	_ZN12_GLOBAL__N_127rocblas_gemm_batched_kernelIdLi16ELi16ELi32ELi32ELi8ELi32ELi8ELi8ELi32ELc78ELc67EKPKdS3_KPdEEvlllT_PT11_llS8_llS6_PT12_llPT13_lli,@function
_ZN12_GLOBAL__N_127rocblas_gemm_batched_kernelIdLi16ELi16ELi32ELi32ELi8ELi32ELi8ELi8ELi32ELc78ELc67EKPKdS3_KPdEEvlllT_PT11_llS8_llS6_PT12_llPT13_lli: ; @_ZN12_GLOBAL__N_127rocblas_gemm_batched_kernelIdLi16ELi16ELi32ELi32ELi8ELi32ELi8ELi8ELi32ELc78ELc67EKPKdS3_KPdEEvlllT_PT11_llS8_llS6_PT12_llPT13_lli
; %bb.0:
	s_load_dwordx16 s[8:23], s[0:1], 0x10
	s_load_dwordx8 s[36:43], s[0:1], 0x70
	s_load_dwordx8 s[24:31], s[0:1], 0x50
	s_mov_b32 s5, 0
	s_lshl_b64 s[34:35], s[4:5], 3
	s_mov_b32 s6, s3
	v_mov_b32_e32 v3, 0
	s_waitcnt lgkmcnt(0)
	s_add_u32 s0, s26, s34
	s_addc_u32 s1, s27, s35
	s_add_u32 s4, s36, s34
	s_addc_u32 s5, s37, s35
	s_load_dwordx2 s[0:1], s[0:1], 0x0
	s_ashr_i32 s3, s2, 31
	s_load_dwordx2 s[4:5], s[4:5], 0x0
	s_ashr_i32 s7, s6, 31
	v_cmp_lt_i64_e64 s[26:27], s[8:9], 1
	v_bfe_u32 v2, v0, 10, 10
	v_and_b32_e32 v0, 0x3ff, v0
	v_mov_b32_e32 v1, v3
	s_lshl_b64 s[2:3], s[2:3], 5
	s_lshl_b64 s[6:7], s[6:7], 5
	s_and_b64 vcc, exec, s[26:27]
	s_cbranch_vccnz .LBB221_3
; %bb.1:
	s_add_u32 s12, s12, s34
	s_addc_u32 s13, s13, s35
	v_lshl_add_u32 v8, v2, 4, v0
	s_load_dwordx2 s[26:27], s[12:13], 0x0
	s_add_u32 s12, s18, s34
	v_and_b32_e32 v6, 31, v8
	s_addc_u32 s13, s19, s35
	v_lshrrev_b32_e32 v4, 3, v8
	v_and_b32_e32 v9, 7, v0
	v_lshrrev_b32_e32 v10, 5, v8
	v_lshlrev_b32_e32 v8, 3, v6
	s_load_dwordx2 s[12:13], s[12:13], 0x0
	v_lshl_or_b32 v18, v10, 8, v8
	v_lshlrev_b32_e32 v8, 3, v9
	v_mov_b32_e32 v5, v3
	v_lshl_or_b32 v8, v4, 6, v8
	v_add_u32_e32 v19, 0x800, v8
	v_mov_b32_e32 v8, 0x800
	s_lshl_b64 s[18:19], s[22:23], 3
	v_mad_u64_u32 v[4:5], s[22:23], s20, v9, v[4:5]
	v_lshl_add_u32 v21, v2, 6, v8
	v_mov_b32_e32 v8, v5
	v_mad_u64_u32 v[8:9], s[22:23], s21, v9, v[8:9]
	v_mov_b32_e32 v5, v8
	s_waitcnt lgkmcnt(0)
	s_add_u32 s12, s12, s18
	v_lshl_add_u64 v[4:5], v[4:5], 0, s[6:7]
	s_addc_u32 s13, s13, s19
	v_lshl_add_u64 v[12:13], v[4:5], 3, s[12:13]
	v_mov_b64_e32 v[4:5], s[2:3]
	v_mad_u64_u32 v[4:5], s[18:19], s14, v10, v[4:5]
	v_mov_b32_e32 v8, v5
	s_lshl_b64 s[12:13], s[20:21], 6
	s_lshl_b64 s[16:17], s[16:17], 3
	v_mad_u64_u32 v[8:9], s[18:19], s15, v10, v[8:9]
	v_mov_b32_e32 v7, v3
	v_mov_b32_e32 v5, v8
	s_add_u32 s16, s26, s16
	v_lshl_add_u64 v[4:5], v[4:5], 0, v[6:7]
	s_addc_u32 s17, s27, s17
	v_lshlrev_b32_e32 v20, 3, v0
	v_lshl_add_u64 v[14:15], v[4:5], 3, s[16:17]
	s_lshl_b64 s[14:15], s[14:15], 6
	s_mov_b64 s[16:17], 0
	v_mov_b64_e32 v[4:5], 0
	v_mov_b64_e32 v[16:17], s[8:9]
	v_mov_b64_e32 v[6:7], 0
	v_mov_b64_e32 v[8:9], 0
	v_mov_b64_e32 v[10:11], 0
.LBB221_2:                              ; =>This Inner Loop Header: Depth=1
	flat_load_dwordx2 v[22:23], v[14:15]
	s_add_u32 s16, s16, 8
	s_addc_u32 s17, s17, 0
	v_cmp_lt_i64_e32 vcc, s[16:17], v[16:17]
	v_lshl_add_u64 v[14:15], v[14:15], 0, s[14:15]
	s_and_b64 vcc, exec, vcc
	s_waitcnt vmcnt(0) lgkmcnt(0)
	ds_write_b64 v18, v[22:23]
	flat_load_dwordx2 v[22:23], v[12:13]
	v_lshl_add_u64 v[12:13], v[12:13], 0, s[12:13]
	s_waitcnt vmcnt(0) lgkmcnt(0)
	ds_write_b64 v19, v[22:23]
	s_waitcnt lgkmcnt(0)
	s_barrier
	ds_read_b128 v[22:25], v21
	ds_read_b128 v[26:29], v21 offset:16
	ds_read_b128 v[30:33], v21 offset:32
	;; [unrolled: 1-line block ×3, first 2 shown]
	ds_read2_b64 v[38:41], v20 offset1:16
	ds_read2_b64 v[42:45], v20 offset0:32 offset1:48
	ds_read2_b64 v[46:49], v20 offset0:64 offset1:80
	ds_read_b128 v[50:53], v21 offset:1024
	ds_read_b128 v[54:57], v21 offset:1040
	ds_read2_b64 v[58:61], v20 offset0:96 offset1:112
	s_waitcnt lgkmcnt(5)
	v_fmac_f64_e32 v[10:11], v[38:39], v[22:23]
	v_fmac_f64_e32 v[8:9], v[40:41], v[22:23]
	s_waitcnt lgkmcnt(2)
	v_fmac_f64_e32 v[6:7], v[38:39], v[50:51]
	v_fmac_f64_e32 v[4:5], v[40:41], v[50:51]
	ds_read2_b64 v[38:41], v20 offset0:128 offset1:144
	v_fmac_f64_e32 v[10:11], v[42:43], v[24:25]
	v_fmac_f64_e32 v[8:9], v[44:45], v[24:25]
	ds_read_b128 v[22:25], v21 offset:1056
	v_fmac_f64_e32 v[6:7], v[42:43], v[52:53]
	v_fmac_f64_e32 v[4:5], v[44:45], v[52:53]
	ds_read2_b64 v[42:45], v20 offset0:160 offset1:176
	ds_read2_b64 v[50:53], v20 offset0:192 offset1:208
	v_fmac_f64_e32 v[10:11], v[46:47], v[26:27]
	v_fmac_f64_e32 v[8:9], v[48:49], v[26:27]
	s_waitcnt lgkmcnt(5)
	v_fmac_f64_e32 v[6:7], v[46:47], v[54:55]
	v_fmac_f64_e32 v[4:5], v[48:49], v[54:55]
	ds_read_b128 v[46:49], v21 offset:1072
	s_waitcnt lgkmcnt(5)
	v_fmac_f64_e32 v[10:11], v[58:59], v[28:29]
	v_fmac_f64_e32 v[8:9], v[60:61], v[28:29]
	ds_read2_b64 v[26:29], v20 offset0:224 offset1:240
	v_fmac_f64_e32 v[6:7], v[58:59], v[56:57]
	v_fmac_f64_e32 v[4:5], v[60:61], v[56:57]
	s_waitcnt lgkmcnt(5)
	v_fmac_f64_e32 v[10:11], v[38:39], v[30:31]
	v_fmac_f64_e32 v[8:9], v[40:41], v[30:31]
	s_waitcnt lgkmcnt(4)
	;; [unrolled: 3-line block ×3, first 2 shown]
	v_fmac_f64_e32 v[10:11], v[42:43], v[32:33]
	v_fmac_f64_e32 v[8:9], v[44:45], v[32:33]
	;; [unrolled: 1-line block ×4, first 2 shown]
	s_waitcnt lgkmcnt(2)
	v_fmac_f64_e32 v[10:11], v[50:51], v[34:35]
	v_fmac_f64_e32 v[8:9], v[52:53], v[34:35]
	s_waitcnt lgkmcnt(1)
	v_fmac_f64_e32 v[6:7], v[50:51], v[46:47]
	v_fmac_f64_e32 v[4:5], v[52:53], v[46:47]
	;; [unrolled: 3-line block ×3, first 2 shown]
	v_fmac_f64_e32 v[6:7], v[26:27], v[48:49]
	v_fmac_f64_e32 v[4:5], v[28:29], v[48:49]
	s_barrier
	s_cbranch_vccnz .LBB221_2
	s_branch .LBB221_4
.LBB221_3:
	v_mov_b64_e32 v[10:11], 0
	v_mov_b64_e32 v[8:9], 0
	v_mov_b64_e32 v[6:7], 0
	v_mov_b64_e32 v[4:5], 0
.LBB221_4:
	s_lshl_b64 s[8:9], s[40:41], 3
	s_waitcnt lgkmcnt(0)
	s_add_u32 s4, s4, s8
	s_addc_u32 s5, s5, s9
	v_lshl_add_u64 v[2:3], s[6:7], 0, v[2:3]
	v_cmp_neq_f64_e64 s[8:9], s[24:25], 0
	v_lshl_add_u64 v[0:1], s[2:3], 0, v[0:1]
	s_mov_b64 s[6:7], 0
	s_and_b64 vcc, exec, s[8:9]
	v_mul_lo_u32 v12, v3, s38
	v_mul_lo_u32 v13, v2, s39
	v_lshlrev_b64 v[0:1], 3, v[0:1]
	s_cbranch_vccnz .LBB221_8
; %bb.5:
	v_mad_u64_u32 v[14:15], s[2:3], v2, s38, 0
	v_add3_u32 v15, v15, v13, v12
	v_lshl_add_u64 v[14:15], v[14:15], 3, s[4:5]
	v_mul_f64 v[16:17], s[10:11], v[10:11]
	v_lshl_add_u64 v[18:19], v[14:15], 0, v[0:1]
	s_lshl_b64 s[2:3], s[38:39], 7
	flat_store_dwordx2 v[18:19], v[16:17]
	v_mul_f64 v[16:17], s[10:11], v[8:9]
	v_lshl_add_u64 v[14:15], v[14:15], 0, s[2:3]
	flat_store_dwordx2 v[18:19], v[16:17] offset:128
	v_mul_f64 v[16:17], s[10:11], v[6:7]
	v_lshl_add_u64 v[14:15], v[14:15], 0, v[0:1]
	flat_store_dwordx2 v[14:15], v[16:17]
	v_mul_f64 v[16:17], s[10:11], v[4:5]
	flat_store_dwordx2 v[14:15], v[16:17] offset:128
	s_andn2_b64 vcc, exec, s[6:7]
	s_cbranch_vccnz .LBB221_7
.LBB221_6:
	s_lshl_b64 s[2:3], s[30:31], 3
	s_add_u32 s0, s0, s2
	s_addc_u32 s1, s1, s3
	v_mul_lo_u32 v3, v3, s28
	v_mul_lo_u32 v16, v2, s29
	v_mad_u64_u32 v[14:15], s[2:3], v2, s28, 0
	v_add3_u32 v15, v15, v16, v3
	v_lshl_add_u64 v[14:15], v[14:15], 3, s[0:1]
	v_lshl_add_u64 v[16:17], v[14:15], 0, v[0:1]
	flat_load_dwordx2 v[18:19], v[16:17]
	v_mad_u64_u32 v[2:3], s[0:1], v2, s38, 0
	v_add3_u32 v3, v3, v13, v12
	v_lshl_add_u64 v[2:3], v[2:3], 3, s[4:5]
	v_lshl_add_u64 v[12:13], v[2:3], 0, v[0:1]
	s_lshl_b64 s[0:1], s[28:29], 7
	v_lshl_add_u64 v[14:15], v[14:15], 0, s[0:1]
	v_lshl_add_u64 v[14:15], v[14:15], 0, v[0:1]
	s_lshl_b64 s[0:1], s[38:39], 7
	v_lshl_add_u64 v[2:3], v[2:3], 0, s[0:1]
	v_lshl_add_u64 v[0:1], v[2:3], 0, v[0:1]
	s_waitcnt vmcnt(0) lgkmcnt(0)
	v_mul_f64 v[18:19], s[24:25], v[18:19]
	v_fmac_f64_e32 v[18:19], s[10:11], v[10:11]
	flat_store_dwordx2 v[12:13], v[18:19]
	flat_load_dwordx2 v[10:11], v[16:17] offset:128
	s_waitcnt vmcnt(0) lgkmcnt(0)
	v_mul_f64 v[10:11], s[24:25], v[10:11]
	v_fmac_f64_e32 v[10:11], s[10:11], v[8:9]
	flat_store_dwordx2 v[12:13], v[10:11] offset:128
	flat_load_dwordx2 v[8:9], v[14:15]
	s_waitcnt vmcnt(0) lgkmcnt(0)
	v_mul_f64 v[8:9], s[24:25], v[8:9]
	v_fmac_f64_e32 v[8:9], s[10:11], v[6:7]
	flat_store_dwordx2 v[0:1], v[8:9]
	flat_load_dwordx2 v[2:3], v[14:15] offset:128
	s_waitcnt vmcnt(0) lgkmcnt(0)
	v_mul_f64 v[2:3], s[24:25], v[2:3]
	v_fmac_f64_e32 v[2:3], s[10:11], v[4:5]
	flat_store_dwordx2 v[0:1], v[2:3] offset:128
.LBB221_7:
	s_endpgm
.LBB221_8:
	s_branch .LBB221_6
	.section	.rodata,"a",@progbits
	.p2align	6, 0x0
	.amdhsa_kernel _ZN12_GLOBAL__N_127rocblas_gemm_batched_kernelIdLi16ELi16ELi32ELi32ELi8ELi32ELi8ELi8ELi32ELc78ELc67EKPKdS3_KPdEEvlllT_PT11_llS8_llS6_PT12_llPT13_lli
		.amdhsa_group_segment_fixed_size 4096
		.amdhsa_private_segment_fixed_size 0
		.amdhsa_kernarg_size 140
		.amdhsa_user_sgpr_count 2
		.amdhsa_user_sgpr_dispatch_ptr 0
		.amdhsa_user_sgpr_queue_ptr 0
		.amdhsa_user_sgpr_kernarg_segment_ptr 1
		.amdhsa_user_sgpr_dispatch_id 0
		.amdhsa_user_sgpr_kernarg_preload_length 0
		.amdhsa_user_sgpr_kernarg_preload_offset 0
		.amdhsa_user_sgpr_private_segment_size 0
		.amdhsa_uses_dynamic_stack 0
		.amdhsa_enable_private_segment 0
		.amdhsa_system_sgpr_workgroup_id_x 1
		.amdhsa_system_sgpr_workgroup_id_y 1
		.amdhsa_system_sgpr_workgroup_id_z 1
		.amdhsa_system_sgpr_workgroup_info 0
		.amdhsa_system_vgpr_workitem_id 1
		.amdhsa_next_free_vgpr 62
		.amdhsa_next_free_sgpr 44
		.amdhsa_accum_offset 64
		.amdhsa_reserve_vcc 1
		.amdhsa_float_round_mode_32 0
		.amdhsa_float_round_mode_16_64 0
		.amdhsa_float_denorm_mode_32 3
		.amdhsa_float_denorm_mode_16_64 3
		.amdhsa_dx10_clamp 1
		.amdhsa_ieee_mode 1
		.amdhsa_fp16_overflow 0
		.amdhsa_tg_split 0
		.amdhsa_exception_fp_ieee_invalid_op 0
		.amdhsa_exception_fp_denorm_src 0
		.amdhsa_exception_fp_ieee_div_zero 0
		.amdhsa_exception_fp_ieee_overflow 0
		.amdhsa_exception_fp_ieee_underflow 0
		.amdhsa_exception_fp_ieee_inexact 0
		.amdhsa_exception_int_div_zero 0
	.end_amdhsa_kernel
	.section	.text._ZN12_GLOBAL__N_127rocblas_gemm_batched_kernelIdLi16ELi16ELi32ELi32ELi8ELi32ELi8ELi8ELi32ELc78ELc67EKPKdS3_KPdEEvlllT_PT11_llS8_llS6_PT12_llPT13_lli,"axG",@progbits,_ZN12_GLOBAL__N_127rocblas_gemm_batched_kernelIdLi16ELi16ELi32ELi32ELi8ELi32ELi8ELi8ELi32ELc78ELc67EKPKdS3_KPdEEvlllT_PT11_llS8_llS6_PT12_llPT13_lli,comdat
.Lfunc_end221:
	.size	_ZN12_GLOBAL__N_127rocblas_gemm_batched_kernelIdLi16ELi16ELi32ELi32ELi8ELi32ELi8ELi8ELi32ELc78ELc67EKPKdS3_KPdEEvlllT_PT11_llS8_llS6_PT12_llPT13_lli, .Lfunc_end221-_ZN12_GLOBAL__N_127rocblas_gemm_batched_kernelIdLi16ELi16ELi32ELi32ELi8ELi32ELi8ELi8ELi32ELc78ELc67EKPKdS3_KPdEEvlllT_PT11_llS8_llS6_PT12_llPT13_lli
                                        ; -- End function
	.set _ZN12_GLOBAL__N_127rocblas_gemm_batched_kernelIdLi16ELi16ELi32ELi32ELi8ELi32ELi8ELi8ELi32ELc78ELc67EKPKdS3_KPdEEvlllT_PT11_llS8_llS6_PT12_llPT13_lli.num_vgpr, 62
	.set _ZN12_GLOBAL__N_127rocblas_gemm_batched_kernelIdLi16ELi16ELi32ELi32ELi8ELi32ELi8ELi8ELi32ELc78ELc67EKPKdS3_KPdEEvlllT_PT11_llS8_llS6_PT12_llPT13_lli.num_agpr, 0
	.set _ZN12_GLOBAL__N_127rocblas_gemm_batched_kernelIdLi16ELi16ELi32ELi32ELi8ELi32ELi8ELi8ELi32ELc78ELc67EKPKdS3_KPdEEvlllT_PT11_llS8_llS6_PT12_llPT13_lli.numbered_sgpr, 44
	.set _ZN12_GLOBAL__N_127rocblas_gemm_batched_kernelIdLi16ELi16ELi32ELi32ELi8ELi32ELi8ELi8ELi32ELc78ELc67EKPKdS3_KPdEEvlllT_PT11_llS8_llS6_PT12_llPT13_lli.num_named_barrier, 0
	.set _ZN12_GLOBAL__N_127rocblas_gemm_batched_kernelIdLi16ELi16ELi32ELi32ELi8ELi32ELi8ELi8ELi32ELc78ELc67EKPKdS3_KPdEEvlllT_PT11_llS8_llS6_PT12_llPT13_lli.private_seg_size, 0
	.set _ZN12_GLOBAL__N_127rocblas_gemm_batched_kernelIdLi16ELi16ELi32ELi32ELi8ELi32ELi8ELi8ELi32ELc78ELc67EKPKdS3_KPdEEvlllT_PT11_llS8_llS6_PT12_llPT13_lli.uses_vcc, 1
	.set _ZN12_GLOBAL__N_127rocblas_gemm_batched_kernelIdLi16ELi16ELi32ELi32ELi8ELi32ELi8ELi8ELi32ELc78ELc67EKPKdS3_KPdEEvlllT_PT11_llS8_llS6_PT12_llPT13_lli.uses_flat_scratch, 0
	.set _ZN12_GLOBAL__N_127rocblas_gemm_batched_kernelIdLi16ELi16ELi32ELi32ELi8ELi32ELi8ELi8ELi32ELc78ELc67EKPKdS3_KPdEEvlllT_PT11_llS8_llS6_PT12_llPT13_lli.has_dyn_sized_stack, 0
	.set _ZN12_GLOBAL__N_127rocblas_gemm_batched_kernelIdLi16ELi16ELi32ELi32ELi8ELi32ELi8ELi8ELi32ELc78ELc67EKPKdS3_KPdEEvlllT_PT11_llS8_llS6_PT12_llPT13_lli.has_recursion, 0
	.set _ZN12_GLOBAL__N_127rocblas_gemm_batched_kernelIdLi16ELi16ELi32ELi32ELi8ELi32ELi8ELi8ELi32ELc78ELc67EKPKdS3_KPdEEvlllT_PT11_llS8_llS6_PT12_llPT13_lli.has_indirect_call, 0
	.section	.AMDGPU.csdata,"",@progbits
; Kernel info:
; codeLenInByte = 1260
; TotalNumSgprs: 50
; NumVgprs: 62
; NumAgprs: 0
; TotalNumVgprs: 62
; ScratchSize: 0
; MemoryBound: 0
; FloatMode: 240
; IeeeMode: 1
; LDSByteSize: 4096 bytes/workgroup (compile time only)
; SGPRBlocks: 6
; VGPRBlocks: 7
; NumSGPRsForWavesPerEU: 50
; NumVGPRsForWavesPerEU: 62
; AccumOffset: 64
; Occupancy: 8
; WaveLimiterHint : 1
; COMPUTE_PGM_RSRC2:SCRATCH_EN: 0
; COMPUTE_PGM_RSRC2:USER_SGPR: 2
; COMPUTE_PGM_RSRC2:TRAP_HANDLER: 0
; COMPUTE_PGM_RSRC2:TGID_X_EN: 1
; COMPUTE_PGM_RSRC2:TGID_Y_EN: 1
; COMPUTE_PGM_RSRC2:TGID_Z_EN: 1
; COMPUTE_PGM_RSRC2:TIDIG_COMP_CNT: 1
; COMPUTE_PGM_RSRC3_GFX90A:ACCUM_OFFSET: 15
; COMPUTE_PGM_RSRC3_GFX90A:TG_SPLIT: 0
	.section	.text._ZN12_GLOBAL__N_127rocblas_gemm_batched_kernelIdLi16ELi16ELi32ELi32ELi8ELi32ELi8ELi8ELi32ELc84ELc67EKPKdS3_KPdEEvlllT_PT11_llS8_llS6_PT12_llPT13_lli,"axG",@progbits,_ZN12_GLOBAL__N_127rocblas_gemm_batched_kernelIdLi16ELi16ELi32ELi32ELi8ELi32ELi8ELi8ELi32ELc84ELc67EKPKdS3_KPdEEvlllT_PT11_llS8_llS6_PT12_llPT13_lli,comdat
	.globl	_ZN12_GLOBAL__N_127rocblas_gemm_batched_kernelIdLi16ELi16ELi32ELi32ELi8ELi32ELi8ELi8ELi32ELc84ELc67EKPKdS3_KPdEEvlllT_PT11_llS8_llS6_PT12_llPT13_lli ; -- Begin function _ZN12_GLOBAL__N_127rocblas_gemm_batched_kernelIdLi16ELi16ELi32ELi32ELi8ELi32ELi8ELi8ELi32ELc84ELc67EKPKdS3_KPdEEvlllT_PT11_llS8_llS6_PT12_llPT13_lli
	.p2align	8
	.type	_ZN12_GLOBAL__N_127rocblas_gemm_batched_kernelIdLi16ELi16ELi32ELi32ELi8ELi32ELi8ELi8ELi32ELc84ELc67EKPKdS3_KPdEEvlllT_PT11_llS8_llS6_PT12_llPT13_lli,@function
_ZN12_GLOBAL__N_127rocblas_gemm_batched_kernelIdLi16ELi16ELi32ELi32ELi8ELi32ELi8ELi8ELi32ELc84ELc67EKPKdS3_KPdEEvlllT_PT11_llS8_llS6_PT12_llPT13_lli: ; @_ZN12_GLOBAL__N_127rocblas_gemm_batched_kernelIdLi16ELi16ELi32ELi32ELi8ELi32ELi8ELi8ELi32ELc84ELc67EKPKdS3_KPdEEvlllT_PT11_llS8_llS6_PT12_llPT13_lli
; %bb.0:
	s_load_dwordx16 s[8:23], s[0:1], 0x10
	s_load_dwordx8 s[36:43], s[0:1], 0x70
	s_load_dwordx8 s[24:31], s[0:1], 0x50
	s_mov_b32 s5, 0
	s_lshl_b64 s[34:35], s[4:5], 3
	s_mov_b32 s6, s3
	v_mov_b32_e32 v3, 0
	s_waitcnt lgkmcnt(0)
	s_add_u32 s0, s26, s34
	s_addc_u32 s1, s27, s35
	s_add_u32 s4, s36, s34
	s_addc_u32 s5, s37, s35
	s_load_dwordx2 s[0:1], s[0:1], 0x0
	s_ashr_i32 s3, s2, 31
	s_load_dwordx2 s[4:5], s[4:5], 0x0
	s_ashr_i32 s7, s6, 31
	v_cmp_lt_i64_e64 s[26:27], s[8:9], 1
	v_bfe_u32 v2, v0, 10, 10
	v_and_b32_e32 v0, 0x3ff, v0
	v_mov_b32_e32 v1, v3
	s_lshl_b64 s[2:3], s[2:3], 5
	s_lshl_b64 s[6:7], s[6:7], 5
	s_and_b64 vcc, exec, s[26:27]
	s_cbranch_vccnz .LBB222_3
; %bb.1:
	s_add_u32 s12, s12, s34
	s_addc_u32 s13, s13, s35
	v_lshl_add_u32 v8, v2, 4, v0
	s_load_dwordx2 s[26:27], s[12:13], 0x0
	s_add_u32 s12, s18, s34
	v_and_b32_e32 v6, 31, v8
	s_addc_u32 s13, s19, s35
	v_lshrrev_b32_e32 v4, 3, v8
	v_and_b32_e32 v9, 7, v0
	v_lshrrev_b32_e32 v10, 5, v8
	v_lshlrev_b32_e32 v8, 3, v6
	s_load_dwordx2 s[12:13], s[12:13], 0x0
	v_lshl_or_b32 v18, v10, 8, v8
	v_lshlrev_b32_e32 v8, 3, v9
	v_mov_b32_e32 v5, v3
	v_lshl_or_b32 v8, v4, 6, v8
	v_add_u32_e32 v19, 0x800, v8
	v_mov_b32_e32 v8, 0x800
	s_lshl_b64 s[18:19], s[22:23], 3
	v_mad_u64_u32 v[4:5], s[22:23], s20, v9, v[4:5]
	v_lshl_add_u32 v21, v2, 6, v8
	v_mov_b32_e32 v8, v5
	v_mad_u64_u32 v[8:9], s[22:23], s21, v9, v[8:9]
	v_mov_b32_e32 v5, v8
	s_waitcnt lgkmcnt(0)
	s_add_u32 s12, s12, s18
	v_mov_b32_e32 v7, v3
	v_lshl_add_u64 v[4:5], v[4:5], 0, s[6:7]
	s_addc_u32 s13, s13, s19
	v_lshl_add_u64 v[12:13], v[4:5], 3, s[12:13]
	v_lshl_add_u64 v[4:5], s[2:3], 0, v[6:7]
	v_mul_lo_u32 v6, s15, v4
	v_mul_lo_u32 v7, s14, v5
	v_mad_u64_u32 v[4:5], s[14:15], s14, v4, 0
	v_add3_u32 v5, v5, v7, v6
	s_lshl_b64 s[14:15], s[16:17], 3
	v_lshl_add_u64 v[4:5], v[4:5], 3, s[14:15]
	v_lshlrev_b32_e32 v6, 3, v10
	v_mov_b32_e32 v7, v3
	v_lshl_add_u64 v[4:5], v[4:5], 0, v[6:7]
	v_lshlrev_b32_e32 v20, 3, v0
	s_lshl_b64 s[12:13], s[20:21], 6
	v_lshl_add_u64 v[14:15], s[26:27], 0, v[4:5]
	s_mov_b64 s[14:15], 0
	v_mov_b64_e32 v[4:5], 0
	v_mov_b64_e32 v[16:17], s[8:9]
	;; [unrolled: 1-line block ×5, first 2 shown]
.LBB222_2:                              ; =>This Inner Loop Header: Depth=1
	flat_load_dwordx2 v[22:23], v[14:15]
	s_add_u32 s14, s14, 8
	s_addc_u32 s15, s15, 0
	v_cmp_lt_i64_e32 vcc, s[14:15], v[16:17]
	v_lshl_add_u64 v[14:15], v[14:15], 0, 64
	s_and_b64 vcc, exec, vcc
	s_waitcnt vmcnt(0) lgkmcnt(0)
	ds_write_b64 v18, v[22:23]
	flat_load_dwordx2 v[22:23], v[12:13]
	v_lshl_add_u64 v[12:13], v[12:13], 0, s[12:13]
	s_waitcnt vmcnt(0) lgkmcnt(0)
	ds_write_b64 v19, v[22:23]
	s_waitcnt lgkmcnt(0)
	s_barrier
	ds_read_b128 v[22:25], v21
	ds_read_b128 v[26:29], v21 offset:16
	ds_read_b128 v[30:33], v21 offset:32
	;; [unrolled: 1-line block ×3, first 2 shown]
	ds_read2_b64 v[38:41], v20 offset1:16
	ds_read2_b64 v[42:45], v20 offset0:32 offset1:48
	ds_read2_b64 v[46:49], v20 offset0:64 offset1:80
	ds_read_b128 v[50:53], v21 offset:1024
	ds_read_b128 v[54:57], v21 offset:1040
	ds_read2_b64 v[58:61], v20 offset0:96 offset1:112
	s_waitcnt lgkmcnt(5)
	v_fmac_f64_e32 v[10:11], v[38:39], v[22:23]
	v_fmac_f64_e32 v[8:9], v[40:41], v[22:23]
	s_waitcnt lgkmcnt(2)
	v_fmac_f64_e32 v[6:7], v[38:39], v[50:51]
	v_fmac_f64_e32 v[4:5], v[40:41], v[50:51]
	ds_read2_b64 v[38:41], v20 offset0:128 offset1:144
	v_fmac_f64_e32 v[10:11], v[42:43], v[24:25]
	v_fmac_f64_e32 v[8:9], v[44:45], v[24:25]
	ds_read_b128 v[22:25], v21 offset:1056
	v_fmac_f64_e32 v[6:7], v[42:43], v[52:53]
	v_fmac_f64_e32 v[4:5], v[44:45], v[52:53]
	ds_read2_b64 v[42:45], v20 offset0:160 offset1:176
	ds_read2_b64 v[50:53], v20 offset0:192 offset1:208
	v_fmac_f64_e32 v[10:11], v[46:47], v[26:27]
	v_fmac_f64_e32 v[8:9], v[48:49], v[26:27]
	s_waitcnt lgkmcnt(5)
	v_fmac_f64_e32 v[6:7], v[46:47], v[54:55]
	v_fmac_f64_e32 v[4:5], v[48:49], v[54:55]
	ds_read_b128 v[46:49], v21 offset:1072
	s_waitcnt lgkmcnt(5)
	v_fmac_f64_e32 v[10:11], v[58:59], v[28:29]
	v_fmac_f64_e32 v[8:9], v[60:61], v[28:29]
	ds_read2_b64 v[26:29], v20 offset0:224 offset1:240
	v_fmac_f64_e32 v[6:7], v[58:59], v[56:57]
	v_fmac_f64_e32 v[4:5], v[60:61], v[56:57]
	s_waitcnt lgkmcnt(5)
	v_fmac_f64_e32 v[10:11], v[38:39], v[30:31]
	v_fmac_f64_e32 v[8:9], v[40:41], v[30:31]
	s_waitcnt lgkmcnt(4)
	v_fmac_f64_e32 v[6:7], v[38:39], v[22:23]
	v_fmac_f64_e32 v[4:5], v[40:41], v[22:23]
	s_waitcnt lgkmcnt(3)
	v_fmac_f64_e32 v[10:11], v[42:43], v[32:33]
	v_fmac_f64_e32 v[8:9], v[44:45], v[32:33]
	;; [unrolled: 1-line block ×4, first 2 shown]
	s_waitcnt lgkmcnt(2)
	v_fmac_f64_e32 v[10:11], v[50:51], v[34:35]
	v_fmac_f64_e32 v[8:9], v[52:53], v[34:35]
	s_waitcnt lgkmcnt(1)
	v_fmac_f64_e32 v[6:7], v[50:51], v[46:47]
	v_fmac_f64_e32 v[4:5], v[52:53], v[46:47]
	;; [unrolled: 3-line block ×3, first 2 shown]
	v_fmac_f64_e32 v[6:7], v[26:27], v[48:49]
	v_fmac_f64_e32 v[4:5], v[28:29], v[48:49]
	s_barrier
	s_cbranch_vccnz .LBB222_2
	s_branch .LBB222_4
.LBB222_3:
	v_mov_b64_e32 v[10:11], 0
	v_mov_b64_e32 v[8:9], 0
	;; [unrolled: 1-line block ×4, first 2 shown]
.LBB222_4:
	s_lshl_b64 s[8:9], s[40:41], 3
	s_waitcnt lgkmcnt(0)
	s_add_u32 s4, s4, s8
	s_addc_u32 s5, s5, s9
	v_lshl_add_u64 v[2:3], s[6:7], 0, v[2:3]
	v_cmp_neq_f64_e64 s[8:9], s[24:25], 0
	v_lshl_add_u64 v[0:1], s[2:3], 0, v[0:1]
	s_mov_b64 s[6:7], 0
	s_and_b64 vcc, exec, s[8:9]
	v_mul_lo_u32 v12, v3, s38
	v_mul_lo_u32 v13, v2, s39
	v_lshlrev_b64 v[0:1], 3, v[0:1]
	s_cbranch_vccnz .LBB222_8
; %bb.5:
	v_mad_u64_u32 v[14:15], s[2:3], v2, s38, 0
	v_add3_u32 v15, v15, v13, v12
	v_lshl_add_u64 v[14:15], v[14:15], 3, s[4:5]
	v_mul_f64 v[16:17], s[10:11], v[10:11]
	v_lshl_add_u64 v[18:19], v[14:15], 0, v[0:1]
	s_lshl_b64 s[2:3], s[38:39], 7
	flat_store_dwordx2 v[18:19], v[16:17]
	v_mul_f64 v[16:17], s[10:11], v[8:9]
	v_lshl_add_u64 v[14:15], v[14:15], 0, s[2:3]
	flat_store_dwordx2 v[18:19], v[16:17] offset:128
	v_mul_f64 v[16:17], s[10:11], v[6:7]
	v_lshl_add_u64 v[14:15], v[14:15], 0, v[0:1]
	flat_store_dwordx2 v[14:15], v[16:17]
	v_mul_f64 v[16:17], s[10:11], v[4:5]
	flat_store_dwordx2 v[14:15], v[16:17] offset:128
	s_andn2_b64 vcc, exec, s[6:7]
	s_cbranch_vccnz .LBB222_7
.LBB222_6:
	s_lshl_b64 s[2:3], s[30:31], 3
	s_add_u32 s0, s0, s2
	s_addc_u32 s1, s1, s3
	v_mul_lo_u32 v3, v3, s28
	v_mul_lo_u32 v16, v2, s29
	v_mad_u64_u32 v[14:15], s[2:3], v2, s28, 0
	v_add3_u32 v15, v15, v16, v3
	v_lshl_add_u64 v[14:15], v[14:15], 3, s[0:1]
	v_lshl_add_u64 v[16:17], v[14:15], 0, v[0:1]
	flat_load_dwordx2 v[18:19], v[16:17]
	v_mad_u64_u32 v[2:3], s[0:1], v2, s38, 0
	v_add3_u32 v3, v3, v13, v12
	v_lshl_add_u64 v[2:3], v[2:3], 3, s[4:5]
	v_lshl_add_u64 v[12:13], v[2:3], 0, v[0:1]
	s_lshl_b64 s[0:1], s[28:29], 7
	v_lshl_add_u64 v[14:15], v[14:15], 0, s[0:1]
	v_lshl_add_u64 v[14:15], v[14:15], 0, v[0:1]
	s_lshl_b64 s[0:1], s[38:39], 7
	v_lshl_add_u64 v[2:3], v[2:3], 0, s[0:1]
	v_lshl_add_u64 v[0:1], v[2:3], 0, v[0:1]
	s_waitcnt vmcnt(0) lgkmcnt(0)
	v_mul_f64 v[18:19], s[24:25], v[18:19]
	v_fmac_f64_e32 v[18:19], s[10:11], v[10:11]
	flat_store_dwordx2 v[12:13], v[18:19]
	flat_load_dwordx2 v[10:11], v[16:17] offset:128
	s_waitcnt vmcnt(0) lgkmcnt(0)
	v_mul_f64 v[10:11], s[24:25], v[10:11]
	v_fmac_f64_e32 v[10:11], s[10:11], v[8:9]
	flat_store_dwordx2 v[12:13], v[10:11] offset:128
	flat_load_dwordx2 v[8:9], v[14:15]
	s_waitcnt vmcnt(0) lgkmcnt(0)
	v_mul_f64 v[8:9], s[24:25], v[8:9]
	v_fmac_f64_e32 v[8:9], s[10:11], v[6:7]
	flat_store_dwordx2 v[0:1], v[8:9]
	flat_load_dwordx2 v[2:3], v[14:15] offset:128
	s_waitcnt vmcnt(0) lgkmcnt(0)
	v_mul_f64 v[2:3], s[24:25], v[2:3]
	v_fmac_f64_e32 v[2:3], s[10:11], v[4:5]
	flat_store_dwordx2 v[0:1], v[2:3] offset:128
.LBB222_7:
	s_endpgm
.LBB222_8:
	s_branch .LBB222_6
	.section	.rodata,"a",@progbits
	.p2align	6, 0x0
	.amdhsa_kernel _ZN12_GLOBAL__N_127rocblas_gemm_batched_kernelIdLi16ELi16ELi32ELi32ELi8ELi32ELi8ELi8ELi32ELc84ELc67EKPKdS3_KPdEEvlllT_PT11_llS8_llS6_PT12_llPT13_lli
		.amdhsa_group_segment_fixed_size 4096
		.amdhsa_private_segment_fixed_size 0
		.amdhsa_kernarg_size 140
		.amdhsa_user_sgpr_count 2
		.amdhsa_user_sgpr_dispatch_ptr 0
		.amdhsa_user_sgpr_queue_ptr 0
		.amdhsa_user_sgpr_kernarg_segment_ptr 1
		.amdhsa_user_sgpr_dispatch_id 0
		.amdhsa_user_sgpr_kernarg_preload_length 0
		.amdhsa_user_sgpr_kernarg_preload_offset 0
		.amdhsa_user_sgpr_private_segment_size 0
		.amdhsa_uses_dynamic_stack 0
		.amdhsa_enable_private_segment 0
		.amdhsa_system_sgpr_workgroup_id_x 1
		.amdhsa_system_sgpr_workgroup_id_y 1
		.amdhsa_system_sgpr_workgroup_id_z 1
		.amdhsa_system_sgpr_workgroup_info 0
		.amdhsa_system_vgpr_workitem_id 1
		.amdhsa_next_free_vgpr 62
		.amdhsa_next_free_sgpr 44
		.amdhsa_accum_offset 64
		.amdhsa_reserve_vcc 1
		.amdhsa_float_round_mode_32 0
		.amdhsa_float_round_mode_16_64 0
		.amdhsa_float_denorm_mode_32 3
		.amdhsa_float_denorm_mode_16_64 3
		.amdhsa_dx10_clamp 1
		.amdhsa_ieee_mode 1
		.amdhsa_fp16_overflow 0
		.amdhsa_tg_split 0
		.amdhsa_exception_fp_ieee_invalid_op 0
		.amdhsa_exception_fp_denorm_src 0
		.amdhsa_exception_fp_ieee_div_zero 0
		.amdhsa_exception_fp_ieee_overflow 0
		.amdhsa_exception_fp_ieee_underflow 0
		.amdhsa_exception_fp_ieee_inexact 0
		.amdhsa_exception_int_div_zero 0
	.end_amdhsa_kernel
	.section	.text._ZN12_GLOBAL__N_127rocblas_gemm_batched_kernelIdLi16ELi16ELi32ELi32ELi8ELi32ELi8ELi8ELi32ELc84ELc67EKPKdS3_KPdEEvlllT_PT11_llS8_llS6_PT12_llPT13_lli,"axG",@progbits,_ZN12_GLOBAL__N_127rocblas_gemm_batched_kernelIdLi16ELi16ELi32ELi32ELi8ELi32ELi8ELi8ELi32ELc84ELc67EKPKdS3_KPdEEvlllT_PT11_llS8_llS6_PT12_llPT13_lli,comdat
.Lfunc_end222:
	.size	_ZN12_GLOBAL__N_127rocblas_gemm_batched_kernelIdLi16ELi16ELi32ELi32ELi8ELi32ELi8ELi8ELi32ELc84ELc67EKPKdS3_KPdEEvlllT_PT11_llS8_llS6_PT12_llPT13_lli, .Lfunc_end222-_ZN12_GLOBAL__N_127rocblas_gemm_batched_kernelIdLi16ELi16ELi32ELi32ELi8ELi32ELi8ELi8ELi32ELc84ELc67EKPKdS3_KPdEEvlllT_PT11_llS8_llS6_PT12_llPT13_lli
                                        ; -- End function
	.set _ZN12_GLOBAL__N_127rocblas_gemm_batched_kernelIdLi16ELi16ELi32ELi32ELi8ELi32ELi8ELi8ELi32ELc84ELc67EKPKdS3_KPdEEvlllT_PT11_llS8_llS6_PT12_llPT13_lli.num_vgpr, 62
	.set _ZN12_GLOBAL__N_127rocblas_gemm_batched_kernelIdLi16ELi16ELi32ELi32ELi8ELi32ELi8ELi8ELi32ELc84ELc67EKPKdS3_KPdEEvlllT_PT11_llS8_llS6_PT12_llPT13_lli.num_agpr, 0
	.set _ZN12_GLOBAL__N_127rocblas_gemm_batched_kernelIdLi16ELi16ELi32ELi32ELi8ELi32ELi8ELi8ELi32ELc84ELc67EKPKdS3_KPdEEvlllT_PT11_llS8_llS6_PT12_llPT13_lli.numbered_sgpr, 44
	.set _ZN12_GLOBAL__N_127rocblas_gemm_batched_kernelIdLi16ELi16ELi32ELi32ELi8ELi32ELi8ELi8ELi32ELc84ELc67EKPKdS3_KPdEEvlllT_PT11_llS8_llS6_PT12_llPT13_lli.num_named_barrier, 0
	.set _ZN12_GLOBAL__N_127rocblas_gemm_batched_kernelIdLi16ELi16ELi32ELi32ELi8ELi32ELi8ELi8ELi32ELc84ELc67EKPKdS3_KPdEEvlllT_PT11_llS8_llS6_PT12_llPT13_lli.private_seg_size, 0
	.set _ZN12_GLOBAL__N_127rocblas_gemm_batched_kernelIdLi16ELi16ELi32ELi32ELi8ELi32ELi8ELi8ELi32ELc84ELc67EKPKdS3_KPdEEvlllT_PT11_llS8_llS6_PT12_llPT13_lli.uses_vcc, 1
	.set _ZN12_GLOBAL__N_127rocblas_gemm_batched_kernelIdLi16ELi16ELi32ELi32ELi8ELi32ELi8ELi8ELi32ELc84ELc67EKPKdS3_KPdEEvlllT_PT11_llS8_llS6_PT12_llPT13_lli.uses_flat_scratch, 0
	.set _ZN12_GLOBAL__N_127rocblas_gemm_batched_kernelIdLi16ELi16ELi32ELi32ELi8ELi32ELi8ELi8ELi32ELc84ELc67EKPKdS3_KPdEEvlllT_PT11_llS8_llS6_PT12_llPT13_lli.has_dyn_sized_stack, 0
	.set _ZN12_GLOBAL__N_127rocblas_gemm_batched_kernelIdLi16ELi16ELi32ELi32ELi8ELi32ELi8ELi8ELi32ELc84ELc67EKPKdS3_KPdEEvlllT_PT11_llS8_llS6_PT12_llPT13_lli.has_recursion, 0
	.set _ZN12_GLOBAL__N_127rocblas_gemm_batched_kernelIdLi16ELi16ELi32ELi32ELi8ELi32ELi8ELi8ELi32ELc84ELc67EKPKdS3_KPdEEvlllT_PT11_llS8_llS6_PT12_llPT13_lli.has_indirect_call, 0
	.section	.AMDGPU.csdata,"",@progbits
; Kernel info:
; codeLenInByte = 1276
; TotalNumSgprs: 50
; NumVgprs: 62
; NumAgprs: 0
; TotalNumVgprs: 62
; ScratchSize: 0
; MemoryBound: 0
; FloatMode: 240
; IeeeMode: 1
; LDSByteSize: 4096 bytes/workgroup (compile time only)
; SGPRBlocks: 6
; VGPRBlocks: 7
; NumSGPRsForWavesPerEU: 50
; NumVGPRsForWavesPerEU: 62
; AccumOffset: 64
; Occupancy: 8
; WaveLimiterHint : 1
; COMPUTE_PGM_RSRC2:SCRATCH_EN: 0
; COMPUTE_PGM_RSRC2:USER_SGPR: 2
; COMPUTE_PGM_RSRC2:TRAP_HANDLER: 0
; COMPUTE_PGM_RSRC2:TGID_X_EN: 1
; COMPUTE_PGM_RSRC2:TGID_Y_EN: 1
; COMPUTE_PGM_RSRC2:TGID_Z_EN: 1
; COMPUTE_PGM_RSRC2:TIDIG_COMP_CNT: 1
; COMPUTE_PGM_RSRC3_GFX90A:ACCUM_OFFSET: 15
; COMPUTE_PGM_RSRC3_GFX90A:TG_SPLIT: 0
	.section	.text._ZN12_GLOBAL__N_135rocblas_gemm_batched_general_kernelIdLi16ELi16ELi32ELi32ELi8ELi32ELi8ELi8ELi32ELc78ELc78EKPKdS3_KPdEEvlllT_PT11_llS8_llS6_PT12_llPT13_lli,"axG",@progbits,_ZN12_GLOBAL__N_135rocblas_gemm_batched_general_kernelIdLi16ELi16ELi32ELi32ELi8ELi32ELi8ELi8ELi32ELc78ELc78EKPKdS3_KPdEEvlllT_PT11_llS8_llS6_PT12_llPT13_lli,comdat
	.globl	_ZN12_GLOBAL__N_135rocblas_gemm_batched_general_kernelIdLi16ELi16ELi32ELi32ELi8ELi32ELi8ELi8ELi32ELc78ELc78EKPKdS3_KPdEEvlllT_PT11_llS8_llS6_PT12_llPT13_lli ; -- Begin function _ZN12_GLOBAL__N_135rocblas_gemm_batched_general_kernelIdLi16ELi16ELi32ELi32ELi8ELi32ELi8ELi8ELi32ELc78ELc78EKPKdS3_KPdEEvlllT_PT11_llS8_llS6_PT12_llPT13_lli
	.p2align	8
	.type	_ZN12_GLOBAL__N_135rocblas_gemm_batched_general_kernelIdLi16ELi16ELi32ELi32ELi8ELi32ELi8ELi8ELi32ELc78ELc78EKPKdS3_KPdEEvlllT_PT11_llS8_llS6_PT12_llPT13_lli,@function
_ZN12_GLOBAL__N_135rocblas_gemm_batched_general_kernelIdLi16ELi16ELi32ELi32ELi8ELi32ELi8ELi8ELi32ELc78ELc78EKPKdS3_KPdEEvlllT_PT11_llS8_llS6_PT12_llPT13_lli: ; @_ZN12_GLOBAL__N_135rocblas_gemm_batched_general_kernelIdLi16ELi16ELi32ELi32ELi8ELi32ELi8ELi8ELi32ELc78ELc78EKPKdS3_KPdEEvlllT_PT11_llS8_llS6_PT12_llPT13_lli
; %bb.0:
	s_load_dwordx16 s[8:23], s[0:1], 0x0
	s_load_dwordx16 s[36:51], s[0:1], 0x40
	s_mov_b32 s5, 0
	s_lshl_b64 s[4:5], s[4:5], 3
	s_mov_b32 s6, s3
	v_mov_b32_e32 v11, 0
	s_waitcnt lgkmcnt(0)
	s_add_u32 s24, s42, s4
	s_addc_u32 s25, s43, s5
	s_add_u32 s26, s48, s4
	s_addc_u32 s27, s49, s5
	s_load_dwordx2 s[24:25], s[24:25], 0x0
	s_ashr_i32 s7, s6, 31
	s_load_dwordx2 s[28:29], s[26:27], 0x0
	s_ashr_i32 s3, s2, 31
	s_lshl_b64 s[30:31], s[6:7], 5
	v_cmp_lt_i64_e64 s[6:7], s[12:13], 1
	v_and_b32_e32 v2, 0x3ff, v0
	v_bfe_u32 v10, v0, 10, 10
	v_mov_b32_e32 v3, v11
	s_lshl_b64 s[26:27], s[2:3], 5
	s_and_b64 vcc, exec, s[6:7]
	s_cbranch_vccnz .LBB223_7
; %bb.1:
	v_lshl_add_u32 v6, v10, 4, v2
	v_and_b32_e32 v14, 7, v2
	s_add_u32 s6, s22, s4
	s_addc_u32 s7, s23, s5
	v_lshrrev_b32_e32 v0, 3, v6
	v_mov_b32_e32 v1, v11
	v_lshlrev_b32_e32 v8, 3, v14
	s_add_u32 s4, s16, s4
	v_lshl_add_u64 v[4:5], v[0:1], 0, s[30:31]
	v_and_b32_e32 v1, 31, v6
	v_lshl_or_b32 v0, v0, 6, v8
	v_lshrrev_b32_e32 v12, 5, v6
	s_load_dwordx2 s[22:23], s[6:7], 0x0
	s_addc_u32 s5, s17, s5
	v_or_b32_e32 v6, s26, v1
	v_mov_b32_e32 v7, s27
	v_add_u32_e32 v23, 0x800, v0
	v_mov_b32_e32 v0, 0x800
	s_load_dwordx2 s[16:17], s[4:5], 0x0
	v_cmp_gt_i64_e64 s[6:7], s[8:9], v[6:7]
	v_lshlrev_b32_e32 v6, 3, v1
	v_cmp_gt_i64_e64 s[4:5], s[10:11], v[4:5]
	v_lshl_add_u32 v25, v10, 6, v0
	v_mul_lo_u32 v7, s37, v4
	v_mul_lo_u32 v5, s36, v5
	v_mad_u64_u32 v[0:1], s[34:35], s36, v4, 0
	v_add3_u32 v1, v1, v5, v7
	s_lshl_b64 s[34:35], s[38:39], 3
	v_lshl_add_u64 v[0:1], v[0:1], 3, s[34:35]
	v_mov_b32_e32 v9, v11
	v_lshl_add_u64 v[0:1], v[0:1], 0, v[8:9]
	s_waitcnt lgkmcnt(0)
	v_lshl_add_u64 v[16:17], s[22:23], 0, v[0:1]
	v_mad_u64_u32 v[0:1], s[22:23], s18, v12, 0
	v_mov_b32_e32 v4, v1
	s_lshl_b64 s[2:3], s[2:3], 8
	s_lshl_b64 s[20:21], s[20:21], 3
	v_mad_u64_u32 v[4:5], s[22:23], s19, v12, v[4:5]
	s_add_u32 s2, s20, s2
	v_mov_b32_e32 v1, v4
	s_addc_u32 s3, s21, s3
	v_lshl_add_u64 v[0:1], v[0:1], 3, s[2:3]
	v_mov_b32_e32 v7, v11
	v_lshl_add_u64 v[0:1], v[0:1], 0, v[6:7]
	v_mov_b32_e32 v13, v11
	v_mov_b32_e32 v15, v11
	v_lshl_or_b32 v22, v12, 8, v6
	v_lshlrev_b32_e32 v24, 3, v2
	v_lshl_add_u64 v[18:19], s[16:17], 0, v[0:1]
	s_lshl_b64 s[2:3], s[18:19], 6
	s_mov_b64 s[16:17], 0
	v_mov_b64_e32 v[0:1], 0
	v_mov_b64_e32 v[20:21], s[12:13]
	;; [unrolled: 1-line block ×5, first 2 shown]
	s_branch .LBB223_3
.LBB223_2:                              ;   in Loop: Header=BB223_3 Depth=1
	s_or_b64 exec, exec, s[18:19]
	s_waitcnt vmcnt(0) lgkmcnt(0)
	ds_write_b64 v23, v[26:27]
	s_waitcnt lgkmcnt(0)
	s_barrier
	ds_read2_b64 v[26:29], v24 offset1:16
	ds_read_b128 v[30:33], v25
	ds_read_b128 v[34:37], v25 offset:16
	ds_read_b128 v[38:41], v25 offset:32
	;; [unrolled: 1-line block ×4, first 2 shown]
	ds_read2_b64 v[50:53], v24 offset0:32 offset1:48
	s_waitcnt lgkmcnt(5)
	v_fmac_f64_e32 v[8:9], v[26:27], v[30:31]
	v_fmac_f64_e32 v[6:7], v[28:29], v[30:31]
	ds_read_b128 v[54:57], v25 offset:1040
	s_waitcnt lgkmcnt(2)
	v_fmac_f64_e32 v[4:5], v[26:27], v[46:47]
	v_fmac_f64_e32 v[0:1], v[28:29], v[46:47]
	ds_read2_b64 v[26:29], v24 offset0:64 offset1:80
	s_waitcnt lgkmcnt(2)
	v_fmac_f64_e32 v[8:9], v[50:51], v[32:33]
	v_fmac_f64_e32 v[6:7], v[52:53], v[32:33]
	ds_read2_b64 v[30:33], v24 offset0:96 offset1:112
	v_fmac_f64_e32 v[4:5], v[50:51], v[48:49]
	v_fmac_f64_e32 v[0:1], v[52:53], v[48:49]
	s_waitcnt lgkmcnt(1)
	v_fmac_f64_e32 v[8:9], v[26:27], v[34:35]
	v_fmac_f64_e32 v[6:7], v[28:29], v[34:35]
	ds_read_b128 v[46:49], v25 offset:1072
	v_fmac_f64_e32 v[4:5], v[26:27], v[54:55]
	v_fmac_f64_e32 v[0:1], v[28:29], v[54:55]
	s_waitcnt lgkmcnt(1)
	v_fmac_f64_e32 v[8:9], v[30:31], v[36:37]
	ds_read2_b64 v[26:29], v24 offset0:128 offset1:144
	v_fmac_f64_e32 v[6:7], v[32:33], v[36:37]
	v_fmac_f64_e32 v[4:5], v[30:31], v[56:57]
	;; [unrolled: 1-line block ×3, first 2 shown]
	ds_read_b128 v[30:33], v25 offset:1056
	ds_read2_b64 v[34:37], v24 offset0:160 offset1:176
	s_waitcnt lgkmcnt(2)
	v_fmac_f64_e32 v[8:9], v[26:27], v[38:39]
	v_fmac_f64_e32 v[6:7], v[28:29], v[38:39]
	s_add_u32 s16, s16, 8
	s_waitcnt lgkmcnt(1)
	v_fmac_f64_e32 v[4:5], v[26:27], v[30:31]
	v_fmac_f64_e32 v[0:1], v[28:29], v[30:31]
	ds_read2_b64 v[26:29], v24 offset0:192 offset1:208
	s_waitcnt lgkmcnt(1)
	v_fmac_f64_e32 v[4:5], v[34:35], v[32:33]
	v_fmac_f64_e32 v[0:1], v[36:37], v[32:33]
	ds_read2_b64 v[30:33], v24 offset0:224 offset1:240
	v_fmac_f64_e32 v[8:9], v[34:35], v[40:41]
	v_fmac_f64_e32 v[6:7], v[36:37], v[40:41]
	s_addc_u32 s17, s17, 0
	s_waitcnt lgkmcnt(1)
	v_fmac_f64_e32 v[8:9], v[26:27], v[42:43]
	v_fmac_f64_e32 v[6:7], v[28:29], v[42:43]
	;; [unrolled: 1-line block ×4, first 2 shown]
	v_cmp_lt_i64_e32 vcc, s[16:17], v[20:21]
	s_waitcnt lgkmcnt(0)
	v_fmac_f64_e32 v[8:9], v[30:31], v[44:45]
	v_fmac_f64_e32 v[6:7], v[32:33], v[44:45]
	v_fmac_f64_e32 v[4:5], v[30:31], v[48:49]
	v_fmac_f64_e32 v[0:1], v[32:33], v[48:49]
	v_lshl_add_u64 v[16:17], v[16:17], 0, 64
	v_lshl_add_u64 v[18:19], v[18:19], 0, s[2:3]
	s_barrier
	s_cbranch_vccz .LBB223_8
.LBB223_3:                              ; =>This Inner Loop Header: Depth=1
	v_lshl_add_u64 v[26:27], v[12:13], 0, s[16:17]
	v_cmp_gt_i64_e32 vcc, s[12:13], v[26:27]
	s_and_b64 s[20:21], s[6:7], vcc
	v_mov_b64_e32 v[26:27], 0
	s_and_saveexec_b64 s[18:19], s[20:21]
	s_cbranch_execz .LBB223_5
; %bb.4:                                ;   in Loop: Header=BB223_3 Depth=1
	flat_load_dwordx2 v[26:27], v[18:19]
.LBB223_5:                              ;   in Loop: Header=BB223_3 Depth=1
	s_or_b64 exec, exec, s[18:19]
	s_waitcnt vmcnt(0) lgkmcnt(0)
	ds_write_b64 v22, v[26:27]
	v_lshl_add_u64 v[26:27], v[14:15], 0, s[16:17]
	v_cmp_gt_i64_e32 vcc, s[12:13], v[26:27]
	s_and_b64 s[20:21], vcc, s[4:5]
	v_mov_b64_e32 v[26:27], 0
	s_and_saveexec_b64 s[18:19], s[20:21]
	s_cbranch_execz .LBB223_2
; %bb.6:                                ;   in Loop: Header=BB223_3 Depth=1
	flat_load_dwordx2 v[26:27], v[16:17]
	s_branch .LBB223_2
.LBB223_7:
	v_mov_b64_e32 v[8:9], 0
	v_mov_b64_e32 v[6:7], 0
	;; [unrolled: 1-line block ×4, first 2 shown]
.LBB223_8:
	s_load_dwordx2 s[2:3], s[0:1], 0x80
	v_lshl_add_u64 v[10:11], s[30:31], 0, v[10:11]
	v_cmp_neq_f64_e64 s[4:5], s[40:41], 0
	v_cmp_gt_i64_e64 s[0:1], s[10:11], v[10:11]
	s_waitcnt lgkmcnt(0)
	s_lshl_b64 s[2:3], s[2:3], 3
	s_add_u32 s6, s28, s2
	s_addc_u32 s7, s29, s3
	s_and_b64 vcc, exec, s[4:5]
	s_cbranch_vccnz .LBB223_21
; %bb.9:
	s_and_saveexec_b64 s[12:13], s[0:1]
	s_cbranch_execz .LBB223_19
; %bb.10:
	v_mul_lo_u32 v16, v11, s50
	v_mul_lo_u32 v17, v10, s51
	v_mad_u64_u32 v[14:15], s[2:3], v10, s50, 0
	v_add3_u32 v15, v15, v17, v16
	v_lshl_add_u64 v[12:13], s[26:27], 0, v[2:3]
	v_lshl_add_u64 v[14:15], v[14:15], 3, s[6:7]
	v_cmp_gt_i64_e32 vcc, s[8:9], v[12:13]
	v_lshl_add_u64 v[16:17], v[12:13], 3, v[14:15]
	s_and_saveexec_b64 s[2:3], vcc
	s_cbranch_execz .LBB223_12
; %bb.11:
	v_mul_f64 v[18:19], s[14:15], v[8:9]
	flat_store_dwordx2 v[16:17], v[18:19]
.LBB223_12:
	s_or_b64 exec, exec, s[2:3]
	v_lshl_add_u64 v[18:19], v[12:13], 0, 16
	v_cmp_gt_i64_e64 s[2:3], s[8:9], v[18:19]
	s_and_saveexec_b64 s[4:5], s[2:3]
	s_cbranch_execz .LBB223_14
; %bb.13:
	v_mul_f64 v[18:19], s[14:15], v[6:7]
	flat_store_dwordx2 v[16:17], v[18:19] offset:128
.LBB223_14:
	s_or_b64 exec, exec, s[4:5]
	v_lshl_add_u64 v[16:17], v[10:11], 0, 16
	v_cmp_gt_i64_e64 s[4:5], s[10:11], v[16:17]
	s_and_b64 exec, exec, s[4:5]
	s_cbranch_execz .LBB223_19
; %bb.15:
	s_lshl_b64 s[4:5], s[50:51], 7
	v_lshl_add_u64 v[14:15], v[14:15], 0, s[4:5]
	v_lshl_add_u64 v[12:13], v[12:13], 3, v[14:15]
	s_and_saveexec_b64 s[4:5], vcc
	s_cbranch_execz .LBB223_17
; %bb.16:
	v_mul_f64 v[14:15], s[14:15], v[4:5]
	flat_store_dwordx2 v[12:13], v[14:15]
.LBB223_17:
	s_or_b64 exec, exec, s[4:5]
	s_and_b64 exec, exec, s[2:3]
	s_cbranch_execz .LBB223_19
; %bb.18:
	v_mul_f64 v[14:15], s[14:15], v[0:1]
	flat_store_dwordx2 v[12:13], v[14:15] offset:128
.LBB223_19:
	s_or_b64 exec, exec, s[12:13]
	s_cbranch_execz .LBB223_22
.LBB223_20:
	s_endpgm
.LBB223_21:
.LBB223_22:
	s_and_saveexec_b64 s[2:3], s[0:1]
	s_cbranch_execz .LBB223_20
; %bb.23:
	s_lshl_b64 s[0:1], s[46:47], 3
	v_lshl_add_u64 v[16:17], s[26:27], 0, v[2:3]
	v_mul_lo_u32 v12, v11, s44
	v_mul_lo_u32 v13, v10, s45
	v_mad_u64_u32 v[2:3], s[2:3], v10, s44, 0
	s_add_u32 s0, s24, s0
	v_add3_u32 v3, v3, v13, v12
	v_mul_lo_u32 v14, v11, s50
	v_mul_lo_u32 v15, v10, s51
	v_mad_u64_u32 v[12:13], s[2:3], v10, s50, 0
	s_addc_u32 s1, s25, s1
	v_add3_u32 v13, v13, v15, v14
	v_cmp_gt_i64_e32 vcc, s[8:9], v[16:17]
	v_lshl_add_u64 v[14:15], v[2:3], 3, s[0:1]
	v_lshl_add_u64 v[12:13], v[12:13], 3, s[6:7]
	v_lshlrev_b64 v[2:3], 3, v[16:17]
	s_and_saveexec_b64 s[0:1], vcc
	s_cbranch_execz .LBB223_25
; %bb.24:
	v_lshl_add_u64 v[18:19], v[14:15], 0, v[2:3]
	flat_load_dwordx2 v[18:19], v[18:19]
	s_waitcnt vmcnt(0) lgkmcnt(0)
	v_mul_f64 v[18:19], s[40:41], v[18:19]
	v_fmac_f64_e32 v[18:19], s[14:15], v[8:9]
	v_lshl_add_u64 v[8:9], v[12:13], 0, v[2:3]
	flat_store_dwordx2 v[8:9], v[18:19]
.LBB223_25:
	s_or_b64 exec, exec, s[0:1]
	v_lshl_add_u64 v[8:9], v[16:17], 0, 16
	v_cmp_gt_i64_e64 s[0:1], s[8:9], v[8:9]
	s_and_saveexec_b64 s[2:3], s[0:1]
	s_cbranch_execz .LBB223_27
; %bb.26:
	v_lshl_add_u64 v[8:9], v[14:15], 0, v[2:3]
	flat_load_dwordx2 v[8:9], v[8:9] offset:128
	s_waitcnt vmcnt(0) lgkmcnt(0)
	v_mul_f64 v[8:9], s[40:41], v[8:9]
	v_fmac_f64_e32 v[8:9], s[14:15], v[6:7]
	v_lshl_add_u64 v[6:7], v[12:13], 0, v[2:3]
	flat_store_dwordx2 v[6:7], v[8:9] offset:128
.LBB223_27:
	s_or_b64 exec, exec, s[2:3]
	v_lshl_add_u64 v[6:7], v[10:11], 0, 16
	v_cmp_gt_i64_e64 s[2:3], s[10:11], v[6:7]
	s_and_b64 exec, exec, s[2:3]
	s_cbranch_execz .LBB223_20
; %bb.28:
	s_lshl_b64 s[2:3], s[44:45], 7
	v_lshl_add_u64 v[6:7], v[14:15], 0, s[2:3]
	s_lshl_b64 s[2:3], s[50:51], 7
	v_lshl_add_u64 v[8:9], v[12:13], 0, s[2:3]
	v_lshl_add_u64 v[6:7], v[6:7], 0, v[2:3]
	;; [unrolled: 1-line block ×3, first 2 shown]
	s_and_saveexec_b64 s[2:3], vcc
	s_cbranch_execz .LBB223_30
; %bb.29:
	flat_load_dwordx2 v[8:9], v[6:7]
	s_waitcnt vmcnt(0) lgkmcnt(0)
	v_mul_f64 v[8:9], s[40:41], v[8:9]
	v_fmac_f64_e32 v[8:9], s[14:15], v[4:5]
	flat_store_dwordx2 v[2:3], v[8:9]
.LBB223_30:
	s_or_b64 exec, exec, s[2:3]
	s_and_b64 exec, exec, s[0:1]
	s_cbranch_execz .LBB223_20
; %bb.31:
	flat_load_dwordx2 v[4:5], v[6:7] offset:128
	s_waitcnt vmcnt(0) lgkmcnt(0)
	v_mul_f64 v[4:5], s[40:41], v[4:5]
	v_fmac_f64_e32 v[4:5], s[14:15], v[0:1]
	flat_store_dwordx2 v[2:3], v[4:5] offset:128
	s_endpgm
	.section	.rodata,"a",@progbits
	.p2align	6, 0x0
	.amdhsa_kernel _ZN12_GLOBAL__N_135rocblas_gemm_batched_general_kernelIdLi16ELi16ELi32ELi32ELi8ELi32ELi8ELi8ELi32ELc78ELc78EKPKdS3_KPdEEvlllT_PT11_llS8_llS6_PT12_llPT13_lli
		.amdhsa_group_segment_fixed_size 4096
		.amdhsa_private_segment_fixed_size 0
		.amdhsa_kernarg_size 140
		.amdhsa_user_sgpr_count 2
		.amdhsa_user_sgpr_dispatch_ptr 0
		.amdhsa_user_sgpr_queue_ptr 0
		.amdhsa_user_sgpr_kernarg_segment_ptr 1
		.amdhsa_user_sgpr_dispatch_id 0
		.amdhsa_user_sgpr_kernarg_preload_length 0
		.amdhsa_user_sgpr_kernarg_preload_offset 0
		.amdhsa_user_sgpr_private_segment_size 0
		.amdhsa_uses_dynamic_stack 0
		.amdhsa_enable_private_segment 0
		.amdhsa_system_sgpr_workgroup_id_x 1
		.amdhsa_system_sgpr_workgroup_id_y 1
		.amdhsa_system_sgpr_workgroup_id_z 1
		.amdhsa_system_sgpr_workgroup_info 0
		.amdhsa_system_vgpr_workitem_id 1
		.amdhsa_next_free_vgpr 58
		.amdhsa_next_free_sgpr 52
		.amdhsa_accum_offset 60
		.amdhsa_reserve_vcc 1
		.amdhsa_float_round_mode_32 0
		.amdhsa_float_round_mode_16_64 0
		.amdhsa_float_denorm_mode_32 3
		.amdhsa_float_denorm_mode_16_64 3
		.amdhsa_dx10_clamp 1
		.amdhsa_ieee_mode 1
		.amdhsa_fp16_overflow 0
		.amdhsa_tg_split 0
		.amdhsa_exception_fp_ieee_invalid_op 0
		.amdhsa_exception_fp_denorm_src 0
		.amdhsa_exception_fp_ieee_div_zero 0
		.amdhsa_exception_fp_ieee_overflow 0
		.amdhsa_exception_fp_ieee_underflow 0
		.amdhsa_exception_fp_ieee_inexact 0
		.amdhsa_exception_int_div_zero 0
	.end_amdhsa_kernel
	.section	.text._ZN12_GLOBAL__N_135rocblas_gemm_batched_general_kernelIdLi16ELi16ELi32ELi32ELi8ELi32ELi8ELi8ELi32ELc78ELc78EKPKdS3_KPdEEvlllT_PT11_llS8_llS6_PT12_llPT13_lli,"axG",@progbits,_ZN12_GLOBAL__N_135rocblas_gemm_batched_general_kernelIdLi16ELi16ELi32ELi32ELi8ELi32ELi8ELi8ELi32ELc78ELc78EKPKdS3_KPdEEvlllT_PT11_llS8_llS6_PT12_llPT13_lli,comdat
.Lfunc_end223:
	.size	_ZN12_GLOBAL__N_135rocblas_gemm_batched_general_kernelIdLi16ELi16ELi32ELi32ELi8ELi32ELi8ELi8ELi32ELc78ELc78EKPKdS3_KPdEEvlllT_PT11_llS8_llS6_PT12_llPT13_lli, .Lfunc_end223-_ZN12_GLOBAL__N_135rocblas_gemm_batched_general_kernelIdLi16ELi16ELi32ELi32ELi8ELi32ELi8ELi8ELi32ELc78ELc78EKPKdS3_KPdEEvlllT_PT11_llS8_llS6_PT12_llPT13_lli
                                        ; -- End function
	.set _ZN12_GLOBAL__N_135rocblas_gemm_batched_general_kernelIdLi16ELi16ELi32ELi32ELi8ELi32ELi8ELi8ELi32ELc78ELc78EKPKdS3_KPdEEvlllT_PT11_llS8_llS6_PT12_llPT13_lli.num_vgpr, 58
	.set _ZN12_GLOBAL__N_135rocblas_gemm_batched_general_kernelIdLi16ELi16ELi32ELi32ELi8ELi32ELi8ELi8ELi32ELc78ELc78EKPKdS3_KPdEEvlllT_PT11_llS8_llS6_PT12_llPT13_lli.num_agpr, 0
	.set _ZN12_GLOBAL__N_135rocblas_gemm_batched_general_kernelIdLi16ELi16ELi32ELi32ELi8ELi32ELi8ELi8ELi32ELc78ELc78EKPKdS3_KPdEEvlllT_PT11_llS8_llS6_PT12_llPT13_lli.numbered_sgpr, 52
	.set _ZN12_GLOBAL__N_135rocblas_gemm_batched_general_kernelIdLi16ELi16ELi32ELi32ELi8ELi32ELi8ELi8ELi32ELc78ELc78EKPKdS3_KPdEEvlllT_PT11_llS8_llS6_PT12_llPT13_lli.num_named_barrier, 0
	.set _ZN12_GLOBAL__N_135rocblas_gemm_batched_general_kernelIdLi16ELi16ELi32ELi32ELi8ELi32ELi8ELi8ELi32ELc78ELc78EKPKdS3_KPdEEvlllT_PT11_llS8_llS6_PT12_llPT13_lli.private_seg_size, 0
	.set _ZN12_GLOBAL__N_135rocblas_gemm_batched_general_kernelIdLi16ELi16ELi32ELi32ELi8ELi32ELi8ELi8ELi32ELc78ELc78EKPKdS3_KPdEEvlllT_PT11_llS8_llS6_PT12_llPT13_lli.uses_vcc, 1
	.set _ZN12_GLOBAL__N_135rocblas_gemm_batched_general_kernelIdLi16ELi16ELi32ELi32ELi8ELi32ELi8ELi8ELi32ELc78ELc78EKPKdS3_KPdEEvlllT_PT11_llS8_llS6_PT12_llPT13_lli.uses_flat_scratch, 0
	.set _ZN12_GLOBAL__N_135rocblas_gemm_batched_general_kernelIdLi16ELi16ELi32ELi32ELi8ELi32ELi8ELi8ELi32ELc78ELc78EKPKdS3_KPdEEvlllT_PT11_llS8_llS6_PT12_llPT13_lli.has_dyn_sized_stack, 0
	.set _ZN12_GLOBAL__N_135rocblas_gemm_batched_general_kernelIdLi16ELi16ELi32ELi32ELi8ELi32ELi8ELi8ELi32ELc78ELc78EKPKdS3_KPdEEvlllT_PT11_llS8_llS6_PT12_llPT13_lli.has_recursion, 0
	.set _ZN12_GLOBAL__N_135rocblas_gemm_batched_general_kernelIdLi16ELi16ELi32ELi32ELi8ELi32ELi8ELi8ELi32ELc78ELc78EKPKdS3_KPdEEvlllT_PT11_llS8_llS6_PT12_llPT13_lli.has_indirect_call, 0
	.section	.AMDGPU.csdata,"",@progbits
; Kernel info:
; codeLenInByte = 1616
; TotalNumSgprs: 58
; NumVgprs: 58
; NumAgprs: 0
; TotalNumVgprs: 58
; ScratchSize: 0
; MemoryBound: 0
; FloatMode: 240
; IeeeMode: 1
; LDSByteSize: 4096 bytes/workgroup (compile time only)
; SGPRBlocks: 7
; VGPRBlocks: 7
; NumSGPRsForWavesPerEU: 58
; NumVGPRsForWavesPerEU: 58
; AccumOffset: 60
; Occupancy: 8
; WaveLimiterHint : 1
; COMPUTE_PGM_RSRC2:SCRATCH_EN: 0
; COMPUTE_PGM_RSRC2:USER_SGPR: 2
; COMPUTE_PGM_RSRC2:TRAP_HANDLER: 0
; COMPUTE_PGM_RSRC2:TGID_X_EN: 1
; COMPUTE_PGM_RSRC2:TGID_Y_EN: 1
; COMPUTE_PGM_RSRC2:TGID_Z_EN: 1
; COMPUTE_PGM_RSRC2:TIDIG_COMP_CNT: 1
; COMPUTE_PGM_RSRC3_GFX90A:ACCUM_OFFSET: 14
; COMPUTE_PGM_RSRC3_GFX90A:TG_SPLIT: 0
	.section	.text._ZN12_GLOBAL__N_135rocblas_gemm_batched_general_kernelIdLi16ELi16ELi32ELi32ELi8ELi32ELi8ELi8ELi32ELc84ELc78EKPKdS3_KPdEEvlllT_PT11_llS8_llS6_PT12_llPT13_lli,"axG",@progbits,_ZN12_GLOBAL__N_135rocblas_gemm_batched_general_kernelIdLi16ELi16ELi32ELi32ELi8ELi32ELi8ELi8ELi32ELc84ELc78EKPKdS3_KPdEEvlllT_PT11_llS8_llS6_PT12_llPT13_lli,comdat
	.globl	_ZN12_GLOBAL__N_135rocblas_gemm_batched_general_kernelIdLi16ELi16ELi32ELi32ELi8ELi32ELi8ELi8ELi32ELc84ELc78EKPKdS3_KPdEEvlllT_PT11_llS8_llS6_PT12_llPT13_lli ; -- Begin function _ZN12_GLOBAL__N_135rocblas_gemm_batched_general_kernelIdLi16ELi16ELi32ELi32ELi8ELi32ELi8ELi8ELi32ELc84ELc78EKPKdS3_KPdEEvlllT_PT11_llS8_llS6_PT12_llPT13_lli
	.p2align	8
	.type	_ZN12_GLOBAL__N_135rocblas_gemm_batched_general_kernelIdLi16ELi16ELi32ELi32ELi8ELi32ELi8ELi8ELi32ELc84ELc78EKPKdS3_KPdEEvlllT_PT11_llS8_llS6_PT12_llPT13_lli,@function
_ZN12_GLOBAL__N_135rocblas_gemm_batched_general_kernelIdLi16ELi16ELi32ELi32ELi8ELi32ELi8ELi8ELi32ELc84ELc78EKPKdS3_KPdEEvlllT_PT11_llS8_llS6_PT12_llPT13_lli: ; @_ZN12_GLOBAL__N_135rocblas_gemm_batched_general_kernelIdLi16ELi16ELi32ELi32ELi8ELi32ELi8ELi8ELi32ELc84ELc78EKPKdS3_KPdEEvlllT_PT11_llS8_llS6_PT12_llPT13_lli
; %bb.0:
	s_load_dwordx16 s[8:23], s[0:1], 0x0
	s_load_dwordx16 s[36:51], s[0:1], 0x40
	s_mov_b32 s5, 0
	s_lshl_b64 s[4:5], s[4:5], 3
	s_mov_b32 s28, s3
	v_mov_b32_e32 v11, 0
	s_waitcnt lgkmcnt(0)
	s_add_u32 s6, s42, s4
	s_addc_u32 s7, s43, s5
	s_add_u32 s24, s48, s4
	s_addc_u32 s25, s49, s5
	s_load_dwordx2 s[6:7], s[6:7], 0x0
	s_ashr_i32 s3, s2, 31
	s_load_dwordx2 s[26:27], s[24:25], 0x0
	s_lshl_b64 s[24:25], s[2:3], 5
	s_ashr_i32 s29, s28, 31
	v_cmp_lt_i64_e64 s[2:3], s[12:13], 1
	v_and_b32_e32 v2, 0x3ff, v0
	v_bfe_u32 v10, v0, 10, 10
	v_mov_b32_e32 v3, v11
	s_lshl_b64 s[28:29], s[28:29], 5
	s_and_b64 vcc, exec, s[2:3]
	s_cbranch_vccnz .LBB224_7
; %bb.1:
	s_add_u32 s2, s22, s4
	v_lshl_add_u32 v6, v10, 4, v2
	s_addc_u32 s3, s23, s5
	v_lshrrev_b32_e32 v12, 5, v6
	s_load_dwordx2 s[22:23], s[2:3], 0x0
	s_add_u32 s2, s16, s4
	v_lshrrev_b32_e32 v0, 3, v6
	v_and_b32_e32 v6, 31, v6
	v_and_b32_e32 v14, 7, v2
	s_addc_u32 s3, s17, s5
	v_or_b32_e32 v8, s24, v6
	v_mov_b32_e32 v9, s25
	s_load_dwordx2 s[16:17], s[2:3], 0x0
	v_mov_b32_e32 v1, v11
	v_cmp_gt_i64_e64 s[2:3], s[8:9], v[8:9]
	v_lshlrev_b32_e32 v8, 3, v14
	v_lshl_add_u64 v[4:5], v[0:1], 0, s[28:29]
	v_lshl_or_b32 v0, v0, 6, v8
	v_lshlrev_b32_e32 v1, 3, v6
	v_add_u32_e32 v23, 0x800, v0
	v_mov_b32_e32 v0, 0x800
	v_lshl_or_b32 v22, v12, 8, v1
	v_cmp_gt_i64_e64 s[4:5], s[10:11], v[4:5]
	v_lshl_add_u32 v25, v10, 6, v0
	v_mul_lo_u32 v9, s37, v4
	v_mul_lo_u32 v5, s36, v5
	v_mad_u64_u32 v[0:1], s[30:31], s36, v4, 0
	v_add3_u32 v1, v1, v5, v9
	s_lshl_b64 s[30:31], s[38:39], 3
	v_lshl_add_u64 v[0:1], v[0:1], 3, s[30:31]
	v_mov_b32_e32 v9, v11
	v_mov_b32_e32 v7, v11
	v_lshl_add_u64 v[0:1], v[0:1], 0, v[8:9]
	s_waitcnt lgkmcnt(0)
	v_lshl_add_u64 v[16:17], s[22:23], 0, v[0:1]
	v_lshl_add_u64 v[0:1], s[24:25], 0, v[6:7]
	v_mul_lo_u32 v4, s19, v0
	v_mul_lo_u32 v5, s18, v1
	v_mad_u64_u32 v[0:1], s[18:19], s18, v0, 0
	v_add3_u32 v1, v1, v5, v4
	s_lshl_b64 s[18:19], s[20:21], 3
	v_lshl_add_u64 v[0:1], v[0:1], 3, s[18:19]
	v_lshlrev_b32_e32 v4, 3, v12
	v_mov_b32_e32 v5, v11
	v_lshl_add_u64 v[0:1], v[0:1], 0, v[4:5]
	v_mov_b32_e32 v13, v11
	v_mov_b32_e32 v15, v11
	v_lshlrev_b32_e32 v24, 3, v2
	v_lshl_add_u64 v[18:19], s[16:17], 0, v[0:1]
	s_mov_b64 s[16:17], 0
	v_mov_b64_e32 v[0:1], 0
	v_mov_b64_e32 v[20:21], s[12:13]
	;; [unrolled: 1-line block ×5, first 2 shown]
	s_branch .LBB224_3
.LBB224_2:                              ;   in Loop: Header=BB224_3 Depth=1
	s_or_b64 exec, exec, s[18:19]
	s_waitcnt vmcnt(0) lgkmcnt(0)
	ds_write_b64 v23, v[26:27]
	s_waitcnt lgkmcnt(0)
	s_barrier
	ds_read2_b64 v[26:29], v24 offset1:16
	ds_read_b128 v[30:33], v25
	ds_read_b128 v[34:37], v25 offset:16
	ds_read_b128 v[38:41], v25 offset:32
	;; [unrolled: 1-line block ×4, first 2 shown]
	ds_read2_b64 v[50:53], v24 offset0:32 offset1:48
	s_waitcnt lgkmcnt(5)
	v_fmac_f64_e32 v[8:9], v[26:27], v[30:31]
	v_fmac_f64_e32 v[6:7], v[28:29], v[30:31]
	ds_read_b128 v[54:57], v25 offset:1040
	s_waitcnt lgkmcnt(2)
	v_fmac_f64_e32 v[4:5], v[26:27], v[46:47]
	v_fmac_f64_e32 v[0:1], v[28:29], v[46:47]
	ds_read2_b64 v[26:29], v24 offset0:64 offset1:80
	s_waitcnt lgkmcnt(2)
	v_fmac_f64_e32 v[8:9], v[50:51], v[32:33]
	v_fmac_f64_e32 v[6:7], v[52:53], v[32:33]
	ds_read2_b64 v[30:33], v24 offset0:96 offset1:112
	v_fmac_f64_e32 v[4:5], v[50:51], v[48:49]
	v_fmac_f64_e32 v[0:1], v[52:53], v[48:49]
	s_waitcnt lgkmcnt(1)
	v_fmac_f64_e32 v[8:9], v[26:27], v[34:35]
	v_fmac_f64_e32 v[6:7], v[28:29], v[34:35]
	ds_read_b128 v[46:49], v25 offset:1072
	v_fmac_f64_e32 v[4:5], v[26:27], v[54:55]
	v_fmac_f64_e32 v[0:1], v[28:29], v[54:55]
	s_waitcnt lgkmcnt(1)
	v_fmac_f64_e32 v[8:9], v[30:31], v[36:37]
	ds_read2_b64 v[26:29], v24 offset0:128 offset1:144
	v_fmac_f64_e32 v[6:7], v[32:33], v[36:37]
	v_fmac_f64_e32 v[4:5], v[30:31], v[56:57]
	;; [unrolled: 1-line block ×3, first 2 shown]
	ds_read_b128 v[30:33], v25 offset:1056
	ds_read2_b64 v[34:37], v24 offset0:160 offset1:176
	s_waitcnt lgkmcnt(2)
	v_fmac_f64_e32 v[8:9], v[26:27], v[38:39]
	v_fmac_f64_e32 v[6:7], v[28:29], v[38:39]
	s_add_u32 s16, s16, 8
	s_waitcnt lgkmcnt(1)
	v_fmac_f64_e32 v[4:5], v[26:27], v[30:31]
	v_fmac_f64_e32 v[0:1], v[28:29], v[30:31]
	ds_read2_b64 v[26:29], v24 offset0:192 offset1:208
	s_waitcnt lgkmcnt(1)
	v_fmac_f64_e32 v[4:5], v[34:35], v[32:33]
	v_fmac_f64_e32 v[0:1], v[36:37], v[32:33]
	ds_read2_b64 v[30:33], v24 offset0:224 offset1:240
	v_fmac_f64_e32 v[8:9], v[34:35], v[40:41]
	v_fmac_f64_e32 v[6:7], v[36:37], v[40:41]
	s_addc_u32 s17, s17, 0
	s_waitcnt lgkmcnt(1)
	v_fmac_f64_e32 v[8:9], v[26:27], v[42:43]
	v_fmac_f64_e32 v[6:7], v[28:29], v[42:43]
	;; [unrolled: 1-line block ×4, first 2 shown]
	v_cmp_lt_i64_e32 vcc, s[16:17], v[20:21]
	s_waitcnt lgkmcnt(0)
	v_fmac_f64_e32 v[8:9], v[30:31], v[44:45]
	v_fmac_f64_e32 v[6:7], v[32:33], v[44:45]
	;; [unrolled: 1-line block ×4, first 2 shown]
	v_lshl_add_u64 v[16:17], v[16:17], 0, 64
	v_lshl_add_u64 v[18:19], v[18:19], 0, 64
	s_barrier
	s_cbranch_vccz .LBB224_8
.LBB224_3:                              ; =>This Inner Loop Header: Depth=1
	v_lshl_add_u64 v[26:27], v[12:13], 0, s[16:17]
	v_cmp_gt_i64_e32 vcc, s[12:13], v[26:27]
	s_and_b64 s[20:21], s[2:3], vcc
	v_mov_b64_e32 v[26:27], 0
	s_and_saveexec_b64 s[18:19], s[20:21]
	s_cbranch_execz .LBB224_5
; %bb.4:                                ;   in Loop: Header=BB224_3 Depth=1
	flat_load_dwordx2 v[26:27], v[18:19]
.LBB224_5:                              ;   in Loop: Header=BB224_3 Depth=1
	s_or_b64 exec, exec, s[18:19]
	s_waitcnt vmcnt(0) lgkmcnt(0)
	ds_write_b64 v22, v[26:27]
	v_lshl_add_u64 v[26:27], v[14:15], 0, s[16:17]
	v_cmp_gt_i64_e32 vcc, s[12:13], v[26:27]
	s_and_b64 s[20:21], vcc, s[4:5]
	v_mov_b64_e32 v[26:27], 0
	s_and_saveexec_b64 s[18:19], s[20:21]
	s_cbranch_execz .LBB224_2
; %bb.6:                                ;   in Loop: Header=BB224_3 Depth=1
	flat_load_dwordx2 v[26:27], v[16:17]
	s_branch .LBB224_2
.LBB224_7:
	v_mov_b64_e32 v[8:9], 0
	v_mov_b64_e32 v[6:7], 0
	;; [unrolled: 1-line block ×4, first 2 shown]
.LBB224_8:
	s_load_dwordx2 s[2:3], s[0:1], 0x80
	v_lshl_add_u64 v[10:11], s[28:29], 0, v[10:11]
	v_cmp_neq_f64_e64 s[4:5], s[40:41], 0
	v_cmp_gt_i64_e64 s[0:1], s[10:11], v[10:11]
	s_waitcnt lgkmcnt(0)
	s_lshl_b64 s[2:3], s[2:3], 3
	s_add_u32 s12, s26, s2
	s_addc_u32 s13, s27, s3
	s_and_b64 vcc, exec, s[4:5]
	s_cbranch_vccnz .LBB224_21
; %bb.9:
	s_and_saveexec_b64 s[16:17], s[0:1]
	s_cbranch_execz .LBB224_19
; %bb.10:
	v_mul_lo_u32 v16, v11, s50
	v_mul_lo_u32 v17, v10, s51
	v_mad_u64_u32 v[14:15], s[2:3], v10, s50, 0
	v_add3_u32 v15, v15, v17, v16
	v_lshl_add_u64 v[12:13], s[24:25], 0, v[2:3]
	v_lshl_add_u64 v[14:15], v[14:15], 3, s[12:13]
	v_cmp_gt_i64_e32 vcc, s[8:9], v[12:13]
	v_lshl_add_u64 v[16:17], v[12:13], 3, v[14:15]
	s_and_saveexec_b64 s[2:3], vcc
	s_cbranch_execz .LBB224_12
; %bb.11:
	v_mul_f64 v[18:19], s[14:15], v[8:9]
	flat_store_dwordx2 v[16:17], v[18:19]
.LBB224_12:
	s_or_b64 exec, exec, s[2:3]
	v_lshl_add_u64 v[18:19], v[12:13], 0, 16
	v_cmp_gt_i64_e64 s[2:3], s[8:9], v[18:19]
	s_and_saveexec_b64 s[4:5], s[2:3]
	s_cbranch_execz .LBB224_14
; %bb.13:
	v_mul_f64 v[18:19], s[14:15], v[6:7]
	flat_store_dwordx2 v[16:17], v[18:19] offset:128
.LBB224_14:
	s_or_b64 exec, exec, s[4:5]
	v_lshl_add_u64 v[16:17], v[10:11], 0, 16
	v_cmp_gt_i64_e64 s[4:5], s[10:11], v[16:17]
	s_and_b64 exec, exec, s[4:5]
	s_cbranch_execz .LBB224_19
; %bb.15:
	s_lshl_b64 s[4:5], s[50:51], 7
	v_lshl_add_u64 v[14:15], v[14:15], 0, s[4:5]
	v_lshl_add_u64 v[12:13], v[12:13], 3, v[14:15]
	s_and_saveexec_b64 s[4:5], vcc
	s_cbranch_execz .LBB224_17
; %bb.16:
	v_mul_f64 v[14:15], s[14:15], v[4:5]
	flat_store_dwordx2 v[12:13], v[14:15]
.LBB224_17:
	s_or_b64 exec, exec, s[4:5]
	s_and_b64 exec, exec, s[2:3]
	s_cbranch_execz .LBB224_19
; %bb.18:
	v_mul_f64 v[14:15], s[14:15], v[0:1]
	flat_store_dwordx2 v[12:13], v[14:15] offset:128
.LBB224_19:
	s_or_b64 exec, exec, s[16:17]
	s_cbranch_execz .LBB224_22
.LBB224_20:
	s_endpgm
.LBB224_21:
.LBB224_22:
	s_and_saveexec_b64 s[2:3], s[0:1]
	s_cbranch_execz .LBB224_20
; %bb.23:
	s_lshl_b64 s[0:1], s[46:47], 3
	v_lshl_add_u64 v[16:17], s[24:25], 0, v[2:3]
	v_mul_lo_u32 v12, v11, s44
	v_mul_lo_u32 v13, v10, s45
	v_mad_u64_u32 v[2:3], s[2:3], v10, s44, 0
	s_add_u32 s0, s6, s0
	v_add3_u32 v3, v3, v13, v12
	v_mul_lo_u32 v14, v11, s50
	v_mul_lo_u32 v15, v10, s51
	v_mad_u64_u32 v[12:13], s[2:3], v10, s50, 0
	s_addc_u32 s1, s7, s1
	v_add3_u32 v13, v13, v15, v14
	v_cmp_gt_i64_e32 vcc, s[8:9], v[16:17]
	v_lshl_add_u64 v[14:15], v[2:3], 3, s[0:1]
	v_lshl_add_u64 v[12:13], v[12:13], 3, s[12:13]
	v_lshlrev_b64 v[2:3], 3, v[16:17]
	s_and_saveexec_b64 s[0:1], vcc
	s_cbranch_execz .LBB224_25
; %bb.24:
	v_lshl_add_u64 v[18:19], v[14:15], 0, v[2:3]
	flat_load_dwordx2 v[18:19], v[18:19]
	s_waitcnt vmcnt(0) lgkmcnt(0)
	v_mul_f64 v[18:19], s[40:41], v[18:19]
	v_fmac_f64_e32 v[18:19], s[14:15], v[8:9]
	v_lshl_add_u64 v[8:9], v[12:13], 0, v[2:3]
	flat_store_dwordx2 v[8:9], v[18:19]
.LBB224_25:
	s_or_b64 exec, exec, s[0:1]
	v_lshl_add_u64 v[8:9], v[16:17], 0, 16
	v_cmp_gt_i64_e64 s[0:1], s[8:9], v[8:9]
	s_and_saveexec_b64 s[2:3], s[0:1]
	s_cbranch_execz .LBB224_27
; %bb.26:
	v_lshl_add_u64 v[8:9], v[14:15], 0, v[2:3]
	flat_load_dwordx2 v[8:9], v[8:9] offset:128
	s_waitcnt vmcnt(0) lgkmcnt(0)
	v_mul_f64 v[8:9], s[40:41], v[8:9]
	v_fmac_f64_e32 v[8:9], s[14:15], v[6:7]
	v_lshl_add_u64 v[6:7], v[12:13], 0, v[2:3]
	flat_store_dwordx2 v[6:7], v[8:9] offset:128
.LBB224_27:
	s_or_b64 exec, exec, s[2:3]
	v_lshl_add_u64 v[6:7], v[10:11], 0, 16
	v_cmp_gt_i64_e64 s[2:3], s[10:11], v[6:7]
	s_and_b64 exec, exec, s[2:3]
	s_cbranch_execz .LBB224_20
; %bb.28:
	s_lshl_b64 s[2:3], s[44:45], 7
	v_lshl_add_u64 v[6:7], v[14:15], 0, s[2:3]
	s_lshl_b64 s[2:3], s[50:51], 7
	v_lshl_add_u64 v[8:9], v[12:13], 0, s[2:3]
	v_lshl_add_u64 v[6:7], v[6:7], 0, v[2:3]
	;; [unrolled: 1-line block ×3, first 2 shown]
	s_and_saveexec_b64 s[2:3], vcc
	s_cbranch_execz .LBB224_30
; %bb.29:
	flat_load_dwordx2 v[8:9], v[6:7]
	s_waitcnt vmcnt(0) lgkmcnt(0)
	v_mul_f64 v[8:9], s[40:41], v[8:9]
	v_fmac_f64_e32 v[8:9], s[14:15], v[4:5]
	flat_store_dwordx2 v[2:3], v[8:9]
.LBB224_30:
	s_or_b64 exec, exec, s[2:3]
	s_and_b64 exec, exec, s[0:1]
	s_cbranch_execz .LBB224_20
; %bb.31:
	flat_load_dwordx2 v[4:5], v[6:7] offset:128
	s_waitcnt vmcnt(0) lgkmcnt(0)
	v_mul_f64 v[4:5], s[40:41], v[4:5]
	v_fmac_f64_e32 v[4:5], s[14:15], v[0:1]
	flat_store_dwordx2 v[2:3], v[4:5] offset:128
	s_endpgm
	.section	.rodata,"a",@progbits
	.p2align	6, 0x0
	.amdhsa_kernel _ZN12_GLOBAL__N_135rocblas_gemm_batched_general_kernelIdLi16ELi16ELi32ELi32ELi8ELi32ELi8ELi8ELi32ELc84ELc78EKPKdS3_KPdEEvlllT_PT11_llS8_llS6_PT12_llPT13_lli
		.amdhsa_group_segment_fixed_size 4096
		.amdhsa_private_segment_fixed_size 0
		.amdhsa_kernarg_size 140
		.amdhsa_user_sgpr_count 2
		.amdhsa_user_sgpr_dispatch_ptr 0
		.amdhsa_user_sgpr_queue_ptr 0
		.amdhsa_user_sgpr_kernarg_segment_ptr 1
		.amdhsa_user_sgpr_dispatch_id 0
		.amdhsa_user_sgpr_kernarg_preload_length 0
		.amdhsa_user_sgpr_kernarg_preload_offset 0
		.amdhsa_user_sgpr_private_segment_size 0
		.amdhsa_uses_dynamic_stack 0
		.amdhsa_enable_private_segment 0
		.amdhsa_system_sgpr_workgroup_id_x 1
		.amdhsa_system_sgpr_workgroup_id_y 1
		.amdhsa_system_sgpr_workgroup_id_z 1
		.amdhsa_system_sgpr_workgroup_info 0
		.amdhsa_system_vgpr_workitem_id 1
		.amdhsa_next_free_vgpr 58
		.amdhsa_next_free_sgpr 52
		.amdhsa_accum_offset 60
		.amdhsa_reserve_vcc 1
		.amdhsa_float_round_mode_32 0
		.amdhsa_float_round_mode_16_64 0
		.amdhsa_float_denorm_mode_32 3
		.amdhsa_float_denorm_mode_16_64 3
		.amdhsa_dx10_clamp 1
		.amdhsa_ieee_mode 1
		.amdhsa_fp16_overflow 0
		.amdhsa_tg_split 0
		.amdhsa_exception_fp_ieee_invalid_op 0
		.amdhsa_exception_fp_denorm_src 0
		.amdhsa_exception_fp_ieee_div_zero 0
		.amdhsa_exception_fp_ieee_overflow 0
		.amdhsa_exception_fp_ieee_underflow 0
		.amdhsa_exception_fp_ieee_inexact 0
		.amdhsa_exception_int_div_zero 0
	.end_amdhsa_kernel
	.section	.text._ZN12_GLOBAL__N_135rocblas_gemm_batched_general_kernelIdLi16ELi16ELi32ELi32ELi8ELi32ELi8ELi8ELi32ELc84ELc78EKPKdS3_KPdEEvlllT_PT11_llS8_llS6_PT12_llPT13_lli,"axG",@progbits,_ZN12_GLOBAL__N_135rocblas_gemm_batched_general_kernelIdLi16ELi16ELi32ELi32ELi8ELi32ELi8ELi8ELi32ELc84ELc78EKPKdS3_KPdEEvlllT_PT11_llS8_llS6_PT12_llPT13_lli,comdat
.Lfunc_end224:
	.size	_ZN12_GLOBAL__N_135rocblas_gemm_batched_general_kernelIdLi16ELi16ELi32ELi32ELi8ELi32ELi8ELi8ELi32ELc84ELc78EKPKdS3_KPdEEvlllT_PT11_llS8_llS6_PT12_llPT13_lli, .Lfunc_end224-_ZN12_GLOBAL__N_135rocblas_gemm_batched_general_kernelIdLi16ELi16ELi32ELi32ELi8ELi32ELi8ELi8ELi32ELc84ELc78EKPKdS3_KPdEEvlllT_PT11_llS8_llS6_PT12_llPT13_lli
                                        ; -- End function
	.set _ZN12_GLOBAL__N_135rocblas_gemm_batched_general_kernelIdLi16ELi16ELi32ELi32ELi8ELi32ELi8ELi8ELi32ELc84ELc78EKPKdS3_KPdEEvlllT_PT11_llS8_llS6_PT12_llPT13_lli.num_vgpr, 58
	.set _ZN12_GLOBAL__N_135rocblas_gemm_batched_general_kernelIdLi16ELi16ELi32ELi32ELi8ELi32ELi8ELi8ELi32ELc84ELc78EKPKdS3_KPdEEvlllT_PT11_llS8_llS6_PT12_llPT13_lli.num_agpr, 0
	.set _ZN12_GLOBAL__N_135rocblas_gemm_batched_general_kernelIdLi16ELi16ELi32ELi32ELi8ELi32ELi8ELi8ELi32ELc84ELc78EKPKdS3_KPdEEvlllT_PT11_llS8_llS6_PT12_llPT13_lli.numbered_sgpr, 52
	.set _ZN12_GLOBAL__N_135rocblas_gemm_batched_general_kernelIdLi16ELi16ELi32ELi32ELi8ELi32ELi8ELi8ELi32ELc84ELc78EKPKdS3_KPdEEvlllT_PT11_llS8_llS6_PT12_llPT13_lli.num_named_barrier, 0
	.set _ZN12_GLOBAL__N_135rocblas_gemm_batched_general_kernelIdLi16ELi16ELi32ELi32ELi8ELi32ELi8ELi8ELi32ELc84ELc78EKPKdS3_KPdEEvlllT_PT11_llS8_llS6_PT12_llPT13_lli.private_seg_size, 0
	.set _ZN12_GLOBAL__N_135rocblas_gemm_batched_general_kernelIdLi16ELi16ELi32ELi32ELi8ELi32ELi8ELi8ELi32ELc84ELc78EKPKdS3_KPdEEvlllT_PT11_llS8_llS6_PT12_llPT13_lli.uses_vcc, 1
	.set _ZN12_GLOBAL__N_135rocblas_gemm_batched_general_kernelIdLi16ELi16ELi32ELi32ELi8ELi32ELi8ELi8ELi32ELc84ELc78EKPKdS3_KPdEEvlllT_PT11_llS8_llS6_PT12_llPT13_lli.uses_flat_scratch, 0
	.set _ZN12_GLOBAL__N_135rocblas_gemm_batched_general_kernelIdLi16ELi16ELi32ELi32ELi8ELi32ELi8ELi8ELi32ELc84ELc78EKPKdS3_KPdEEvlllT_PT11_llS8_llS6_PT12_llPT13_lli.has_dyn_sized_stack, 0
	.set _ZN12_GLOBAL__N_135rocblas_gemm_batched_general_kernelIdLi16ELi16ELi32ELi32ELi8ELi32ELi8ELi8ELi32ELc84ELc78EKPKdS3_KPdEEvlllT_PT11_llS8_llS6_PT12_llPT13_lli.has_recursion, 0
	.set _ZN12_GLOBAL__N_135rocblas_gemm_batched_general_kernelIdLi16ELi16ELi32ELi32ELi8ELi32ELi8ELi8ELi32ELc84ELc78EKPKdS3_KPdEEvlllT_PT11_llS8_llS6_PT12_llPT13_lli.has_indirect_call, 0
	.section	.AMDGPU.csdata,"",@progbits
; Kernel info:
; codeLenInByte = 1624
; TotalNumSgprs: 58
; NumVgprs: 58
; NumAgprs: 0
; TotalNumVgprs: 58
; ScratchSize: 0
; MemoryBound: 0
; FloatMode: 240
; IeeeMode: 1
; LDSByteSize: 4096 bytes/workgroup (compile time only)
; SGPRBlocks: 7
; VGPRBlocks: 7
; NumSGPRsForWavesPerEU: 58
; NumVGPRsForWavesPerEU: 58
; AccumOffset: 60
; Occupancy: 8
; WaveLimiterHint : 1
; COMPUTE_PGM_RSRC2:SCRATCH_EN: 0
; COMPUTE_PGM_RSRC2:USER_SGPR: 2
; COMPUTE_PGM_RSRC2:TRAP_HANDLER: 0
; COMPUTE_PGM_RSRC2:TGID_X_EN: 1
; COMPUTE_PGM_RSRC2:TGID_Y_EN: 1
; COMPUTE_PGM_RSRC2:TGID_Z_EN: 1
; COMPUTE_PGM_RSRC2:TIDIG_COMP_CNT: 1
; COMPUTE_PGM_RSRC3_GFX90A:ACCUM_OFFSET: 14
; COMPUTE_PGM_RSRC3_GFX90A:TG_SPLIT: 0
	.section	.text._ZN12_GLOBAL__N_135rocblas_gemm_batched_general_kernelIdLi16ELi16ELi32ELi32ELi8ELi32ELi8ELi8ELi32ELc78ELc84EKPKdS3_KPdEEvlllT_PT11_llS8_llS6_PT12_llPT13_lli,"axG",@progbits,_ZN12_GLOBAL__N_135rocblas_gemm_batched_general_kernelIdLi16ELi16ELi32ELi32ELi8ELi32ELi8ELi8ELi32ELc78ELc84EKPKdS3_KPdEEvlllT_PT11_llS8_llS6_PT12_llPT13_lli,comdat
	.globl	_ZN12_GLOBAL__N_135rocblas_gemm_batched_general_kernelIdLi16ELi16ELi32ELi32ELi8ELi32ELi8ELi8ELi32ELc78ELc84EKPKdS3_KPdEEvlllT_PT11_llS8_llS6_PT12_llPT13_lli ; -- Begin function _ZN12_GLOBAL__N_135rocblas_gemm_batched_general_kernelIdLi16ELi16ELi32ELi32ELi8ELi32ELi8ELi8ELi32ELc78ELc84EKPKdS3_KPdEEvlllT_PT11_llS8_llS6_PT12_llPT13_lli
	.p2align	8
	.type	_ZN12_GLOBAL__N_135rocblas_gemm_batched_general_kernelIdLi16ELi16ELi32ELi32ELi8ELi32ELi8ELi8ELi32ELc78ELc84EKPKdS3_KPdEEvlllT_PT11_llS8_llS6_PT12_llPT13_lli,@function
_ZN12_GLOBAL__N_135rocblas_gemm_batched_general_kernelIdLi16ELi16ELi32ELi32ELi8ELi32ELi8ELi8ELi32ELc78ELc84EKPKdS3_KPdEEvlllT_PT11_llS8_llS6_PT12_llPT13_lli: ; @_ZN12_GLOBAL__N_135rocblas_gemm_batched_general_kernelIdLi16ELi16ELi32ELi32ELi8ELi32ELi8ELi8ELi32ELc78ELc84EKPKdS3_KPdEEvlllT_PT11_llS8_llS6_PT12_llPT13_lli
; %bb.0:
	s_load_dwordx16 s[8:23], s[0:1], 0x0
	s_load_dwordx16 s[36:51], s[0:1], 0x40
	s_mov_b32 s5, 0
	s_lshl_b64 s[4:5], s[4:5], 3
	s_mov_b32 s34, s3
	v_mov_b32_e32 v11, 0
	s_waitcnt lgkmcnt(0)
	s_add_u32 s6, s42, s4
	s_addc_u32 s7, s43, s5
	s_load_dwordx2 s[24:25], s[6:7], 0x0
	s_add_u32 s6, s48, s4
	s_addc_u32 s7, s49, s5
	s_load_dwordx2 s[28:29], s[6:7], 0x0
	s_ashr_i32 s3, s2, 31
	s_ashr_i32 s35, s34, 31
	v_cmp_lt_i64_e64 s[6:7], s[12:13], 1
	v_and_b32_e32 v2, 0x3ff, v0
	v_bfe_u32 v10, v0, 10, 10
	v_mov_b32_e32 v3, v11
	s_lshl_b64 s[26:27], s[2:3], 5
	s_lshl_b64 s[30:31], s[34:35], 5
	s_and_b64 vcc, exec, s[6:7]
	s_cbranch_vccnz .LBB225_7
; %bb.1:
	v_lshl_add_u32 v8, v10, 4, v2
	v_lshrrev_b32_e32 v0, 3, v8
	v_mov_b32_e32 v1, v11
	s_add_u32 s6, s22, s4
	v_lshl_add_u64 v[4:5], v[0:1], 0, s[30:31]
	v_and_b32_e32 v1, 31, v8
	v_and_b32_e32 v14, 7, v2
	s_addc_u32 s7, s23, s5
	v_or_b32_e32 v6, s26, v1
	v_mov_b32_e32 v7, s27
	s_load_dwordx2 s[22:23], s[6:7], 0x0
	v_cmp_gt_i64_e64 s[6:7], s[8:9], v[6:7]
	v_lshlrev_b32_e32 v6, 3, v1
	v_lshlrev_b32_e32 v1, 3, v14
	v_lshl_or_b32 v0, v0, 6, v1
	s_add_u32 s4, s16, s4
	v_add_u32_e32 v23, 0x800, v0
	v_mov_b32_e32 v0, 0x800
	s_addc_u32 s5, s17, s5
	v_lshl_add_u32 v25, v10, 6, v0
	v_mad_u64_u32 v[0:1], s[16:17], s36, v14, 0
	s_load_dwordx2 s[42:43], s[4:5], 0x0
	v_cmp_gt_i64_e64 s[4:5], s[10:11], v[4:5]
	v_mov_b32_e32 v4, v1
	v_mad_u64_u32 v[4:5], s[16:17], s37, v14, v[4:5]
	s_lshl_b64 s[16:17], s[34:35], 8
	s_lshl_b64 s[34:35], s[38:39], 3
	s_add_u32 s16, s34, s16
	v_mov_b32_e32 v1, v4
	s_addc_u32 s17, s35, s17
	v_lshl_add_u64 v[0:1], v[0:1], 3, s[16:17]
	v_and_b32_e32 v4, 0x7ff8, v8
	v_mov_b32_e32 v5, v11
	v_lshrrev_b32_e32 v12, 5, v8
	v_lshl_add_u64 v[0:1], v[0:1], 0, v[4:5]
	s_waitcnt lgkmcnt(0)
	v_lshl_add_u64 v[16:17], s[22:23], 0, v[0:1]
	v_mad_u64_u32 v[0:1], s[22:23], s18, v12, 0
	s_lshl_b64 s[16:17], s[36:37], 6
	v_mov_b32_e32 v4, v1
	s_lshl_b64 s[2:3], s[2:3], 8
	s_lshl_b64 s[20:21], s[20:21], 3
	v_mad_u64_u32 v[4:5], s[22:23], s19, v12, v[4:5]
	s_add_u32 s2, s20, s2
	v_mov_b32_e32 v1, v4
	s_addc_u32 s3, s21, s3
	v_lshl_add_u64 v[0:1], v[0:1], 3, s[2:3]
	v_mov_b32_e32 v7, v11
	v_lshl_add_u64 v[0:1], v[0:1], 0, v[6:7]
	v_mov_b32_e32 v13, v11
	v_mov_b32_e32 v15, v11
	v_lshl_or_b32 v22, v12, 8, v6
	v_lshlrev_b32_e32 v24, 3, v2
	v_lshl_add_u64 v[18:19], s[42:43], 0, v[0:1]
	s_lshl_b64 s[2:3], s[18:19], 6
	s_mov_b64 s[18:19], 0
	v_mov_b64_e32 v[0:1], 0
	v_mov_b64_e32 v[20:21], s[12:13]
	;; [unrolled: 1-line block ×5, first 2 shown]
	s_branch .LBB225_3
.LBB225_2:                              ;   in Loop: Header=BB225_3 Depth=1
	s_or_b64 exec, exec, s[20:21]
	s_waitcnt vmcnt(0) lgkmcnt(0)
	ds_write_b64 v23, v[26:27]
	s_waitcnt lgkmcnt(0)
	s_barrier
	ds_read2_b64 v[26:29], v24 offset1:16
	ds_read_b128 v[30:33], v25
	ds_read_b128 v[34:37], v25 offset:16
	ds_read_b128 v[38:41], v25 offset:32
	;; [unrolled: 1-line block ×4, first 2 shown]
	ds_read2_b64 v[50:53], v24 offset0:32 offset1:48
	s_waitcnt lgkmcnt(5)
	v_fmac_f64_e32 v[8:9], v[26:27], v[30:31]
	v_fmac_f64_e32 v[6:7], v[28:29], v[30:31]
	ds_read_b128 v[54:57], v25 offset:1040
	s_waitcnt lgkmcnt(2)
	v_fmac_f64_e32 v[4:5], v[26:27], v[46:47]
	v_fmac_f64_e32 v[0:1], v[28:29], v[46:47]
	ds_read2_b64 v[26:29], v24 offset0:64 offset1:80
	s_waitcnt lgkmcnt(2)
	v_fmac_f64_e32 v[8:9], v[50:51], v[32:33]
	v_fmac_f64_e32 v[6:7], v[52:53], v[32:33]
	ds_read2_b64 v[30:33], v24 offset0:96 offset1:112
	v_fmac_f64_e32 v[4:5], v[50:51], v[48:49]
	v_fmac_f64_e32 v[0:1], v[52:53], v[48:49]
	s_waitcnt lgkmcnt(1)
	v_fmac_f64_e32 v[8:9], v[26:27], v[34:35]
	v_fmac_f64_e32 v[6:7], v[28:29], v[34:35]
	ds_read_b128 v[46:49], v25 offset:1072
	v_fmac_f64_e32 v[4:5], v[26:27], v[54:55]
	v_fmac_f64_e32 v[0:1], v[28:29], v[54:55]
	s_waitcnt lgkmcnt(1)
	v_fmac_f64_e32 v[8:9], v[30:31], v[36:37]
	ds_read2_b64 v[26:29], v24 offset0:128 offset1:144
	v_fmac_f64_e32 v[6:7], v[32:33], v[36:37]
	v_fmac_f64_e32 v[4:5], v[30:31], v[56:57]
	;; [unrolled: 1-line block ×3, first 2 shown]
	ds_read_b128 v[30:33], v25 offset:1056
	ds_read2_b64 v[34:37], v24 offset0:160 offset1:176
	s_waitcnt lgkmcnt(2)
	v_fmac_f64_e32 v[8:9], v[26:27], v[38:39]
	v_fmac_f64_e32 v[6:7], v[28:29], v[38:39]
	s_add_u32 s18, s18, 8
	s_waitcnt lgkmcnt(1)
	v_fmac_f64_e32 v[4:5], v[26:27], v[30:31]
	v_fmac_f64_e32 v[0:1], v[28:29], v[30:31]
	ds_read2_b64 v[26:29], v24 offset0:192 offset1:208
	s_waitcnt lgkmcnt(1)
	v_fmac_f64_e32 v[4:5], v[34:35], v[32:33]
	v_fmac_f64_e32 v[0:1], v[36:37], v[32:33]
	ds_read2_b64 v[30:33], v24 offset0:224 offset1:240
	v_fmac_f64_e32 v[8:9], v[34:35], v[40:41]
	v_fmac_f64_e32 v[6:7], v[36:37], v[40:41]
	s_addc_u32 s19, s19, 0
	s_waitcnt lgkmcnt(1)
	v_fmac_f64_e32 v[8:9], v[26:27], v[42:43]
	v_fmac_f64_e32 v[6:7], v[28:29], v[42:43]
	;; [unrolled: 1-line block ×4, first 2 shown]
	v_cmp_lt_i64_e32 vcc, s[18:19], v[20:21]
	s_waitcnt lgkmcnt(0)
	v_fmac_f64_e32 v[8:9], v[30:31], v[44:45]
	v_fmac_f64_e32 v[6:7], v[32:33], v[44:45]
	;; [unrolled: 1-line block ×4, first 2 shown]
	v_lshl_add_u64 v[16:17], v[16:17], 0, s[16:17]
	v_lshl_add_u64 v[18:19], v[18:19], 0, s[2:3]
	s_barrier
	s_cbranch_vccz .LBB225_8
.LBB225_3:                              ; =>This Inner Loop Header: Depth=1
	v_lshl_add_u64 v[26:27], v[12:13], 0, s[18:19]
	v_cmp_gt_i64_e32 vcc, s[12:13], v[26:27]
	s_and_b64 s[22:23], s[6:7], vcc
	v_mov_b64_e32 v[26:27], 0
	s_and_saveexec_b64 s[20:21], s[22:23]
	s_cbranch_execz .LBB225_5
; %bb.4:                                ;   in Loop: Header=BB225_3 Depth=1
	flat_load_dwordx2 v[26:27], v[18:19]
.LBB225_5:                              ;   in Loop: Header=BB225_3 Depth=1
	s_or_b64 exec, exec, s[20:21]
	s_waitcnt vmcnt(0) lgkmcnt(0)
	ds_write_b64 v22, v[26:27]
	v_lshl_add_u64 v[26:27], v[14:15], 0, s[18:19]
	v_cmp_gt_i64_e32 vcc, s[12:13], v[26:27]
	s_and_b64 s[22:23], vcc, s[4:5]
	v_mov_b64_e32 v[26:27], 0
	s_and_saveexec_b64 s[20:21], s[22:23]
	s_cbranch_execz .LBB225_2
; %bb.6:                                ;   in Loop: Header=BB225_3 Depth=1
	flat_load_dwordx2 v[26:27], v[16:17]
	s_branch .LBB225_2
.LBB225_7:
	v_mov_b64_e32 v[8:9], 0
	v_mov_b64_e32 v[6:7], 0
	;; [unrolled: 1-line block ×4, first 2 shown]
.LBB225_8:
	s_load_dwordx2 s[2:3], s[0:1], 0x80
	v_lshl_add_u64 v[10:11], s[30:31], 0, v[10:11]
	v_cmp_neq_f64_e64 s[4:5], s[40:41], 0
	v_cmp_gt_i64_e64 s[0:1], s[10:11], v[10:11]
	s_waitcnt lgkmcnt(0)
	s_lshl_b64 s[2:3], s[2:3], 3
	s_add_u32 s6, s28, s2
	s_addc_u32 s7, s29, s3
	s_and_b64 vcc, exec, s[4:5]
	s_cbranch_vccnz .LBB225_21
; %bb.9:
	s_and_saveexec_b64 s[12:13], s[0:1]
	s_cbranch_execz .LBB225_19
; %bb.10:
	v_mul_lo_u32 v16, v11, s50
	v_mul_lo_u32 v17, v10, s51
	v_mad_u64_u32 v[14:15], s[2:3], v10, s50, 0
	v_add3_u32 v15, v15, v17, v16
	v_lshl_add_u64 v[12:13], s[26:27], 0, v[2:3]
	v_lshl_add_u64 v[14:15], v[14:15], 3, s[6:7]
	v_cmp_gt_i64_e32 vcc, s[8:9], v[12:13]
	v_lshl_add_u64 v[16:17], v[12:13], 3, v[14:15]
	s_and_saveexec_b64 s[2:3], vcc
	s_cbranch_execz .LBB225_12
; %bb.11:
	v_mul_f64 v[18:19], s[14:15], v[8:9]
	flat_store_dwordx2 v[16:17], v[18:19]
.LBB225_12:
	s_or_b64 exec, exec, s[2:3]
	v_lshl_add_u64 v[18:19], v[12:13], 0, 16
	v_cmp_gt_i64_e64 s[2:3], s[8:9], v[18:19]
	s_and_saveexec_b64 s[4:5], s[2:3]
	s_cbranch_execz .LBB225_14
; %bb.13:
	v_mul_f64 v[18:19], s[14:15], v[6:7]
	flat_store_dwordx2 v[16:17], v[18:19] offset:128
.LBB225_14:
	s_or_b64 exec, exec, s[4:5]
	v_lshl_add_u64 v[16:17], v[10:11], 0, 16
	v_cmp_gt_i64_e64 s[4:5], s[10:11], v[16:17]
	s_and_b64 exec, exec, s[4:5]
	s_cbranch_execz .LBB225_19
; %bb.15:
	s_lshl_b64 s[4:5], s[50:51], 7
	v_lshl_add_u64 v[14:15], v[14:15], 0, s[4:5]
	v_lshl_add_u64 v[12:13], v[12:13], 3, v[14:15]
	s_and_saveexec_b64 s[4:5], vcc
	s_cbranch_execz .LBB225_17
; %bb.16:
	v_mul_f64 v[14:15], s[14:15], v[4:5]
	flat_store_dwordx2 v[12:13], v[14:15]
.LBB225_17:
	s_or_b64 exec, exec, s[4:5]
	s_and_b64 exec, exec, s[2:3]
	s_cbranch_execz .LBB225_19
; %bb.18:
	v_mul_f64 v[14:15], s[14:15], v[0:1]
	flat_store_dwordx2 v[12:13], v[14:15] offset:128
.LBB225_19:
	s_or_b64 exec, exec, s[12:13]
	s_cbranch_execz .LBB225_22
.LBB225_20:
	s_endpgm
.LBB225_21:
.LBB225_22:
	s_and_saveexec_b64 s[2:3], s[0:1]
	s_cbranch_execz .LBB225_20
; %bb.23:
	s_lshl_b64 s[0:1], s[46:47], 3
	v_lshl_add_u64 v[16:17], s[26:27], 0, v[2:3]
	v_mul_lo_u32 v12, v11, s44
	v_mul_lo_u32 v13, v10, s45
	v_mad_u64_u32 v[2:3], s[2:3], v10, s44, 0
	s_add_u32 s0, s24, s0
	v_add3_u32 v3, v3, v13, v12
	v_mul_lo_u32 v14, v11, s50
	v_mul_lo_u32 v15, v10, s51
	v_mad_u64_u32 v[12:13], s[2:3], v10, s50, 0
	s_addc_u32 s1, s25, s1
	v_add3_u32 v13, v13, v15, v14
	v_cmp_gt_i64_e32 vcc, s[8:9], v[16:17]
	v_lshl_add_u64 v[14:15], v[2:3], 3, s[0:1]
	v_lshl_add_u64 v[12:13], v[12:13], 3, s[6:7]
	v_lshlrev_b64 v[2:3], 3, v[16:17]
	s_and_saveexec_b64 s[0:1], vcc
	s_cbranch_execz .LBB225_25
; %bb.24:
	v_lshl_add_u64 v[18:19], v[14:15], 0, v[2:3]
	flat_load_dwordx2 v[18:19], v[18:19]
	s_waitcnt vmcnt(0) lgkmcnt(0)
	v_mul_f64 v[18:19], s[40:41], v[18:19]
	v_fmac_f64_e32 v[18:19], s[14:15], v[8:9]
	v_lshl_add_u64 v[8:9], v[12:13], 0, v[2:3]
	flat_store_dwordx2 v[8:9], v[18:19]
.LBB225_25:
	s_or_b64 exec, exec, s[0:1]
	v_lshl_add_u64 v[8:9], v[16:17], 0, 16
	v_cmp_gt_i64_e64 s[0:1], s[8:9], v[8:9]
	s_and_saveexec_b64 s[2:3], s[0:1]
	s_cbranch_execz .LBB225_27
; %bb.26:
	v_lshl_add_u64 v[8:9], v[14:15], 0, v[2:3]
	flat_load_dwordx2 v[8:9], v[8:9] offset:128
	s_waitcnt vmcnt(0) lgkmcnt(0)
	v_mul_f64 v[8:9], s[40:41], v[8:9]
	v_fmac_f64_e32 v[8:9], s[14:15], v[6:7]
	v_lshl_add_u64 v[6:7], v[12:13], 0, v[2:3]
	flat_store_dwordx2 v[6:7], v[8:9] offset:128
.LBB225_27:
	s_or_b64 exec, exec, s[2:3]
	v_lshl_add_u64 v[6:7], v[10:11], 0, 16
	v_cmp_gt_i64_e64 s[2:3], s[10:11], v[6:7]
	s_and_b64 exec, exec, s[2:3]
	s_cbranch_execz .LBB225_20
; %bb.28:
	s_lshl_b64 s[2:3], s[44:45], 7
	v_lshl_add_u64 v[6:7], v[14:15], 0, s[2:3]
	s_lshl_b64 s[2:3], s[50:51], 7
	v_lshl_add_u64 v[8:9], v[12:13], 0, s[2:3]
	v_lshl_add_u64 v[6:7], v[6:7], 0, v[2:3]
	;; [unrolled: 1-line block ×3, first 2 shown]
	s_and_saveexec_b64 s[2:3], vcc
	s_cbranch_execz .LBB225_30
; %bb.29:
	flat_load_dwordx2 v[8:9], v[6:7]
	s_waitcnt vmcnt(0) lgkmcnt(0)
	v_mul_f64 v[8:9], s[40:41], v[8:9]
	v_fmac_f64_e32 v[8:9], s[14:15], v[4:5]
	flat_store_dwordx2 v[2:3], v[8:9]
.LBB225_30:
	s_or_b64 exec, exec, s[2:3]
	s_and_b64 exec, exec, s[0:1]
	s_cbranch_execz .LBB225_20
; %bb.31:
	flat_load_dwordx2 v[4:5], v[6:7] offset:128
	s_waitcnt vmcnt(0) lgkmcnt(0)
	v_mul_f64 v[4:5], s[40:41], v[4:5]
	v_fmac_f64_e32 v[4:5], s[14:15], v[0:1]
	flat_store_dwordx2 v[2:3], v[4:5] offset:128
	s_endpgm
	.section	.rodata,"a",@progbits
	.p2align	6, 0x0
	.amdhsa_kernel _ZN12_GLOBAL__N_135rocblas_gemm_batched_general_kernelIdLi16ELi16ELi32ELi32ELi8ELi32ELi8ELi8ELi32ELc78ELc84EKPKdS3_KPdEEvlllT_PT11_llS8_llS6_PT12_llPT13_lli
		.amdhsa_group_segment_fixed_size 4096
		.amdhsa_private_segment_fixed_size 0
		.amdhsa_kernarg_size 140
		.amdhsa_user_sgpr_count 2
		.amdhsa_user_sgpr_dispatch_ptr 0
		.amdhsa_user_sgpr_queue_ptr 0
		.amdhsa_user_sgpr_kernarg_segment_ptr 1
		.amdhsa_user_sgpr_dispatch_id 0
		.amdhsa_user_sgpr_kernarg_preload_length 0
		.amdhsa_user_sgpr_kernarg_preload_offset 0
		.amdhsa_user_sgpr_private_segment_size 0
		.amdhsa_uses_dynamic_stack 0
		.amdhsa_enable_private_segment 0
		.amdhsa_system_sgpr_workgroup_id_x 1
		.amdhsa_system_sgpr_workgroup_id_y 1
		.amdhsa_system_sgpr_workgroup_id_z 1
		.amdhsa_system_sgpr_workgroup_info 0
		.amdhsa_system_vgpr_workitem_id 1
		.amdhsa_next_free_vgpr 58
		.amdhsa_next_free_sgpr 52
		.amdhsa_accum_offset 60
		.amdhsa_reserve_vcc 1
		.amdhsa_float_round_mode_32 0
		.amdhsa_float_round_mode_16_64 0
		.amdhsa_float_denorm_mode_32 3
		.amdhsa_float_denorm_mode_16_64 3
		.amdhsa_dx10_clamp 1
		.amdhsa_ieee_mode 1
		.amdhsa_fp16_overflow 0
		.amdhsa_tg_split 0
		.amdhsa_exception_fp_ieee_invalid_op 0
		.amdhsa_exception_fp_denorm_src 0
		.amdhsa_exception_fp_ieee_div_zero 0
		.amdhsa_exception_fp_ieee_overflow 0
		.amdhsa_exception_fp_ieee_underflow 0
		.amdhsa_exception_fp_ieee_inexact 0
		.amdhsa_exception_int_div_zero 0
	.end_amdhsa_kernel
	.section	.text._ZN12_GLOBAL__N_135rocblas_gemm_batched_general_kernelIdLi16ELi16ELi32ELi32ELi8ELi32ELi8ELi8ELi32ELc78ELc84EKPKdS3_KPdEEvlllT_PT11_llS8_llS6_PT12_llPT13_lli,"axG",@progbits,_ZN12_GLOBAL__N_135rocblas_gemm_batched_general_kernelIdLi16ELi16ELi32ELi32ELi8ELi32ELi8ELi8ELi32ELc78ELc84EKPKdS3_KPdEEvlllT_PT11_llS8_llS6_PT12_llPT13_lli,comdat
.Lfunc_end225:
	.size	_ZN12_GLOBAL__N_135rocblas_gemm_batched_general_kernelIdLi16ELi16ELi32ELi32ELi8ELi32ELi8ELi8ELi32ELc78ELc84EKPKdS3_KPdEEvlllT_PT11_llS8_llS6_PT12_llPT13_lli, .Lfunc_end225-_ZN12_GLOBAL__N_135rocblas_gemm_batched_general_kernelIdLi16ELi16ELi32ELi32ELi8ELi32ELi8ELi8ELi32ELc78ELc84EKPKdS3_KPdEEvlllT_PT11_llS8_llS6_PT12_llPT13_lli
                                        ; -- End function
	.set _ZN12_GLOBAL__N_135rocblas_gemm_batched_general_kernelIdLi16ELi16ELi32ELi32ELi8ELi32ELi8ELi8ELi32ELc78ELc84EKPKdS3_KPdEEvlllT_PT11_llS8_llS6_PT12_llPT13_lli.num_vgpr, 58
	.set _ZN12_GLOBAL__N_135rocblas_gemm_batched_general_kernelIdLi16ELi16ELi32ELi32ELi8ELi32ELi8ELi8ELi32ELc78ELc84EKPKdS3_KPdEEvlllT_PT11_llS8_llS6_PT12_llPT13_lli.num_agpr, 0
	.set _ZN12_GLOBAL__N_135rocblas_gemm_batched_general_kernelIdLi16ELi16ELi32ELi32ELi8ELi32ELi8ELi8ELi32ELc78ELc84EKPKdS3_KPdEEvlllT_PT11_llS8_llS6_PT12_llPT13_lli.numbered_sgpr, 52
	.set _ZN12_GLOBAL__N_135rocblas_gemm_batched_general_kernelIdLi16ELi16ELi32ELi32ELi8ELi32ELi8ELi8ELi32ELc78ELc84EKPKdS3_KPdEEvlllT_PT11_llS8_llS6_PT12_llPT13_lli.num_named_barrier, 0
	.set _ZN12_GLOBAL__N_135rocblas_gemm_batched_general_kernelIdLi16ELi16ELi32ELi32ELi8ELi32ELi8ELi8ELi32ELc78ELc84EKPKdS3_KPdEEvlllT_PT11_llS8_llS6_PT12_llPT13_lli.private_seg_size, 0
	.set _ZN12_GLOBAL__N_135rocblas_gemm_batched_general_kernelIdLi16ELi16ELi32ELi32ELi8ELi32ELi8ELi8ELi32ELc78ELc84EKPKdS3_KPdEEvlllT_PT11_llS8_llS6_PT12_llPT13_lli.uses_vcc, 1
	.set _ZN12_GLOBAL__N_135rocblas_gemm_batched_general_kernelIdLi16ELi16ELi32ELi32ELi8ELi32ELi8ELi8ELi32ELc78ELc84EKPKdS3_KPdEEvlllT_PT11_llS8_llS6_PT12_llPT13_lli.uses_flat_scratch, 0
	.set _ZN12_GLOBAL__N_135rocblas_gemm_batched_general_kernelIdLi16ELi16ELi32ELi32ELi8ELi32ELi8ELi8ELi32ELc78ELc84EKPKdS3_KPdEEvlllT_PT11_llS8_llS6_PT12_llPT13_lli.has_dyn_sized_stack, 0
	.set _ZN12_GLOBAL__N_135rocblas_gemm_batched_general_kernelIdLi16ELi16ELi32ELi32ELi8ELi32ELi8ELi8ELi32ELc78ELc84EKPKdS3_KPdEEvlllT_PT11_llS8_llS6_PT12_llPT13_lli.has_recursion, 0
	.set _ZN12_GLOBAL__N_135rocblas_gemm_batched_general_kernelIdLi16ELi16ELi32ELi32ELi8ELi32ELi8ELi8ELi32ELc78ELc84EKPKdS3_KPdEEvlllT_PT11_llS8_llS6_PT12_llPT13_lli.has_indirect_call, 0
	.section	.AMDGPU.csdata,"",@progbits
; Kernel info:
; codeLenInByte = 1632
; TotalNumSgprs: 58
; NumVgprs: 58
; NumAgprs: 0
; TotalNumVgprs: 58
; ScratchSize: 0
; MemoryBound: 0
; FloatMode: 240
; IeeeMode: 1
; LDSByteSize: 4096 bytes/workgroup (compile time only)
; SGPRBlocks: 7
; VGPRBlocks: 7
; NumSGPRsForWavesPerEU: 58
; NumVGPRsForWavesPerEU: 58
; AccumOffset: 60
; Occupancy: 8
; WaveLimiterHint : 1
; COMPUTE_PGM_RSRC2:SCRATCH_EN: 0
; COMPUTE_PGM_RSRC2:USER_SGPR: 2
; COMPUTE_PGM_RSRC2:TRAP_HANDLER: 0
; COMPUTE_PGM_RSRC2:TGID_X_EN: 1
; COMPUTE_PGM_RSRC2:TGID_Y_EN: 1
; COMPUTE_PGM_RSRC2:TGID_Z_EN: 1
; COMPUTE_PGM_RSRC2:TIDIG_COMP_CNT: 1
; COMPUTE_PGM_RSRC3_GFX90A:ACCUM_OFFSET: 14
; COMPUTE_PGM_RSRC3_GFX90A:TG_SPLIT: 0
	.section	.text._ZN12_GLOBAL__N_135rocblas_gemm_batched_general_kernelIdLi16ELi16ELi32ELi32ELi8ELi32ELi8ELi8ELi32ELc84ELc84EKPKdS3_KPdEEvlllT_PT11_llS8_llS6_PT12_llPT13_lli,"axG",@progbits,_ZN12_GLOBAL__N_135rocblas_gemm_batched_general_kernelIdLi16ELi16ELi32ELi32ELi8ELi32ELi8ELi8ELi32ELc84ELc84EKPKdS3_KPdEEvlllT_PT11_llS8_llS6_PT12_llPT13_lli,comdat
	.globl	_ZN12_GLOBAL__N_135rocblas_gemm_batched_general_kernelIdLi16ELi16ELi32ELi32ELi8ELi32ELi8ELi8ELi32ELc84ELc84EKPKdS3_KPdEEvlllT_PT11_llS8_llS6_PT12_llPT13_lli ; -- Begin function _ZN12_GLOBAL__N_135rocblas_gemm_batched_general_kernelIdLi16ELi16ELi32ELi32ELi8ELi32ELi8ELi8ELi32ELc84ELc84EKPKdS3_KPdEEvlllT_PT11_llS8_llS6_PT12_llPT13_lli
	.p2align	8
	.type	_ZN12_GLOBAL__N_135rocblas_gemm_batched_general_kernelIdLi16ELi16ELi32ELi32ELi8ELi32ELi8ELi8ELi32ELc84ELc84EKPKdS3_KPdEEvlllT_PT11_llS8_llS6_PT12_llPT13_lli,@function
_ZN12_GLOBAL__N_135rocblas_gemm_batched_general_kernelIdLi16ELi16ELi32ELi32ELi8ELi32ELi8ELi8ELi32ELc84ELc84EKPKdS3_KPdEEvlllT_PT11_llS8_llS6_PT12_llPT13_lli: ; @_ZN12_GLOBAL__N_135rocblas_gemm_batched_general_kernelIdLi16ELi16ELi32ELi32ELi8ELi32ELi8ELi8ELi32ELc84ELc84EKPKdS3_KPdEEvlllT_PT11_llS8_llS6_PT12_llPT13_lli
; %bb.0:
	s_load_dwordx16 s[8:23], s[0:1], 0x0
	s_load_dwordx16 s[36:51], s[0:1], 0x40
	s_mov_b32 s5, 0
	s_lshl_b64 s[4:5], s[4:5], 3
	s_mov_b32 s30, s3
	v_mov_b32_e32 v11, 0
	s_waitcnt lgkmcnt(0)
	s_add_u32 s6, s42, s4
	s_addc_u32 s7, s43, s5
	s_add_u32 s24, s48, s4
	s_addc_u32 s25, s49, s5
	s_load_dwordx2 s[6:7], s[6:7], 0x0
	s_ashr_i32 s3, s2, 31
	s_load_dwordx2 s[26:27], s[24:25], 0x0
	s_lshl_b64 s[24:25], s[2:3], 5
	s_ashr_i32 s31, s30, 31
	v_cmp_lt_i64_e64 s[2:3], s[12:13], 1
	v_and_b32_e32 v2, 0x3ff, v0
	v_bfe_u32 v10, v0, 10, 10
	v_mov_b32_e32 v3, v11
	s_lshl_b64 s[28:29], s[30:31], 5
	s_and_b64 vcc, exec, s[2:3]
	s_cbranch_vccnz .LBB226_7
; %bb.1:
	v_lshl_add_u32 v16, v10, 4, v2
	v_lshrrev_b32_e32 v0, 3, v16
	v_mov_b32_e32 v1, v11
	v_and_b32_e32 v6, 31, v16
	v_lshrrev_b32_e32 v12, 5, v16
	v_and_b32_e32 v14, 7, v2
	v_lshl_add_u64 v[4:5], v[0:1], 0, s[28:29]
	v_lshlrev_b32_e32 v1, 3, v6
	s_add_u32 s2, s22, s4
	v_lshl_or_b32 v22, v12, 8, v1
	v_lshlrev_b32_e32 v1, 3, v14
	s_addc_u32 s3, s23, s5
	v_lshl_or_b32 v0, v0, 6, v1
	s_load_dwordx2 s[22:23], s[2:3], 0x0
	s_add_u32 s2, s16, s4
	v_add_u32_e32 v23, 0x800, v0
	v_mov_b32_e32 v0, 0x800
	s_addc_u32 s3, s17, s5
	v_lshl_add_u32 v25, v10, 6, v0
	v_mad_u64_u32 v[0:1], s[16:17], s36, v14, 0
	v_cmp_gt_i64_e64 s[4:5], s[10:11], v[4:5]
	v_mov_b32_e32 v4, v1
	v_mad_u64_u32 v[4:5], s[16:17], s37, v14, v[4:5]
	s_lshl_b64 s[16:17], s[30:31], 8
	s_lshl_b64 s[30:31], s[38:39], 3
	s_add_u32 s16, s30, s16
	v_mov_b32_e32 v1, v4
	s_addc_u32 s17, s31, s17
	v_lshl_add_u64 v[0:1], v[0:1], 3, s[16:17]
	v_and_b32_e32 v4, 0x7ff8, v16
	v_mov_b32_e32 v5, v11
	v_mov_b32_e32 v7, v11
	v_lshl_add_u64 v[0:1], v[0:1], 0, v[4:5]
	s_load_dwordx2 s[34:35], s[2:3], 0x0
	s_waitcnt lgkmcnt(0)
	v_lshl_add_u64 v[16:17], s[22:23], 0, v[0:1]
	v_lshl_add_u64 v[0:1], s[24:25], 0, v[6:7]
	v_mul_lo_u32 v4, s19, v0
	v_mul_lo_u32 v5, s18, v1
	v_mad_u64_u32 v[0:1], s[18:19], s18, v0, 0
	v_add3_u32 v1, v1, v5, v4
	s_lshl_b64 s[18:19], s[20:21], 3
	v_lshl_add_u64 v[0:1], v[0:1], 3, s[18:19]
	v_lshlrev_b32_e32 v4, 3, v12
	v_mov_b32_e32 v5, v11
	v_or_b32_e32 v8, s24, v6
	v_mov_b32_e32 v9, s25
	v_lshl_add_u64 v[0:1], v[0:1], 0, v[4:5]
	v_mov_b32_e32 v13, v11
	v_mov_b32_e32 v15, v11
	v_cmp_gt_i64_e64 s[2:3], s[8:9], v[8:9]
	v_lshlrev_b32_e32 v24, 3, v2
	s_lshl_b64 s[16:17], s[36:37], 6
	v_lshl_add_u64 v[18:19], s[34:35], 0, v[0:1]
	s_mov_b64 s[18:19], 0
	v_mov_b64_e32 v[0:1], 0
	v_mov_b64_e32 v[20:21], s[12:13]
	;; [unrolled: 1-line block ×5, first 2 shown]
	s_branch .LBB226_3
.LBB226_2:                              ;   in Loop: Header=BB226_3 Depth=1
	s_or_b64 exec, exec, s[20:21]
	s_waitcnt vmcnt(0) lgkmcnt(0)
	ds_write_b64 v23, v[26:27]
	s_waitcnt lgkmcnt(0)
	s_barrier
	ds_read2_b64 v[26:29], v24 offset1:16
	ds_read_b128 v[30:33], v25
	ds_read_b128 v[34:37], v25 offset:16
	ds_read_b128 v[38:41], v25 offset:32
	;; [unrolled: 1-line block ×4, first 2 shown]
	ds_read2_b64 v[50:53], v24 offset0:32 offset1:48
	s_waitcnt lgkmcnt(5)
	v_fmac_f64_e32 v[8:9], v[26:27], v[30:31]
	v_fmac_f64_e32 v[6:7], v[28:29], v[30:31]
	ds_read_b128 v[54:57], v25 offset:1040
	s_waitcnt lgkmcnt(2)
	v_fmac_f64_e32 v[4:5], v[26:27], v[46:47]
	v_fmac_f64_e32 v[0:1], v[28:29], v[46:47]
	ds_read2_b64 v[26:29], v24 offset0:64 offset1:80
	s_waitcnt lgkmcnt(2)
	v_fmac_f64_e32 v[8:9], v[50:51], v[32:33]
	v_fmac_f64_e32 v[6:7], v[52:53], v[32:33]
	ds_read2_b64 v[30:33], v24 offset0:96 offset1:112
	v_fmac_f64_e32 v[4:5], v[50:51], v[48:49]
	v_fmac_f64_e32 v[0:1], v[52:53], v[48:49]
	s_waitcnt lgkmcnt(1)
	v_fmac_f64_e32 v[8:9], v[26:27], v[34:35]
	v_fmac_f64_e32 v[6:7], v[28:29], v[34:35]
	ds_read_b128 v[46:49], v25 offset:1072
	v_fmac_f64_e32 v[4:5], v[26:27], v[54:55]
	v_fmac_f64_e32 v[0:1], v[28:29], v[54:55]
	s_waitcnt lgkmcnt(1)
	v_fmac_f64_e32 v[8:9], v[30:31], v[36:37]
	ds_read2_b64 v[26:29], v24 offset0:128 offset1:144
	v_fmac_f64_e32 v[6:7], v[32:33], v[36:37]
	v_fmac_f64_e32 v[4:5], v[30:31], v[56:57]
	;; [unrolled: 1-line block ×3, first 2 shown]
	ds_read_b128 v[30:33], v25 offset:1056
	ds_read2_b64 v[34:37], v24 offset0:160 offset1:176
	s_waitcnt lgkmcnt(2)
	v_fmac_f64_e32 v[8:9], v[26:27], v[38:39]
	v_fmac_f64_e32 v[6:7], v[28:29], v[38:39]
	s_add_u32 s18, s18, 8
	s_waitcnt lgkmcnt(1)
	v_fmac_f64_e32 v[4:5], v[26:27], v[30:31]
	v_fmac_f64_e32 v[0:1], v[28:29], v[30:31]
	ds_read2_b64 v[26:29], v24 offset0:192 offset1:208
	s_waitcnt lgkmcnt(1)
	v_fmac_f64_e32 v[4:5], v[34:35], v[32:33]
	v_fmac_f64_e32 v[0:1], v[36:37], v[32:33]
	ds_read2_b64 v[30:33], v24 offset0:224 offset1:240
	v_fmac_f64_e32 v[8:9], v[34:35], v[40:41]
	v_fmac_f64_e32 v[6:7], v[36:37], v[40:41]
	s_addc_u32 s19, s19, 0
	s_waitcnt lgkmcnt(1)
	v_fmac_f64_e32 v[8:9], v[26:27], v[42:43]
	v_fmac_f64_e32 v[6:7], v[28:29], v[42:43]
	;; [unrolled: 1-line block ×4, first 2 shown]
	v_cmp_lt_i64_e32 vcc, s[18:19], v[20:21]
	s_waitcnt lgkmcnt(0)
	v_fmac_f64_e32 v[8:9], v[30:31], v[44:45]
	v_fmac_f64_e32 v[6:7], v[32:33], v[44:45]
	;; [unrolled: 1-line block ×4, first 2 shown]
	v_lshl_add_u64 v[16:17], v[16:17], 0, s[16:17]
	v_lshl_add_u64 v[18:19], v[18:19], 0, 64
	s_barrier
	s_cbranch_vccz .LBB226_8
.LBB226_3:                              ; =>This Inner Loop Header: Depth=1
	v_lshl_add_u64 v[26:27], v[12:13], 0, s[18:19]
	v_cmp_gt_i64_e32 vcc, s[12:13], v[26:27]
	s_and_b64 s[22:23], s[2:3], vcc
	v_mov_b64_e32 v[26:27], 0
	s_and_saveexec_b64 s[20:21], s[22:23]
	s_cbranch_execz .LBB226_5
; %bb.4:                                ;   in Loop: Header=BB226_3 Depth=1
	flat_load_dwordx2 v[26:27], v[18:19]
.LBB226_5:                              ;   in Loop: Header=BB226_3 Depth=1
	s_or_b64 exec, exec, s[20:21]
	s_waitcnt vmcnt(0) lgkmcnt(0)
	ds_write_b64 v22, v[26:27]
	v_lshl_add_u64 v[26:27], v[14:15], 0, s[18:19]
	v_cmp_gt_i64_e32 vcc, s[12:13], v[26:27]
	s_and_b64 s[22:23], vcc, s[4:5]
	v_mov_b64_e32 v[26:27], 0
	s_and_saveexec_b64 s[20:21], s[22:23]
	s_cbranch_execz .LBB226_2
; %bb.6:                                ;   in Loop: Header=BB226_3 Depth=1
	flat_load_dwordx2 v[26:27], v[16:17]
	s_branch .LBB226_2
.LBB226_7:
	v_mov_b64_e32 v[8:9], 0
	v_mov_b64_e32 v[6:7], 0
	;; [unrolled: 1-line block ×4, first 2 shown]
.LBB226_8:
	s_load_dwordx2 s[2:3], s[0:1], 0x80
	v_lshl_add_u64 v[10:11], s[28:29], 0, v[10:11]
	v_cmp_neq_f64_e64 s[4:5], s[40:41], 0
	v_cmp_gt_i64_e64 s[0:1], s[10:11], v[10:11]
	s_waitcnt lgkmcnt(0)
	s_lshl_b64 s[2:3], s[2:3], 3
	s_add_u32 s12, s26, s2
	s_addc_u32 s13, s27, s3
	s_and_b64 vcc, exec, s[4:5]
	s_cbranch_vccnz .LBB226_21
; %bb.9:
	s_and_saveexec_b64 s[16:17], s[0:1]
	s_cbranch_execz .LBB226_19
; %bb.10:
	v_mul_lo_u32 v16, v11, s50
	v_mul_lo_u32 v17, v10, s51
	v_mad_u64_u32 v[14:15], s[2:3], v10, s50, 0
	v_add3_u32 v15, v15, v17, v16
	v_lshl_add_u64 v[12:13], s[24:25], 0, v[2:3]
	v_lshl_add_u64 v[14:15], v[14:15], 3, s[12:13]
	v_cmp_gt_i64_e32 vcc, s[8:9], v[12:13]
	v_lshl_add_u64 v[16:17], v[12:13], 3, v[14:15]
	s_and_saveexec_b64 s[2:3], vcc
	s_cbranch_execz .LBB226_12
; %bb.11:
	v_mul_f64 v[18:19], s[14:15], v[8:9]
	flat_store_dwordx2 v[16:17], v[18:19]
.LBB226_12:
	s_or_b64 exec, exec, s[2:3]
	v_lshl_add_u64 v[18:19], v[12:13], 0, 16
	v_cmp_gt_i64_e64 s[2:3], s[8:9], v[18:19]
	s_and_saveexec_b64 s[4:5], s[2:3]
	s_cbranch_execz .LBB226_14
; %bb.13:
	v_mul_f64 v[18:19], s[14:15], v[6:7]
	flat_store_dwordx2 v[16:17], v[18:19] offset:128
.LBB226_14:
	s_or_b64 exec, exec, s[4:5]
	v_lshl_add_u64 v[16:17], v[10:11], 0, 16
	v_cmp_gt_i64_e64 s[4:5], s[10:11], v[16:17]
	s_and_b64 exec, exec, s[4:5]
	s_cbranch_execz .LBB226_19
; %bb.15:
	s_lshl_b64 s[4:5], s[50:51], 7
	v_lshl_add_u64 v[14:15], v[14:15], 0, s[4:5]
	v_lshl_add_u64 v[12:13], v[12:13], 3, v[14:15]
	s_and_saveexec_b64 s[4:5], vcc
	s_cbranch_execz .LBB226_17
; %bb.16:
	v_mul_f64 v[14:15], s[14:15], v[4:5]
	flat_store_dwordx2 v[12:13], v[14:15]
.LBB226_17:
	s_or_b64 exec, exec, s[4:5]
	s_and_b64 exec, exec, s[2:3]
	s_cbranch_execz .LBB226_19
; %bb.18:
	v_mul_f64 v[14:15], s[14:15], v[0:1]
	flat_store_dwordx2 v[12:13], v[14:15] offset:128
.LBB226_19:
	s_or_b64 exec, exec, s[16:17]
	s_cbranch_execz .LBB226_22
.LBB226_20:
	s_endpgm
.LBB226_21:
.LBB226_22:
	s_and_saveexec_b64 s[2:3], s[0:1]
	s_cbranch_execz .LBB226_20
; %bb.23:
	s_lshl_b64 s[0:1], s[46:47], 3
	v_lshl_add_u64 v[16:17], s[24:25], 0, v[2:3]
	v_mul_lo_u32 v12, v11, s44
	v_mul_lo_u32 v13, v10, s45
	v_mad_u64_u32 v[2:3], s[2:3], v10, s44, 0
	s_add_u32 s0, s6, s0
	v_add3_u32 v3, v3, v13, v12
	v_mul_lo_u32 v14, v11, s50
	v_mul_lo_u32 v15, v10, s51
	v_mad_u64_u32 v[12:13], s[2:3], v10, s50, 0
	s_addc_u32 s1, s7, s1
	v_add3_u32 v13, v13, v15, v14
	v_cmp_gt_i64_e32 vcc, s[8:9], v[16:17]
	v_lshl_add_u64 v[14:15], v[2:3], 3, s[0:1]
	v_lshl_add_u64 v[12:13], v[12:13], 3, s[12:13]
	v_lshlrev_b64 v[2:3], 3, v[16:17]
	s_and_saveexec_b64 s[0:1], vcc
	s_cbranch_execz .LBB226_25
; %bb.24:
	v_lshl_add_u64 v[18:19], v[14:15], 0, v[2:3]
	flat_load_dwordx2 v[18:19], v[18:19]
	s_waitcnt vmcnt(0) lgkmcnt(0)
	v_mul_f64 v[18:19], s[40:41], v[18:19]
	v_fmac_f64_e32 v[18:19], s[14:15], v[8:9]
	v_lshl_add_u64 v[8:9], v[12:13], 0, v[2:3]
	flat_store_dwordx2 v[8:9], v[18:19]
.LBB226_25:
	s_or_b64 exec, exec, s[0:1]
	v_lshl_add_u64 v[8:9], v[16:17], 0, 16
	v_cmp_gt_i64_e64 s[0:1], s[8:9], v[8:9]
	s_and_saveexec_b64 s[2:3], s[0:1]
	s_cbranch_execz .LBB226_27
; %bb.26:
	v_lshl_add_u64 v[8:9], v[14:15], 0, v[2:3]
	flat_load_dwordx2 v[8:9], v[8:9] offset:128
	s_waitcnt vmcnt(0) lgkmcnt(0)
	v_mul_f64 v[8:9], s[40:41], v[8:9]
	v_fmac_f64_e32 v[8:9], s[14:15], v[6:7]
	v_lshl_add_u64 v[6:7], v[12:13], 0, v[2:3]
	flat_store_dwordx2 v[6:7], v[8:9] offset:128
.LBB226_27:
	s_or_b64 exec, exec, s[2:3]
	v_lshl_add_u64 v[6:7], v[10:11], 0, 16
	v_cmp_gt_i64_e64 s[2:3], s[10:11], v[6:7]
	s_and_b64 exec, exec, s[2:3]
	s_cbranch_execz .LBB226_20
; %bb.28:
	s_lshl_b64 s[2:3], s[44:45], 7
	v_lshl_add_u64 v[6:7], v[14:15], 0, s[2:3]
	s_lshl_b64 s[2:3], s[50:51], 7
	v_lshl_add_u64 v[8:9], v[12:13], 0, s[2:3]
	v_lshl_add_u64 v[6:7], v[6:7], 0, v[2:3]
	v_lshl_add_u64 v[2:3], v[8:9], 0, v[2:3]
	s_and_saveexec_b64 s[2:3], vcc
	s_cbranch_execz .LBB226_30
; %bb.29:
	flat_load_dwordx2 v[8:9], v[6:7]
	s_waitcnt vmcnt(0) lgkmcnt(0)
	v_mul_f64 v[8:9], s[40:41], v[8:9]
	v_fmac_f64_e32 v[8:9], s[14:15], v[4:5]
	flat_store_dwordx2 v[2:3], v[8:9]
.LBB226_30:
	s_or_b64 exec, exec, s[2:3]
	s_and_b64 exec, exec, s[0:1]
	s_cbranch_execz .LBB226_20
; %bb.31:
	flat_load_dwordx2 v[4:5], v[6:7] offset:128
	s_waitcnt vmcnt(0) lgkmcnt(0)
	v_mul_f64 v[4:5], s[40:41], v[4:5]
	v_fmac_f64_e32 v[4:5], s[14:15], v[0:1]
	flat_store_dwordx2 v[2:3], v[4:5] offset:128
	s_endpgm
	.section	.rodata,"a",@progbits
	.p2align	6, 0x0
	.amdhsa_kernel _ZN12_GLOBAL__N_135rocblas_gemm_batched_general_kernelIdLi16ELi16ELi32ELi32ELi8ELi32ELi8ELi8ELi32ELc84ELc84EKPKdS3_KPdEEvlllT_PT11_llS8_llS6_PT12_llPT13_lli
		.amdhsa_group_segment_fixed_size 4096
		.amdhsa_private_segment_fixed_size 0
		.amdhsa_kernarg_size 140
		.amdhsa_user_sgpr_count 2
		.amdhsa_user_sgpr_dispatch_ptr 0
		.amdhsa_user_sgpr_queue_ptr 0
		.amdhsa_user_sgpr_kernarg_segment_ptr 1
		.amdhsa_user_sgpr_dispatch_id 0
		.amdhsa_user_sgpr_kernarg_preload_length 0
		.amdhsa_user_sgpr_kernarg_preload_offset 0
		.amdhsa_user_sgpr_private_segment_size 0
		.amdhsa_uses_dynamic_stack 0
		.amdhsa_enable_private_segment 0
		.amdhsa_system_sgpr_workgroup_id_x 1
		.amdhsa_system_sgpr_workgroup_id_y 1
		.amdhsa_system_sgpr_workgroup_id_z 1
		.amdhsa_system_sgpr_workgroup_info 0
		.amdhsa_system_vgpr_workitem_id 1
		.amdhsa_next_free_vgpr 58
		.amdhsa_next_free_sgpr 52
		.amdhsa_accum_offset 60
		.amdhsa_reserve_vcc 1
		.amdhsa_float_round_mode_32 0
		.amdhsa_float_round_mode_16_64 0
		.amdhsa_float_denorm_mode_32 3
		.amdhsa_float_denorm_mode_16_64 3
		.amdhsa_dx10_clamp 1
		.amdhsa_ieee_mode 1
		.amdhsa_fp16_overflow 0
		.amdhsa_tg_split 0
		.amdhsa_exception_fp_ieee_invalid_op 0
		.amdhsa_exception_fp_denorm_src 0
		.amdhsa_exception_fp_ieee_div_zero 0
		.amdhsa_exception_fp_ieee_overflow 0
		.amdhsa_exception_fp_ieee_underflow 0
		.amdhsa_exception_fp_ieee_inexact 0
		.amdhsa_exception_int_div_zero 0
	.end_amdhsa_kernel
	.section	.text._ZN12_GLOBAL__N_135rocblas_gemm_batched_general_kernelIdLi16ELi16ELi32ELi32ELi8ELi32ELi8ELi8ELi32ELc84ELc84EKPKdS3_KPdEEvlllT_PT11_llS8_llS6_PT12_llPT13_lli,"axG",@progbits,_ZN12_GLOBAL__N_135rocblas_gemm_batched_general_kernelIdLi16ELi16ELi32ELi32ELi8ELi32ELi8ELi8ELi32ELc84ELc84EKPKdS3_KPdEEvlllT_PT11_llS8_llS6_PT12_llPT13_lli,comdat
.Lfunc_end226:
	.size	_ZN12_GLOBAL__N_135rocblas_gemm_batched_general_kernelIdLi16ELi16ELi32ELi32ELi8ELi32ELi8ELi8ELi32ELc84ELc84EKPKdS3_KPdEEvlllT_PT11_llS8_llS6_PT12_llPT13_lli, .Lfunc_end226-_ZN12_GLOBAL__N_135rocblas_gemm_batched_general_kernelIdLi16ELi16ELi32ELi32ELi8ELi32ELi8ELi8ELi32ELc84ELc84EKPKdS3_KPdEEvlllT_PT11_llS8_llS6_PT12_llPT13_lli
                                        ; -- End function
	.set _ZN12_GLOBAL__N_135rocblas_gemm_batched_general_kernelIdLi16ELi16ELi32ELi32ELi8ELi32ELi8ELi8ELi32ELc84ELc84EKPKdS3_KPdEEvlllT_PT11_llS8_llS6_PT12_llPT13_lli.num_vgpr, 58
	.set _ZN12_GLOBAL__N_135rocblas_gemm_batched_general_kernelIdLi16ELi16ELi32ELi32ELi8ELi32ELi8ELi8ELi32ELc84ELc84EKPKdS3_KPdEEvlllT_PT11_llS8_llS6_PT12_llPT13_lli.num_agpr, 0
	.set _ZN12_GLOBAL__N_135rocblas_gemm_batched_general_kernelIdLi16ELi16ELi32ELi32ELi8ELi32ELi8ELi8ELi32ELc84ELc84EKPKdS3_KPdEEvlllT_PT11_llS8_llS6_PT12_llPT13_lli.numbered_sgpr, 52
	.set _ZN12_GLOBAL__N_135rocblas_gemm_batched_general_kernelIdLi16ELi16ELi32ELi32ELi8ELi32ELi8ELi8ELi32ELc84ELc84EKPKdS3_KPdEEvlllT_PT11_llS8_llS6_PT12_llPT13_lli.num_named_barrier, 0
	.set _ZN12_GLOBAL__N_135rocblas_gemm_batched_general_kernelIdLi16ELi16ELi32ELi32ELi8ELi32ELi8ELi8ELi32ELc84ELc84EKPKdS3_KPdEEvlllT_PT11_llS8_llS6_PT12_llPT13_lli.private_seg_size, 0
	.set _ZN12_GLOBAL__N_135rocblas_gemm_batched_general_kernelIdLi16ELi16ELi32ELi32ELi8ELi32ELi8ELi8ELi32ELc84ELc84EKPKdS3_KPdEEvlllT_PT11_llS8_llS6_PT12_llPT13_lli.uses_vcc, 1
	.set _ZN12_GLOBAL__N_135rocblas_gemm_batched_general_kernelIdLi16ELi16ELi32ELi32ELi8ELi32ELi8ELi8ELi32ELc84ELc84EKPKdS3_KPdEEvlllT_PT11_llS8_llS6_PT12_llPT13_lli.uses_flat_scratch, 0
	.set _ZN12_GLOBAL__N_135rocblas_gemm_batched_general_kernelIdLi16ELi16ELi32ELi32ELi8ELi32ELi8ELi8ELi32ELc84ELc84EKPKdS3_KPdEEvlllT_PT11_llS8_llS6_PT12_llPT13_lli.has_dyn_sized_stack, 0
	.set _ZN12_GLOBAL__N_135rocblas_gemm_batched_general_kernelIdLi16ELi16ELi32ELi32ELi8ELi32ELi8ELi8ELi32ELc84ELc84EKPKdS3_KPdEEvlllT_PT11_llS8_llS6_PT12_llPT13_lli.has_recursion, 0
	.set _ZN12_GLOBAL__N_135rocblas_gemm_batched_general_kernelIdLi16ELi16ELi32ELi32ELi8ELi32ELi8ELi8ELi32ELc84ELc84EKPKdS3_KPdEEvlllT_PT11_llS8_llS6_PT12_llPT13_lli.has_indirect_call, 0
	.section	.AMDGPU.csdata,"",@progbits
; Kernel info:
; codeLenInByte = 1640
; TotalNumSgprs: 58
; NumVgprs: 58
; NumAgprs: 0
; TotalNumVgprs: 58
; ScratchSize: 0
; MemoryBound: 0
; FloatMode: 240
; IeeeMode: 1
; LDSByteSize: 4096 bytes/workgroup (compile time only)
; SGPRBlocks: 7
; VGPRBlocks: 7
; NumSGPRsForWavesPerEU: 58
; NumVGPRsForWavesPerEU: 58
; AccumOffset: 60
; Occupancy: 8
; WaveLimiterHint : 1
; COMPUTE_PGM_RSRC2:SCRATCH_EN: 0
; COMPUTE_PGM_RSRC2:USER_SGPR: 2
; COMPUTE_PGM_RSRC2:TRAP_HANDLER: 0
; COMPUTE_PGM_RSRC2:TGID_X_EN: 1
; COMPUTE_PGM_RSRC2:TGID_Y_EN: 1
; COMPUTE_PGM_RSRC2:TGID_Z_EN: 1
; COMPUTE_PGM_RSRC2:TIDIG_COMP_CNT: 1
; COMPUTE_PGM_RSRC3_GFX90A:ACCUM_OFFSET: 14
; COMPUTE_PGM_RSRC3_GFX90A:TG_SPLIT: 0
	.section	.text._ZN12_GLOBAL__N_135rocblas_gemm_batched_general_kernelIdLi16ELi16ELi32ELi32ELi8ELi32ELi8ELi8ELi32ELc67ELc67EKPKdS3_KPdEEvlllT_PT11_llS8_llS6_PT12_llPT13_lli,"axG",@progbits,_ZN12_GLOBAL__N_135rocblas_gemm_batched_general_kernelIdLi16ELi16ELi32ELi32ELi8ELi32ELi8ELi8ELi32ELc67ELc67EKPKdS3_KPdEEvlllT_PT11_llS8_llS6_PT12_llPT13_lli,comdat
	.globl	_ZN12_GLOBAL__N_135rocblas_gemm_batched_general_kernelIdLi16ELi16ELi32ELi32ELi8ELi32ELi8ELi8ELi32ELc67ELc67EKPKdS3_KPdEEvlllT_PT11_llS8_llS6_PT12_llPT13_lli ; -- Begin function _ZN12_GLOBAL__N_135rocblas_gemm_batched_general_kernelIdLi16ELi16ELi32ELi32ELi8ELi32ELi8ELi8ELi32ELc67ELc67EKPKdS3_KPdEEvlllT_PT11_llS8_llS6_PT12_llPT13_lli
	.p2align	8
	.type	_ZN12_GLOBAL__N_135rocblas_gemm_batched_general_kernelIdLi16ELi16ELi32ELi32ELi8ELi32ELi8ELi8ELi32ELc67ELc67EKPKdS3_KPdEEvlllT_PT11_llS8_llS6_PT12_llPT13_lli,@function
_ZN12_GLOBAL__N_135rocblas_gemm_batched_general_kernelIdLi16ELi16ELi32ELi32ELi8ELi32ELi8ELi8ELi32ELc67ELc67EKPKdS3_KPdEEvlllT_PT11_llS8_llS6_PT12_llPT13_lli: ; @_ZN12_GLOBAL__N_135rocblas_gemm_batched_general_kernelIdLi16ELi16ELi32ELi32ELi8ELi32ELi8ELi8ELi32ELc67ELc67EKPKdS3_KPdEEvlllT_PT11_llS8_llS6_PT12_llPT13_lli
; %bb.0:
	s_load_dwordx16 s[8:23], s[0:1], 0x0
	s_load_dwordx16 s[36:51], s[0:1], 0x40
	s_mov_b32 s5, 0
	s_lshl_b64 s[4:5], s[4:5], 3
	s_mov_b32 s30, s3
	v_mov_b32_e32 v11, 0
	s_waitcnt lgkmcnt(0)
	s_add_u32 s6, s42, s4
	s_addc_u32 s7, s43, s5
	s_add_u32 s24, s48, s4
	s_addc_u32 s25, s49, s5
	s_load_dwordx2 s[6:7], s[6:7], 0x0
	s_ashr_i32 s3, s2, 31
	s_load_dwordx2 s[26:27], s[24:25], 0x0
	s_lshl_b64 s[24:25], s[2:3], 5
	s_ashr_i32 s31, s30, 31
	v_cmp_lt_i64_e64 s[2:3], s[12:13], 1
	v_and_b32_e32 v2, 0x3ff, v0
	v_bfe_u32 v10, v0, 10, 10
	v_mov_b32_e32 v3, v11
	s_lshl_b64 s[28:29], s[30:31], 5
	s_and_b64 vcc, exec, s[2:3]
	s_cbranch_vccnz .LBB227_7
; %bb.1:
	v_lshl_add_u32 v16, v10, 4, v2
	v_lshrrev_b32_e32 v0, 3, v16
	v_mov_b32_e32 v1, v11
	v_and_b32_e32 v6, 31, v16
	v_lshrrev_b32_e32 v12, 5, v16
	v_and_b32_e32 v14, 7, v2
	v_lshl_add_u64 v[4:5], v[0:1], 0, s[28:29]
	v_lshlrev_b32_e32 v1, 3, v6
	s_add_u32 s2, s22, s4
	v_lshl_or_b32 v22, v12, 8, v1
	v_lshlrev_b32_e32 v1, 3, v14
	s_addc_u32 s3, s23, s5
	v_lshl_or_b32 v0, v0, 6, v1
	s_load_dwordx2 s[22:23], s[2:3], 0x0
	s_add_u32 s2, s16, s4
	v_add_u32_e32 v23, 0x800, v0
	v_mov_b32_e32 v0, 0x800
	s_addc_u32 s3, s17, s5
	v_lshl_add_u32 v25, v10, 6, v0
	v_mad_u64_u32 v[0:1], s[16:17], s36, v14, 0
	v_cmp_gt_i64_e64 s[4:5], s[10:11], v[4:5]
	v_mov_b32_e32 v4, v1
	v_mad_u64_u32 v[4:5], s[16:17], s37, v14, v[4:5]
	s_lshl_b64 s[16:17], s[30:31], 8
	s_lshl_b64 s[30:31], s[38:39], 3
	s_add_u32 s16, s30, s16
	v_mov_b32_e32 v1, v4
	s_addc_u32 s17, s31, s17
	v_lshl_add_u64 v[0:1], v[0:1], 3, s[16:17]
	v_and_b32_e32 v4, 0x7ff8, v16
	v_mov_b32_e32 v5, v11
	v_mov_b32_e32 v7, v11
	v_lshl_add_u64 v[0:1], v[0:1], 0, v[4:5]
	s_load_dwordx2 s[34:35], s[2:3], 0x0
	s_waitcnt lgkmcnt(0)
	v_lshl_add_u64 v[16:17], s[22:23], 0, v[0:1]
	v_lshl_add_u64 v[0:1], s[24:25], 0, v[6:7]
	v_mul_lo_u32 v4, s19, v0
	v_mul_lo_u32 v5, s18, v1
	v_mad_u64_u32 v[0:1], s[18:19], s18, v0, 0
	v_add3_u32 v1, v1, v5, v4
	s_lshl_b64 s[18:19], s[20:21], 3
	v_lshl_add_u64 v[0:1], v[0:1], 3, s[18:19]
	v_lshlrev_b32_e32 v4, 3, v12
	v_mov_b32_e32 v5, v11
	v_or_b32_e32 v8, s24, v6
	v_mov_b32_e32 v9, s25
	v_lshl_add_u64 v[0:1], v[0:1], 0, v[4:5]
	v_mov_b32_e32 v13, v11
	v_mov_b32_e32 v15, v11
	v_cmp_gt_i64_e64 s[2:3], s[8:9], v[8:9]
	v_lshlrev_b32_e32 v24, 3, v2
	s_lshl_b64 s[16:17], s[36:37], 6
	v_lshl_add_u64 v[18:19], s[34:35], 0, v[0:1]
	s_mov_b64 s[18:19], 0
	v_mov_b64_e32 v[0:1], 0
	v_mov_b64_e32 v[20:21], s[12:13]
	;; [unrolled: 1-line block ×5, first 2 shown]
	s_branch .LBB227_3
.LBB227_2:                              ;   in Loop: Header=BB227_3 Depth=1
	s_or_b64 exec, exec, s[20:21]
	s_waitcnt vmcnt(0) lgkmcnt(0)
	ds_write_b64 v23, v[26:27]
	s_waitcnt lgkmcnt(0)
	s_barrier
	ds_read2_b64 v[26:29], v24 offset1:16
	ds_read_b128 v[30:33], v25
	ds_read_b128 v[34:37], v25 offset:16
	ds_read_b128 v[38:41], v25 offset:32
	;; [unrolled: 1-line block ×4, first 2 shown]
	ds_read2_b64 v[50:53], v24 offset0:32 offset1:48
	s_waitcnt lgkmcnt(5)
	v_fmac_f64_e32 v[8:9], v[26:27], v[30:31]
	v_fmac_f64_e32 v[6:7], v[28:29], v[30:31]
	ds_read_b128 v[54:57], v25 offset:1040
	s_waitcnt lgkmcnt(2)
	v_fmac_f64_e32 v[4:5], v[26:27], v[46:47]
	v_fmac_f64_e32 v[0:1], v[28:29], v[46:47]
	ds_read2_b64 v[26:29], v24 offset0:64 offset1:80
	s_waitcnt lgkmcnt(2)
	v_fmac_f64_e32 v[8:9], v[50:51], v[32:33]
	v_fmac_f64_e32 v[6:7], v[52:53], v[32:33]
	ds_read2_b64 v[30:33], v24 offset0:96 offset1:112
	v_fmac_f64_e32 v[4:5], v[50:51], v[48:49]
	v_fmac_f64_e32 v[0:1], v[52:53], v[48:49]
	s_waitcnt lgkmcnt(1)
	v_fmac_f64_e32 v[8:9], v[26:27], v[34:35]
	v_fmac_f64_e32 v[6:7], v[28:29], v[34:35]
	ds_read_b128 v[46:49], v25 offset:1072
	v_fmac_f64_e32 v[4:5], v[26:27], v[54:55]
	v_fmac_f64_e32 v[0:1], v[28:29], v[54:55]
	s_waitcnt lgkmcnt(1)
	v_fmac_f64_e32 v[8:9], v[30:31], v[36:37]
	ds_read2_b64 v[26:29], v24 offset0:128 offset1:144
	v_fmac_f64_e32 v[6:7], v[32:33], v[36:37]
	v_fmac_f64_e32 v[4:5], v[30:31], v[56:57]
	;; [unrolled: 1-line block ×3, first 2 shown]
	ds_read_b128 v[30:33], v25 offset:1056
	ds_read2_b64 v[34:37], v24 offset0:160 offset1:176
	s_waitcnt lgkmcnt(2)
	v_fmac_f64_e32 v[8:9], v[26:27], v[38:39]
	v_fmac_f64_e32 v[6:7], v[28:29], v[38:39]
	s_add_u32 s18, s18, 8
	s_waitcnt lgkmcnt(1)
	v_fmac_f64_e32 v[4:5], v[26:27], v[30:31]
	v_fmac_f64_e32 v[0:1], v[28:29], v[30:31]
	ds_read2_b64 v[26:29], v24 offset0:192 offset1:208
	s_waitcnt lgkmcnt(1)
	v_fmac_f64_e32 v[4:5], v[34:35], v[32:33]
	v_fmac_f64_e32 v[0:1], v[36:37], v[32:33]
	ds_read2_b64 v[30:33], v24 offset0:224 offset1:240
	v_fmac_f64_e32 v[8:9], v[34:35], v[40:41]
	v_fmac_f64_e32 v[6:7], v[36:37], v[40:41]
	s_addc_u32 s19, s19, 0
	s_waitcnt lgkmcnt(1)
	v_fmac_f64_e32 v[8:9], v[26:27], v[42:43]
	v_fmac_f64_e32 v[6:7], v[28:29], v[42:43]
	;; [unrolled: 1-line block ×4, first 2 shown]
	v_cmp_lt_i64_e32 vcc, s[18:19], v[20:21]
	s_waitcnt lgkmcnt(0)
	v_fmac_f64_e32 v[8:9], v[30:31], v[44:45]
	v_fmac_f64_e32 v[6:7], v[32:33], v[44:45]
	;; [unrolled: 1-line block ×4, first 2 shown]
	v_lshl_add_u64 v[16:17], v[16:17], 0, s[16:17]
	v_lshl_add_u64 v[18:19], v[18:19], 0, 64
	s_barrier
	s_cbranch_vccz .LBB227_8
.LBB227_3:                              ; =>This Inner Loop Header: Depth=1
	v_lshl_add_u64 v[26:27], v[12:13], 0, s[18:19]
	v_cmp_gt_i64_e32 vcc, s[12:13], v[26:27]
	s_and_b64 s[22:23], s[2:3], vcc
	v_mov_b64_e32 v[26:27], 0
	s_and_saveexec_b64 s[20:21], s[22:23]
	s_cbranch_execz .LBB227_5
; %bb.4:                                ;   in Loop: Header=BB227_3 Depth=1
	flat_load_dwordx2 v[26:27], v[18:19]
.LBB227_5:                              ;   in Loop: Header=BB227_3 Depth=1
	s_or_b64 exec, exec, s[20:21]
	s_waitcnt vmcnt(0) lgkmcnt(0)
	ds_write_b64 v22, v[26:27]
	v_lshl_add_u64 v[26:27], v[14:15], 0, s[18:19]
	v_cmp_gt_i64_e32 vcc, s[12:13], v[26:27]
	s_and_b64 s[22:23], vcc, s[4:5]
	v_mov_b64_e32 v[26:27], 0
	s_and_saveexec_b64 s[20:21], s[22:23]
	s_cbranch_execz .LBB227_2
; %bb.6:                                ;   in Loop: Header=BB227_3 Depth=1
	flat_load_dwordx2 v[26:27], v[16:17]
	s_branch .LBB227_2
.LBB227_7:
	v_mov_b64_e32 v[8:9], 0
	v_mov_b64_e32 v[6:7], 0
	;; [unrolled: 1-line block ×4, first 2 shown]
.LBB227_8:
	s_load_dwordx2 s[2:3], s[0:1], 0x80
	v_lshl_add_u64 v[10:11], s[28:29], 0, v[10:11]
	v_cmp_neq_f64_e64 s[4:5], s[40:41], 0
	v_cmp_gt_i64_e64 s[0:1], s[10:11], v[10:11]
	s_waitcnt lgkmcnt(0)
	s_lshl_b64 s[2:3], s[2:3], 3
	s_add_u32 s12, s26, s2
	s_addc_u32 s13, s27, s3
	s_and_b64 vcc, exec, s[4:5]
	s_cbranch_vccnz .LBB227_21
; %bb.9:
	s_and_saveexec_b64 s[16:17], s[0:1]
	s_cbranch_execz .LBB227_19
; %bb.10:
	v_mul_lo_u32 v16, v11, s50
	v_mul_lo_u32 v17, v10, s51
	v_mad_u64_u32 v[14:15], s[2:3], v10, s50, 0
	v_add3_u32 v15, v15, v17, v16
	v_lshl_add_u64 v[12:13], s[24:25], 0, v[2:3]
	v_lshl_add_u64 v[14:15], v[14:15], 3, s[12:13]
	v_cmp_gt_i64_e32 vcc, s[8:9], v[12:13]
	v_lshl_add_u64 v[16:17], v[12:13], 3, v[14:15]
	s_and_saveexec_b64 s[2:3], vcc
	s_cbranch_execz .LBB227_12
; %bb.11:
	v_mul_f64 v[18:19], s[14:15], v[8:9]
	flat_store_dwordx2 v[16:17], v[18:19]
.LBB227_12:
	s_or_b64 exec, exec, s[2:3]
	v_lshl_add_u64 v[18:19], v[12:13], 0, 16
	v_cmp_gt_i64_e64 s[2:3], s[8:9], v[18:19]
	s_and_saveexec_b64 s[4:5], s[2:3]
	s_cbranch_execz .LBB227_14
; %bb.13:
	v_mul_f64 v[18:19], s[14:15], v[6:7]
	flat_store_dwordx2 v[16:17], v[18:19] offset:128
.LBB227_14:
	s_or_b64 exec, exec, s[4:5]
	v_lshl_add_u64 v[16:17], v[10:11], 0, 16
	v_cmp_gt_i64_e64 s[4:5], s[10:11], v[16:17]
	s_and_b64 exec, exec, s[4:5]
	s_cbranch_execz .LBB227_19
; %bb.15:
	s_lshl_b64 s[4:5], s[50:51], 7
	v_lshl_add_u64 v[14:15], v[14:15], 0, s[4:5]
	v_lshl_add_u64 v[12:13], v[12:13], 3, v[14:15]
	s_and_saveexec_b64 s[4:5], vcc
	s_cbranch_execz .LBB227_17
; %bb.16:
	v_mul_f64 v[14:15], s[14:15], v[4:5]
	flat_store_dwordx2 v[12:13], v[14:15]
.LBB227_17:
	s_or_b64 exec, exec, s[4:5]
	s_and_b64 exec, exec, s[2:3]
	s_cbranch_execz .LBB227_19
; %bb.18:
	v_mul_f64 v[14:15], s[14:15], v[0:1]
	flat_store_dwordx2 v[12:13], v[14:15] offset:128
.LBB227_19:
	s_or_b64 exec, exec, s[16:17]
	s_cbranch_execz .LBB227_22
.LBB227_20:
	s_endpgm
.LBB227_21:
.LBB227_22:
	s_and_saveexec_b64 s[2:3], s[0:1]
	s_cbranch_execz .LBB227_20
; %bb.23:
	s_lshl_b64 s[0:1], s[46:47], 3
	v_lshl_add_u64 v[16:17], s[24:25], 0, v[2:3]
	v_mul_lo_u32 v12, v11, s44
	v_mul_lo_u32 v13, v10, s45
	v_mad_u64_u32 v[2:3], s[2:3], v10, s44, 0
	s_add_u32 s0, s6, s0
	v_add3_u32 v3, v3, v13, v12
	v_mul_lo_u32 v14, v11, s50
	v_mul_lo_u32 v15, v10, s51
	v_mad_u64_u32 v[12:13], s[2:3], v10, s50, 0
	s_addc_u32 s1, s7, s1
	v_add3_u32 v13, v13, v15, v14
	v_cmp_gt_i64_e32 vcc, s[8:9], v[16:17]
	v_lshl_add_u64 v[14:15], v[2:3], 3, s[0:1]
	v_lshl_add_u64 v[12:13], v[12:13], 3, s[12:13]
	v_lshlrev_b64 v[2:3], 3, v[16:17]
	s_and_saveexec_b64 s[0:1], vcc
	s_cbranch_execz .LBB227_25
; %bb.24:
	v_lshl_add_u64 v[18:19], v[14:15], 0, v[2:3]
	flat_load_dwordx2 v[18:19], v[18:19]
	s_waitcnt vmcnt(0) lgkmcnt(0)
	v_mul_f64 v[18:19], s[40:41], v[18:19]
	v_fmac_f64_e32 v[18:19], s[14:15], v[8:9]
	v_lshl_add_u64 v[8:9], v[12:13], 0, v[2:3]
	flat_store_dwordx2 v[8:9], v[18:19]
.LBB227_25:
	s_or_b64 exec, exec, s[0:1]
	v_lshl_add_u64 v[8:9], v[16:17], 0, 16
	v_cmp_gt_i64_e64 s[0:1], s[8:9], v[8:9]
	s_and_saveexec_b64 s[2:3], s[0:1]
	s_cbranch_execz .LBB227_27
; %bb.26:
	v_lshl_add_u64 v[8:9], v[14:15], 0, v[2:3]
	flat_load_dwordx2 v[8:9], v[8:9] offset:128
	s_waitcnt vmcnt(0) lgkmcnt(0)
	v_mul_f64 v[8:9], s[40:41], v[8:9]
	v_fmac_f64_e32 v[8:9], s[14:15], v[6:7]
	v_lshl_add_u64 v[6:7], v[12:13], 0, v[2:3]
	flat_store_dwordx2 v[6:7], v[8:9] offset:128
.LBB227_27:
	s_or_b64 exec, exec, s[2:3]
	v_lshl_add_u64 v[6:7], v[10:11], 0, 16
	v_cmp_gt_i64_e64 s[2:3], s[10:11], v[6:7]
	s_and_b64 exec, exec, s[2:3]
	s_cbranch_execz .LBB227_20
; %bb.28:
	s_lshl_b64 s[2:3], s[44:45], 7
	v_lshl_add_u64 v[6:7], v[14:15], 0, s[2:3]
	s_lshl_b64 s[2:3], s[50:51], 7
	v_lshl_add_u64 v[8:9], v[12:13], 0, s[2:3]
	v_lshl_add_u64 v[6:7], v[6:7], 0, v[2:3]
	v_lshl_add_u64 v[2:3], v[8:9], 0, v[2:3]
	s_and_saveexec_b64 s[2:3], vcc
	s_cbranch_execz .LBB227_30
; %bb.29:
	flat_load_dwordx2 v[8:9], v[6:7]
	s_waitcnt vmcnt(0) lgkmcnt(0)
	v_mul_f64 v[8:9], s[40:41], v[8:9]
	v_fmac_f64_e32 v[8:9], s[14:15], v[4:5]
	flat_store_dwordx2 v[2:3], v[8:9]
.LBB227_30:
	s_or_b64 exec, exec, s[2:3]
	s_and_b64 exec, exec, s[0:1]
	s_cbranch_execz .LBB227_20
; %bb.31:
	flat_load_dwordx2 v[4:5], v[6:7] offset:128
	s_waitcnt vmcnt(0) lgkmcnt(0)
	v_mul_f64 v[4:5], s[40:41], v[4:5]
	v_fmac_f64_e32 v[4:5], s[14:15], v[0:1]
	flat_store_dwordx2 v[2:3], v[4:5] offset:128
	s_endpgm
	.section	.rodata,"a",@progbits
	.p2align	6, 0x0
	.amdhsa_kernel _ZN12_GLOBAL__N_135rocblas_gemm_batched_general_kernelIdLi16ELi16ELi32ELi32ELi8ELi32ELi8ELi8ELi32ELc67ELc67EKPKdS3_KPdEEvlllT_PT11_llS8_llS6_PT12_llPT13_lli
		.amdhsa_group_segment_fixed_size 4096
		.amdhsa_private_segment_fixed_size 0
		.amdhsa_kernarg_size 140
		.amdhsa_user_sgpr_count 2
		.amdhsa_user_sgpr_dispatch_ptr 0
		.amdhsa_user_sgpr_queue_ptr 0
		.amdhsa_user_sgpr_kernarg_segment_ptr 1
		.amdhsa_user_sgpr_dispatch_id 0
		.amdhsa_user_sgpr_kernarg_preload_length 0
		.amdhsa_user_sgpr_kernarg_preload_offset 0
		.amdhsa_user_sgpr_private_segment_size 0
		.amdhsa_uses_dynamic_stack 0
		.amdhsa_enable_private_segment 0
		.amdhsa_system_sgpr_workgroup_id_x 1
		.amdhsa_system_sgpr_workgroup_id_y 1
		.amdhsa_system_sgpr_workgroup_id_z 1
		.amdhsa_system_sgpr_workgroup_info 0
		.amdhsa_system_vgpr_workitem_id 1
		.amdhsa_next_free_vgpr 58
		.amdhsa_next_free_sgpr 52
		.amdhsa_accum_offset 60
		.amdhsa_reserve_vcc 1
		.amdhsa_float_round_mode_32 0
		.amdhsa_float_round_mode_16_64 0
		.amdhsa_float_denorm_mode_32 3
		.amdhsa_float_denorm_mode_16_64 3
		.amdhsa_dx10_clamp 1
		.amdhsa_ieee_mode 1
		.amdhsa_fp16_overflow 0
		.amdhsa_tg_split 0
		.amdhsa_exception_fp_ieee_invalid_op 0
		.amdhsa_exception_fp_denorm_src 0
		.amdhsa_exception_fp_ieee_div_zero 0
		.amdhsa_exception_fp_ieee_overflow 0
		.amdhsa_exception_fp_ieee_underflow 0
		.amdhsa_exception_fp_ieee_inexact 0
		.amdhsa_exception_int_div_zero 0
	.end_amdhsa_kernel
	.section	.text._ZN12_GLOBAL__N_135rocblas_gemm_batched_general_kernelIdLi16ELi16ELi32ELi32ELi8ELi32ELi8ELi8ELi32ELc67ELc67EKPKdS3_KPdEEvlllT_PT11_llS8_llS6_PT12_llPT13_lli,"axG",@progbits,_ZN12_GLOBAL__N_135rocblas_gemm_batched_general_kernelIdLi16ELi16ELi32ELi32ELi8ELi32ELi8ELi8ELi32ELc67ELc67EKPKdS3_KPdEEvlllT_PT11_llS8_llS6_PT12_llPT13_lli,comdat
.Lfunc_end227:
	.size	_ZN12_GLOBAL__N_135rocblas_gemm_batched_general_kernelIdLi16ELi16ELi32ELi32ELi8ELi32ELi8ELi8ELi32ELc67ELc67EKPKdS3_KPdEEvlllT_PT11_llS8_llS6_PT12_llPT13_lli, .Lfunc_end227-_ZN12_GLOBAL__N_135rocblas_gemm_batched_general_kernelIdLi16ELi16ELi32ELi32ELi8ELi32ELi8ELi8ELi32ELc67ELc67EKPKdS3_KPdEEvlllT_PT11_llS8_llS6_PT12_llPT13_lli
                                        ; -- End function
	.set _ZN12_GLOBAL__N_135rocblas_gemm_batched_general_kernelIdLi16ELi16ELi32ELi32ELi8ELi32ELi8ELi8ELi32ELc67ELc67EKPKdS3_KPdEEvlllT_PT11_llS8_llS6_PT12_llPT13_lli.num_vgpr, 58
	.set _ZN12_GLOBAL__N_135rocblas_gemm_batched_general_kernelIdLi16ELi16ELi32ELi32ELi8ELi32ELi8ELi8ELi32ELc67ELc67EKPKdS3_KPdEEvlllT_PT11_llS8_llS6_PT12_llPT13_lli.num_agpr, 0
	.set _ZN12_GLOBAL__N_135rocblas_gemm_batched_general_kernelIdLi16ELi16ELi32ELi32ELi8ELi32ELi8ELi8ELi32ELc67ELc67EKPKdS3_KPdEEvlllT_PT11_llS8_llS6_PT12_llPT13_lli.numbered_sgpr, 52
	.set _ZN12_GLOBAL__N_135rocblas_gemm_batched_general_kernelIdLi16ELi16ELi32ELi32ELi8ELi32ELi8ELi8ELi32ELc67ELc67EKPKdS3_KPdEEvlllT_PT11_llS8_llS6_PT12_llPT13_lli.num_named_barrier, 0
	.set _ZN12_GLOBAL__N_135rocblas_gemm_batched_general_kernelIdLi16ELi16ELi32ELi32ELi8ELi32ELi8ELi8ELi32ELc67ELc67EKPKdS3_KPdEEvlllT_PT11_llS8_llS6_PT12_llPT13_lli.private_seg_size, 0
	.set _ZN12_GLOBAL__N_135rocblas_gemm_batched_general_kernelIdLi16ELi16ELi32ELi32ELi8ELi32ELi8ELi8ELi32ELc67ELc67EKPKdS3_KPdEEvlllT_PT11_llS8_llS6_PT12_llPT13_lli.uses_vcc, 1
	.set _ZN12_GLOBAL__N_135rocblas_gemm_batched_general_kernelIdLi16ELi16ELi32ELi32ELi8ELi32ELi8ELi8ELi32ELc67ELc67EKPKdS3_KPdEEvlllT_PT11_llS8_llS6_PT12_llPT13_lli.uses_flat_scratch, 0
	.set _ZN12_GLOBAL__N_135rocblas_gemm_batched_general_kernelIdLi16ELi16ELi32ELi32ELi8ELi32ELi8ELi8ELi32ELc67ELc67EKPKdS3_KPdEEvlllT_PT11_llS8_llS6_PT12_llPT13_lli.has_dyn_sized_stack, 0
	.set _ZN12_GLOBAL__N_135rocblas_gemm_batched_general_kernelIdLi16ELi16ELi32ELi32ELi8ELi32ELi8ELi8ELi32ELc67ELc67EKPKdS3_KPdEEvlllT_PT11_llS8_llS6_PT12_llPT13_lli.has_recursion, 0
	.set _ZN12_GLOBAL__N_135rocblas_gemm_batched_general_kernelIdLi16ELi16ELi32ELi32ELi8ELi32ELi8ELi8ELi32ELc67ELc67EKPKdS3_KPdEEvlllT_PT11_llS8_llS6_PT12_llPT13_lli.has_indirect_call, 0
	.section	.AMDGPU.csdata,"",@progbits
; Kernel info:
; codeLenInByte = 1640
; TotalNumSgprs: 58
; NumVgprs: 58
; NumAgprs: 0
; TotalNumVgprs: 58
; ScratchSize: 0
; MemoryBound: 0
; FloatMode: 240
; IeeeMode: 1
; LDSByteSize: 4096 bytes/workgroup (compile time only)
; SGPRBlocks: 7
; VGPRBlocks: 7
; NumSGPRsForWavesPerEU: 58
; NumVGPRsForWavesPerEU: 58
; AccumOffset: 60
; Occupancy: 8
; WaveLimiterHint : 1
; COMPUTE_PGM_RSRC2:SCRATCH_EN: 0
; COMPUTE_PGM_RSRC2:USER_SGPR: 2
; COMPUTE_PGM_RSRC2:TRAP_HANDLER: 0
; COMPUTE_PGM_RSRC2:TGID_X_EN: 1
; COMPUTE_PGM_RSRC2:TGID_Y_EN: 1
; COMPUTE_PGM_RSRC2:TGID_Z_EN: 1
; COMPUTE_PGM_RSRC2:TIDIG_COMP_CNT: 1
; COMPUTE_PGM_RSRC3_GFX90A:ACCUM_OFFSET: 14
; COMPUTE_PGM_RSRC3_GFX90A:TG_SPLIT: 0
	.section	.text._ZN12_GLOBAL__N_135rocblas_gemm_batched_general_kernelIdLi16ELi16ELi32ELi32ELi8ELi32ELi8ELi8ELi32ELc67ELc78EKPKdS3_KPdEEvlllT_PT11_llS8_llS6_PT12_llPT13_lli,"axG",@progbits,_ZN12_GLOBAL__N_135rocblas_gemm_batched_general_kernelIdLi16ELi16ELi32ELi32ELi8ELi32ELi8ELi8ELi32ELc67ELc78EKPKdS3_KPdEEvlllT_PT11_llS8_llS6_PT12_llPT13_lli,comdat
	.globl	_ZN12_GLOBAL__N_135rocblas_gemm_batched_general_kernelIdLi16ELi16ELi32ELi32ELi8ELi32ELi8ELi8ELi32ELc67ELc78EKPKdS3_KPdEEvlllT_PT11_llS8_llS6_PT12_llPT13_lli ; -- Begin function _ZN12_GLOBAL__N_135rocblas_gemm_batched_general_kernelIdLi16ELi16ELi32ELi32ELi8ELi32ELi8ELi8ELi32ELc67ELc78EKPKdS3_KPdEEvlllT_PT11_llS8_llS6_PT12_llPT13_lli
	.p2align	8
	.type	_ZN12_GLOBAL__N_135rocblas_gemm_batched_general_kernelIdLi16ELi16ELi32ELi32ELi8ELi32ELi8ELi8ELi32ELc67ELc78EKPKdS3_KPdEEvlllT_PT11_llS8_llS6_PT12_llPT13_lli,@function
_ZN12_GLOBAL__N_135rocblas_gemm_batched_general_kernelIdLi16ELi16ELi32ELi32ELi8ELi32ELi8ELi8ELi32ELc67ELc78EKPKdS3_KPdEEvlllT_PT11_llS8_llS6_PT12_llPT13_lli: ; @_ZN12_GLOBAL__N_135rocblas_gemm_batched_general_kernelIdLi16ELi16ELi32ELi32ELi8ELi32ELi8ELi8ELi32ELc67ELc78EKPKdS3_KPdEEvlllT_PT11_llS8_llS6_PT12_llPT13_lli
; %bb.0:
	s_load_dwordx16 s[8:23], s[0:1], 0x0
	s_load_dwordx16 s[36:51], s[0:1], 0x40
	s_mov_b32 s5, 0
	s_lshl_b64 s[4:5], s[4:5], 3
	s_mov_b32 s28, s3
	v_mov_b32_e32 v11, 0
	s_waitcnt lgkmcnt(0)
	s_add_u32 s6, s42, s4
	s_addc_u32 s7, s43, s5
	s_add_u32 s24, s48, s4
	s_addc_u32 s25, s49, s5
	s_load_dwordx2 s[6:7], s[6:7], 0x0
	s_ashr_i32 s3, s2, 31
	s_load_dwordx2 s[26:27], s[24:25], 0x0
	s_lshl_b64 s[24:25], s[2:3], 5
	s_ashr_i32 s29, s28, 31
	v_cmp_lt_i64_e64 s[2:3], s[12:13], 1
	v_and_b32_e32 v2, 0x3ff, v0
	v_bfe_u32 v10, v0, 10, 10
	v_mov_b32_e32 v3, v11
	s_lshl_b64 s[28:29], s[28:29], 5
	s_and_b64 vcc, exec, s[2:3]
	s_cbranch_vccnz .LBB228_7
; %bb.1:
	s_add_u32 s2, s22, s4
	v_lshl_add_u32 v6, v10, 4, v2
	s_addc_u32 s3, s23, s5
	v_lshrrev_b32_e32 v12, 5, v6
	s_load_dwordx2 s[22:23], s[2:3], 0x0
	s_add_u32 s2, s16, s4
	v_lshrrev_b32_e32 v0, 3, v6
	v_and_b32_e32 v6, 31, v6
	v_and_b32_e32 v14, 7, v2
	s_addc_u32 s3, s17, s5
	v_or_b32_e32 v8, s24, v6
	v_mov_b32_e32 v9, s25
	s_load_dwordx2 s[16:17], s[2:3], 0x0
	v_mov_b32_e32 v1, v11
	v_cmp_gt_i64_e64 s[2:3], s[8:9], v[8:9]
	v_lshlrev_b32_e32 v8, 3, v14
	v_lshl_add_u64 v[4:5], v[0:1], 0, s[28:29]
	v_lshl_or_b32 v0, v0, 6, v8
	v_lshlrev_b32_e32 v1, 3, v6
	v_add_u32_e32 v23, 0x800, v0
	v_mov_b32_e32 v0, 0x800
	v_lshl_or_b32 v22, v12, 8, v1
	v_cmp_gt_i64_e64 s[4:5], s[10:11], v[4:5]
	v_lshl_add_u32 v25, v10, 6, v0
	v_mul_lo_u32 v9, s37, v4
	v_mul_lo_u32 v5, s36, v5
	v_mad_u64_u32 v[0:1], s[30:31], s36, v4, 0
	v_add3_u32 v1, v1, v5, v9
	s_lshl_b64 s[30:31], s[38:39], 3
	v_lshl_add_u64 v[0:1], v[0:1], 3, s[30:31]
	v_mov_b32_e32 v9, v11
	v_mov_b32_e32 v7, v11
	v_lshl_add_u64 v[0:1], v[0:1], 0, v[8:9]
	s_waitcnt lgkmcnt(0)
	v_lshl_add_u64 v[16:17], s[22:23], 0, v[0:1]
	v_lshl_add_u64 v[0:1], s[24:25], 0, v[6:7]
	v_mul_lo_u32 v4, s19, v0
	v_mul_lo_u32 v5, s18, v1
	v_mad_u64_u32 v[0:1], s[18:19], s18, v0, 0
	v_add3_u32 v1, v1, v5, v4
	s_lshl_b64 s[18:19], s[20:21], 3
	v_lshl_add_u64 v[0:1], v[0:1], 3, s[18:19]
	v_lshlrev_b32_e32 v4, 3, v12
	v_mov_b32_e32 v5, v11
	v_lshl_add_u64 v[0:1], v[0:1], 0, v[4:5]
	v_mov_b32_e32 v13, v11
	v_mov_b32_e32 v15, v11
	v_lshlrev_b32_e32 v24, 3, v2
	v_lshl_add_u64 v[18:19], s[16:17], 0, v[0:1]
	s_mov_b64 s[16:17], 0
	v_mov_b64_e32 v[0:1], 0
	v_mov_b64_e32 v[20:21], s[12:13]
	v_mov_b64_e32 v[4:5], 0
	v_mov_b64_e32 v[6:7], 0
	v_mov_b64_e32 v[8:9], 0
	s_branch .LBB228_3
.LBB228_2:                              ;   in Loop: Header=BB228_3 Depth=1
	s_or_b64 exec, exec, s[18:19]
	s_waitcnt vmcnt(0) lgkmcnt(0)
	ds_write_b64 v23, v[26:27]
	s_waitcnt lgkmcnt(0)
	s_barrier
	ds_read2_b64 v[26:29], v24 offset1:16
	ds_read_b128 v[30:33], v25
	ds_read_b128 v[34:37], v25 offset:16
	ds_read_b128 v[38:41], v25 offset:32
	;; [unrolled: 1-line block ×4, first 2 shown]
	ds_read2_b64 v[50:53], v24 offset0:32 offset1:48
	s_waitcnt lgkmcnt(5)
	v_fmac_f64_e32 v[8:9], v[26:27], v[30:31]
	v_fmac_f64_e32 v[6:7], v[28:29], v[30:31]
	ds_read_b128 v[54:57], v25 offset:1040
	s_waitcnt lgkmcnt(2)
	v_fmac_f64_e32 v[4:5], v[26:27], v[46:47]
	v_fmac_f64_e32 v[0:1], v[28:29], v[46:47]
	ds_read2_b64 v[26:29], v24 offset0:64 offset1:80
	s_waitcnt lgkmcnt(2)
	v_fmac_f64_e32 v[8:9], v[50:51], v[32:33]
	v_fmac_f64_e32 v[6:7], v[52:53], v[32:33]
	ds_read2_b64 v[30:33], v24 offset0:96 offset1:112
	v_fmac_f64_e32 v[4:5], v[50:51], v[48:49]
	v_fmac_f64_e32 v[0:1], v[52:53], v[48:49]
	s_waitcnt lgkmcnt(1)
	v_fmac_f64_e32 v[8:9], v[26:27], v[34:35]
	v_fmac_f64_e32 v[6:7], v[28:29], v[34:35]
	ds_read_b128 v[46:49], v25 offset:1072
	v_fmac_f64_e32 v[4:5], v[26:27], v[54:55]
	v_fmac_f64_e32 v[0:1], v[28:29], v[54:55]
	s_waitcnt lgkmcnt(1)
	v_fmac_f64_e32 v[8:9], v[30:31], v[36:37]
	ds_read2_b64 v[26:29], v24 offset0:128 offset1:144
	v_fmac_f64_e32 v[6:7], v[32:33], v[36:37]
	v_fmac_f64_e32 v[4:5], v[30:31], v[56:57]
	;; [unrolled: 1-line block ×3, first 2 shown]
	ds_read_b128 v[30:33], v25 offset:1056
	ds_read2_b64 v[34:37], v24 offset0:160 offset1:176
	s_waitcnt lgkmcnt(2)
	v_fmac_f64_e32 v[8:9], v[26:27], v[38:39]
	v_fmac_f64_e32 v[6:7], v[28:29], v[38:39]
	s_add_u32 s16, s16, 8
	s_waitcnt lgkmcnt(1)
	v_fmac_f64_e32 v[4:5], v[26:27], v[30:31]
	v_fmac_f64_e32 v[0:1], v[28:29], v[30:31]
	ds_read2_b64 v[26:29], v24 offset0:192 offset1:208
	s_waitcnt lgkmcnt(1)
	v_fmac_f64_e32 v[4:5], v[34:35], v[32:33]
	v_fmac_f64_e32 v[0:1], v[36:37], v[32:33]
	ds_read2_b64 v[30:33], v24 offset0:224 offset1:240
	v_fmac_f64_e32 v[8:9], v[34:35], v[40:41]
	v_fmac_f64_e32 v[6:7], v[36:37], v[40:41]
	s_addc_u32 s17, s17, 0
	s_waitcnt lgkmcnt(1)
	v_fmac_f64_e32 v[8:9], v[26:27], v[42:43]
	v_fmac_f64_e32 v[6:7], v[28:29], v[42:43]
	;; [unrolled: 1-line block ×4, first 2 shown]
	v_cmp_lt_i64_e32 vcc, s[16:17], v[20:21]
	s_waitcnt lgkmcnt(0)
	v_fmac_f64_e32 v[8:9], v[30:31], v[44:45]
	v_fmac_f64_e32 v[6:7], v[32:33], v[44:45]
	;; [unrolled: 1-line block ×4, first 2 shown]
	v_lshl_add_u64 v[16:17], v[16:17], 0, 64
	v_lshl_add_u64 v[18:19], v[18:19], 0, 64
	s_barrier
	s_cbranch_vccz .LBB228_8
.LBB228_3:                              ; =>This Inner Loop Header: Depth=1
	v_lshl_add_u64 v[26:27], v[12:13], 0, s[16:17]
	v_cmp_gt_i64_e32 vcc, s[12:13], v[26:27]
	s_and_b64 s[20:21], s[2:3], vcc
	v_mov_b64_e32 v[26:27], 0
	s_and_saveexec_b64 s[18:19], s[20:21]
	s_cbranch_execz .LBB228_5
; %bb.4:                                ;   in Loop: Header=BB228_3 Depth=1
	flat_load_dwordx2 v[26:27], v[18:19]
.LBB228_5:                              ;   in Loop: Header=BB228_3 Depth=1
	s_or_b64 exec, exec, s[18:19]
	s_waitcnt vmcnt(0) lgkmcnt(0)
	ds_write_b64 v22, v[26:27]
	v_lshl_add_u64 v[26:27], v[14:15], 0, s[16:17]
	v_cmp_gt_i64_e32 vcc, s[12:13], v[26:27]
	s_and_b64 s[20:21], vcc, s[4:5]
	v_mov_b64_e32 v[26:27], 0
	s_and_saveexec_b64 s[18:19], s[20:21]
	s_cbranch_execz .LBB228_2
; %bb.6:                                ;   in Loop: Header=BB228_3 Depth=1
	flat_load_dwordx2 v[26:27], v[16:17]
	s_branch .LBB228_2
.LBB228_7:
	v_mov_b64_e32 v[8:9], 0
	v_mov_b64_e32 v[6:7], 0
	;; [unrolled: 1-line block ×4, first 2 shown]
.LBB228_8:
	s_load_dwordx2 s[2:3], s[0:1], 0x80
	v_lshl_add_u64 v[10:11], s[28:29], 0, v[10:11]
	v_cmp_neq_f64_e64 s[4:5], s[40:41], 0
	v_cmp_gt_i64_e64 s[0:1], s[10:11], v[10:11]
	s_waitcnt lgkmcnt(0)
	s_lshl_b64 s[2:3], s[2:3], 3
	s_add_u32 s12, s26, s2
	s_addc_u32 s13, s27, s3
	s_and_b64 vcc, exec, s[4:5]
	s_cbranch_vccnz .LBB228_21
; %bb.9:
	s_and_saveexec_b64 s[16:17], s[0:1]
	s_cbranch_execz .LBB228_19
; %bb.10:
	v_mul_lo_u32 v16, v11, s50
	v_mul_lo_u32 v17, v10, s51
	v_mad_u64_u32 v[14:15], s[2:3], v10, s50, 0
	v_add3_u32 v15, v15, v17, v16
	v_lshl_add_u64 v[12:13], s[24:25], 0, v[2:3]
	v_lshl_add_u64 v[14:15], v[14:15], 3, s[12:13]
	v_cmp_gt_i64_e32 vcc, s[8:9], v[12:13]
	v_lshl_add_u64 v[16:17], v[12:13], 3, v[14:15]
	s_and_saveexec_b64 s[2:3], vcc
	s_cbranch_execz .LBB228_12
; %bb.11:
	v_mul_f64 v[18:19], s[14:15], v[8:9]
	flat_store_dwordx2 v[16:17], v[18:19]
.LBB228_12:
	s_or_b64 exec, exec, s[2:3]
	v_lshl_add_u64 v[18:19], v[12:13], 0, 16
	v_cmp_gt_i64_e64 s[2:3], s[8:9], v[18:19]
	s_and_saveexec_b64 s[4:5], s[2:3]
	s_cbranch_execz .LBB228_14
; %bb.13:
	v_mul_f64 v[18:19], s[14:15], v[6:7]
	flat_store_dwordx2 v[16:17], v[18:19] offset:128
.LBB228_14:
	s_or_b64 exec, exec, s[4:5]
	v_lshl_add_u64 v[16:17], v[10:11], 0, 16
	v_cmp_gt_i64_e64 s[4:5], s[10:11], v[16:17]
	s_and_b64 exec, exec, s[4:5]
	s_cbranch_execz .LBB228_19
; %bb.15:
	s_lshl_b64 s[4:5], s[50:51], 7
	v_lshl_add_u64 v[14:15], v[14:15], 0, s[4:5]
	v_lshl_add_u64 v[12:13], v[12:13], 3, v[14:15]
	s_and_saveexec_b64 s[4:5], vcc
	s_cbranch_execz .LBB228_17
; %bb.16:
	v_mul_f64 v[14:15], s[14:15], v[4:5]
	flat_store_dwordx2 v[12:13], v[14:15]
.LBB228_17:
	s_or_b64 exec, exec, s[4:5]
	s_and_b64 exec, exec, s[2:3]
	s_cbranch_execz .LBB228_19
; %bb.18:
	v_mul_f64 v[14:15], s[14:15], v[0:1]
	flat_store_dwordx2 v[12:13], v[14:15] offset:128
.LBB228_19:
	s_or_b64 exec, exec, s[16:17]
	s_cbranch_execz .LBB228_22
.LBB228_20:
	s_endpgm
.LBB228_21:
.LBB228_22:
	s_and_saveexec_b64 s[2:3], s[0:1]
	s_cbranch_execz .LBB228_20
; %bb.23:
	s_lshl_b64 s[0:1], s[46:47], 3
	v_lshl_add_u64 v[16:17], s[24:25], 0, v[2:3]
	v_mul_lo_u32 v12, v11, s44
	v_mul_lo_u32 v13, v10, s45
	v_mad_u64_u32 v[2:3], s[2:3], v10, s44, 0
	s_add_u32 s0, s6, s0
	v_add3_u32 v3, v3, v13, v12
	v_mul_lo_u32 v14, v11, s50
	v_mul_lo_u32 v15, v10, s51
	v_mad_u64_u32 v[12:13], s[2:3], v10, s50, 0
	s_addc_u32 s1, s7, s1
	v_add3_u32 v13, v13, v15, v14
	v_cmp_gt_i64_e32 vcc, s[8:9], v[16:17]
	v_lshl_add_u64 v[14:15], v[2:3], 3, s[0:1]
	v_lshl_add_u64 v[12:13], v[12:13], 3, s[12:13]
	v_lshlrev_b64 v[2:3], 3, v[16:17]
	s_and_saveexec_b64 s[0:1], vcc
	s_cbranch_execz .LBB228_25
; %bb.24:
	v_lshl_add_u64 v[18:19], v[14:15], 0, v[2:3]
	flat_load_dwordx2 v[18:19], v[18:19]
	s_waitcnt vmcnt(0) lgkmcnt(0)
	v_mul_f64 v[18:19], s[40:41], v[18:19]
	v_fmac_f64_e32 v[18:19], s[14:15], v[8:9]
	v_lshl_add_u64 v[8:9], v[12:13], 0, v[2:3]
	flat_store_dwordx2 v[8:9], v[18:19]
.LBB228_25:
	s_or_b64 exec, exec, s[0:1]
	v_lshl_add_u64 v[8:9], v[16:17], 0, 16
	v_cmp_gt_i64_e64 s[0:1], s[8:9], v[8:9]
	s_and_saveexec_b64 s[2:3], s[0:1]
	s_cbranch_execz .LBB228_27
; %bb.26:
	v_lshl_add_u64 v[8:9], v[14:15], 0, v[2:3]
	flat_load_dwordx2 v[8:9], v[8:9] offset:128
	s_waitcnt vmcnt(0) lgkmcnt(0)
	v_mul_f64 v[8:9], s[40:41], v[8:9]
	v_fmac_f64_e32 v[8:9], s[14:15], v[6:7]
	v_lshl_add_u64 v[6:7], v[12:13], 0, v[2:3]
	flat_store_dwordx2 v[6:7], v[8:9] offset:128
.LBB228_27:
	s_or_b64 exec, exec, s[2:3]
	v_lshl_add_u64 v[6:7], v[10:11], 0, 16
	v_cmp_gt_i64_e64 s[2:3], s[10:11], v[6:7]
	s_and_b64 exec, exec, s[2:3]
	s_cbranch_execz .LBB228_20
; %bb.28:
	s_lshl_b64 s[2:3], s[44:45], 7
	v_lshl_add_u64 v[6:7], v[14:15], 0, s[2:3]
	s_lshl_b64 s[2:3], s[50:51], 7
	v_lshl_add_u64 v[8:9], v[12:13], 0, s[2:3]
	v_lshl_add_u64 v[6:7], v[6:7], 0, v[2:3]
	;; [unrolled: 1-line block ×3, first 2 shown]
	s_and_saveexec_b64 s[2:3], vcc
	s_cbranch_execz .LBB228_30
; %bb.29:
	flat_load_dwordx2 v[8:9], v[6:7]
	s_waitcnt vmcnt(0) lgkmcnt(0)
	v_mul_f64 v[8:9], s[40:41], v[8:9]
	v_fmac_f64_e32 v[8:9], s[14:15], v[4:5]
	flat_store_dwordx2 v[2:3], v[8:9]
.LBB228_30:
	s_or_b64 exec, exec, s[2:3]
	s_and_b64 exec, exec, s[0:1]
	s_cbranch_execz .LBB228_20
; %bb.31:
	flat_load_dwordx2 v[4:5], v[6:7] offset:128
	s_waitcnt vmcnt(0) lgkmcnt(0)
	v_mul_f64 v[4:5], s[40:41], v[4:5]
	v_fmac_f64_e32 v[4:5], s[14:15], v[0:1]
	flat_store_dwordx2 v[2:3], v[4:5] offset:128
	s_endpgm
	.section	.rodata,"a",@progbits
	.p2align	6, 0x0
	.amdhsa_kernel _ZN12_GLOBAL__N_135rocblas_gemm_batched_general_kernelIdLi16ELi16ELi32ELi32ELi8ELi32ELi8ELi8ELi32ELc67ELc78EKPKdS3_KPdEEvlllT_PT11_llS8_llS6_PT12_llPT13_lli
		.amdhsa_group_segment_fixed_size 4096
		.amdhsa_private_segment_fixed_size 0
		.amdhsa_kernarg_size 140
		.amdhsa_user_sgpr_count 2
		.amdhsa_user_sgpr_dispatch_ptr 0
		.amdhsa_user_sgpr_queue_ptr 0
		.amdhsa_user_sgpr_kernarg_segment_ptr 1
		.amdhsa_user_sgpr_dispatch_id 0
		.amdhsa_user_sgpr_kernarg_preload_length 0
		.amdhsa_user_sgpr_kernarg_preload_offset 0
		.amdhsa_user_sgpr_private_segment_size 0
		.amdhsa_uses_dynamic_stack 0
		.amdhsa_enable_private_segment 0
		.amdhsa_system_sgpr_workgroup_id_x 1
		.amdhsa_system_sgpr_workgroup_id_y 1
		.amdhsa_system_sgpr_workgroup_id_z 1
		.amdhsa_system_sgpr_workgroup_info 0
		.amdhsa_system_vgpr_workitem_id 1
		.amdhsa_next_free_vgpr 58
		.amdhsa_next_free_sgpr 52
		.amdhsa_accum_offset 60
		.amdhsa_reserve_vcc 1
		.amdhsa_float_round_mode_32 0
		.amdhsa_float_round_mode_16_64 0
		.amdhsa_float_denorm_mode_32 3
		.amdhsa_float_denorm_mode_16_64 3
		.amdhsa_dx10_clamp 1
		.amdhsa_ieee_mode 1
		.amdhsa_fp16_overflow 0
		.amdhsa_tg_split 0
		.amdhsa_exception_fp_ieee_invalid_op 0
		.amdhsa_exception_fp_denorm_src 0
		.amdhsa_exception_fp_ieee_div_zero 0
		.amdhsa_exception_fp_ieee_overflow 0
		.amdhsa_exception_fp_ieee_underflow 0
		.amdhsa_exception_fp_ieee_inexact 0
		.amdhsa_exception_int_div_zero 0
	.end_amdhsa_kernel
	.section	.text._ZN12_GLOBAL__N_135rocblas_gemm_batched_general_kernelIdLi16ELi16ELi32ELi32ELi8ELi32ELi8ELi8ELi32ELc67ELc78EKPKdS3_KPdEEvlllT_PT11_llS8_llS6_PT12_llPT13_lli,"axG",@progbits,_ZN12_GLOBAL__N_135rocblas_gemm_batched_general_kernelIdLi16ELi16ELi32ELi32ELi8ELi32ELi8ELi8ELi32ELc67ELc78EKPKdS3_KPdEEvlllT_PT11_llS8_llS6_PT12_llPT13_lli,comdat
.Lfunc_end228:
	.size	_ZN12_GLOBAL__N_135rocblas_gemm_batched_general_kernelIdLi16ELi16ELi32ELi32ELi8ELi32ELi8ELi8ELi32ELc67ELc78EKPKdS3_KPdEEvlllT_PT11_llS8_llS6_PT12_llPT13_lli, .Lfunc_end228-_ZN12_GLOBAL__N_135rocblas_gemm_batched_general_kernelIdLi16ELi16ELi32ELi32ELi8ELi32ELi8ELi8ELi32ELc67ELc78EKPKdS3_KPdEEvlllT_PT11_llS8_llS6_PT12_llPT13_lli
                                        ; -- End function
	.set _ZN12_GLOBAL__N_135rocblas_gemm_batched_general_kernelIdLi16ELi16ELi32ELi32ELi8ELi32ELi8ELi8ELi32ELc67ELc78EKPKdS3_KPdEEvlllT_PT11_llS8_llS6_PT12_llPT13_lli.num_vgpr, 58
	.set _ZN12_GLOBAL__N_135rocblas_gemm_batched_general_kernelIdLi16ELi16ELi32ELi32ELi8ELi32ELi8ELi8ELi32ELc67ELc78EKPKdS3_KPdEEvlllT_PT11_llS8_llS6_PT12_llPT13_lli.num_agpr, 0
	.set _ZN12_GLOBAL__N_135rocblas_gemm_batched_general_kernelIdLi16ELi16ELi32ELi32ELi8ELi32ELi8ELi8ELi32ELc67ELc78EKPKdS3_KPdEEvlllT_PT11_llS8_llS6_PT12_llPT13_lli.numbered_sgpr, 52
	.set _ZN12_GLOBAL__N_135rocblas_gemm_batched_general_kernelIdLi16ELi16ELi32ELi32ELi8ELi32ELi8ELi8ELi32ELc67ELc78EKPKdS3_KPdEEvlllT_PT11_llS8_llS6_PT12_llPT13_lli.num_named_barrier, 0
	.set _ZN12_GLOBAL__N_135rocblas_gemm_batched_general_kernelIdLi16ELi16ELi32ELi32ELi8ELi32ELi8ELi8ELi32ELc67ELc78EKPKdS3_KPdEEvlllT_PT11_llS8_llS6_PT12_llPT13_lli.private_seg_size, 0
	.set _ZN12_GLOBAL__N_135rocblas_gemm_batched_general_kernelIdLi16ELi16ELi32ELi32ELi8ELi32ELi8ELi8ELi32ELc67ELc78EKPKdS3_KPdEEvlllT_PT11_llS8_llS6_PT12_llPT13_lli.uses_vcc, 1
	.set _ZN12_GLOBAL__N_135rocblas_gemm_batched_general_kernelIdLi16ELi16ELi32ELi32ELi8ELi32ELi8ELi8ELi32ELc67ELc78EKPKdS3_KPdEEvlllT_PT11_llS8_llS6_PT12_llPT13_lli.uses_flat_scratch, 0
	.set _ZN12_GLOBAL__N_135rocblas_gemm_batched_general_kernelIdLi16ELi16ELi32ELi32ELi8ELi32ELi8ELi8ELi32ELc67ELc78EKPKdS3_KPdEEvlllT_PT11_llS8_llS6_PT12_llPT13_lli.has_dyn_sized_stack, 0
	.set _ZN12_GLOBAL__N_135rocblas_gemm_batched_general_kernelIdLi16ELi16ELi32ELi32ELi8ELi32ELi8ELi8ELi32ELc67ELc78EKPKdS3_KPdEEvlllT_PT11_llS8_llS6_PT12_llPT13_lli.has_recursion, 0
	.set _ZN12_GLOBAL__N_135rocblas_gemm_batched_general_kernelIdLi16ELi16ELi32ELi32ELi8ELi32ELi8ELi8ELi32ELc67ELc78EKPKdS3_KPdEEvlllT_PT11_llS8_llS6_PT12_llPT13_lli.has_indirect_call, 0
	.section	.AMDGPU.csdata,"",@progbits
; Kernel info:
; codeLenInByte = 1624
; TotalNumSgprs: 58
; NumVgprs: 58
; NumAgprs: 0
; TotalNumVgprs: 58
; ScratchSize: 0
; MemoryBound: 0
; FloatMode: 240
; IeeeMode: 1
; LDSByteSize: 4096 bytes/workgroup (compile time only)
; SGPRBlocks: 7
; VGPRBlocks: 7
; NumSGPRsForWavesPerEU: 58
; NumVGPRsForWavesPerEU: 58
; AccumOffset: 60
; Occupancy: 8
; WaveLimiterHint : 1
; COMPUTE_PGM_RSRC2:SCRATCH_EN: 0
; COMPUTE_PGM_RSRC2:USER_SGPR: 2
; COMPUTE_PGM_RSRC2:TRAP_HANDLER: 0
; COMPUTE_PGM_RSRC2:TGID_X_EN: 1
; COMPUTE_PGM_RSRC2:TGID_Y_EN: 1
; COMPUTE_PGM_RSRC2:TGID_Z_EN: 1
; COMPUTE_PGM_RSRC2:TIDIG_COMP_CNT: 1
; COMPUTE_PGM_RSRC3_GFX90A:ACCUM_OFFSET: 14
; COMPUTE_PGM_RSRC3_GFX90A:TG_SPLIT: 0
	.section	.text._ZN12_GLOBAL__N_135rocblas_gemm_batched_general_kernelIdLi16ELi16ELi32ELi32ELi8ELi32ELi8ELi8ELi32ELc67ELc84EKPKdS3_KPdEEvlllT_PT11_llS8_llS6_PT12_llPT13_lli,"axG",@progbits,_ZN12_GLOBAL__N_135rocblas_gemm_batched_general_kernelIdLi16ELi16ELi32ELi32ELi8ELi32ELi8ELi8ELi32ELc67ELc84EKPKdS3_KPdEEvlllT_PT11_llS8_llS6_PT12_llPT13_lli,comdat
	.globl	_ZN12_GLOBAL__N_135rocblas_gemm_batched_general_kernelIdLi16ELi16ELi32ELi32ELi8ELi32ELi8ELi8ELi32ELc67ELc84EKPKdS3_KPdEEvlllT_PT11_llS8_llS6_PT12_llPT13_lli ; -- Begin function _ZN12_GLOBAL__N_135rocblas_gemm_batched_general_kernelIdLi16ELi16ELi32ELi32ELi8ELi32ELi8ELi8ELi32ELc67ELc84EKPKdS3_KPdEEvlllT_PT11_llS8_llS6_PT12_llPT13_lli
	.p2align	8
	.type	_ZN12_GLOBAL__N_135rocblas_gemm_batched_general_kernelIdLi16ELi16ELi32ELi32ELi8ELi32ELi8ELi8ELi32ELc67ELc84EKPKdS3_KPdEEvlllT_PT11_llS8_llS6_PT12_llPT13_lli,@function
_ZN12_GLOBAL__N_135rocblas_gemm_batched_general_kernelIdLi16ELi16ELi32ELi32ELi8ELi32ELi8ELi8ELi32ELc67ELc84EKPKdS3_KPdEEvlllT_PT11_llS8_llS6_PT12_llPT13_lli: ; @_ZN12_GLOBAL__N_135rocblas_gemm_batched_general_kernelIdLi16ELi16ELi32ELi32ELi8ELi32ELi8ELi8ELi32ELc67ELc84EKPKdS3_KPdEEvlllT_PT11_llS8_llS6_PT12_llPT13_lli
; %bb.0:
	s_load_dwordx16 s[8:23], s[0:1], 0x0
	s_load_dwordx16 s[36:51], s[0:1], 0x40
	s_mov_b32 s5, 0
	s_lshl_b64 s[4:5], s[4:5], 3
	s_mov_b32 s30, s3
	v_mov_b32_e32 v11, 0
	s_waitcnt lgkmcnt(0)
	s_add_u32 s6, s42, s4
	s_addc_u32 s7, s43, s5
	s_add_u32 s24, s48, s4
	s_addc_u32 s25, s49, s5
	s_load_dwordx2 s[6:7], s[6:7], 0x0
	s_ashr_i32 s3, s2, 31
	s_load_dwordx2 s[26:27], s[24:25], 0x0
	s_lshl_b64 s[24:25], s[2:3], 5
	s_ashr_i32 s31, s30, 31
	v_cmp_lt_i64_e64 s[2:3], s[12:13], 1
	v_and_b32_e32 v2, 0x3ff, v0
	v_bfe_u32 v10, v0, 10, 10
	v_mov_b32_e32 v3, v11
	s_lshl_b64 s[28:29], s[30:31], 5
	s_and_b64 vcc, exec, s[2:3]
	s_cbranch_vccnz .LBB229_7
; %bb.1:
	v_lshl_add_u32 v16, v10, 4, v2
	v_lshrrev_b32_e32 v0, 3, v16
	v_mov_b32_e32 v1, v11
	v_and_b32_e32 v6, 31, v16
	v_lshrrev_b32_e32 v12, 5, v16
	v_and_b32_e32 v14, 7, v2
	v_lshl_add_u64 v[4:5], v[0:1], 0, s[28:29]
	v_lshlrev_b32_e32 v1, 3, v6
	s_add_u32 s2, s22, s4
	v_lshl_or_b32 v22, v12, 8, v1
	v_lshlrev_b32_e32 v1, 3, v14
	s_addc_u32 s3, s23, s5
	v_lshl_or_b32 v0, v0, 6, v1
	s_load_dwordx2 s[22:23], s[2:3], 0x0
	s_add_u32 s2, s16, s4
	v_add_u32_e32 v23, 0x800, v0
	v_mov_b32_e32 v0, 0x800
	s_addc_u32 s3, s17, s5
	v_lshl_add_u32 v25, v10, 6, v0
	v_mad_u64_u32 v[0:1], s[16:17], s36, v14, 0
	v_cmp_gt_i64_e64 s[4:5], s[10:11], v[4:5]
	v_mov_b32_e32 v4, v1
	v_mad_u64_u32 v[4:5], s[16:17], s37, v14, v[4:5]
	s_lshl_b64 s[16:17], s[30:31], 8
	s_lshl_b64 s[30:31], s[38:39], 3
	s_add_u32 s16, s30, s16
	v_mov_b32_e32 v1, v4
	s_addc_u32 s17, s31, s17
	v_lshl_add_u64 v[0:1], v[0:1], 3, s[16:17]
	v_and_b32_e32 v4, 0x7ff8, v16
	v_mov_b32_e32 v5, v11
	v_mov_b32_e32 v7, v11
	v_lshl_add_u64 v[0:1], v[0:1], 0, v[4:5]
	s_load_dwordx2 s[34:35], s[2:3], 0x0
	s_waitcnt lgkmcnt(0)
	v_lshl_add_u64 v[16:17], s[22:23], 0, v[0:1]
	v_lshl_add_u64 v[0:1], s[24:25], 0, v[6:7]
	v_mul_lo_u32 v4, s19, v0
	v_mul_lo_u32 v5, s18, v1
	v_mad_u64_u32 v[0:1], s[18:19], s18, v0, 0
	v_add3_u32 v1, v1, v5, v4
	s_lshl_b64 s[18:19], s[20:21], 3
	v_lshl_add_u64 v[0:1], v[0:1], 3, s[18:19]
	v_lshlrev_b32_e32 v4, 3, v12
	v_mov_b32_e32 v5, v11
	v_or_b32_e32 v8, s24, v6
	v_mov_b32_e32 v9, s25
	v_lshl_add_u64 v[0:1], v[0:1], 0, v[4:5]
	v_mov_b32_e32 v13, v11
	v_mov_b32_e32 v15, v11
	v_cmp_gt_i64_e64 s[2:3], s[8:9], v[8:9]
	v_lshlrev_b32_e32 v24, 3, v2
	s_lshl_b64 s[16:17], s[36:37], 6
	v_lshl_add_u64 v[18:19], s[34:35], 0, v[0:1]
	s_mov_b64 s[18:19], 0
	v_mov_b64_e32 v[0:1], 0
	v_mov_b64_e32 v[20:21], s[12:13]
	;; [unrolled: 1-line block ×5, first 2 shown]
	s_branch .LBB229_3
.LBB229_2:                              ;   in Loop: Header=BB229_3 Depth=1
	s_or_b64 exec, exec, s[20:21]
	s_waitcnt vmcnt(0) lgkmcnt(0)
	ds_write_b64 v23, v[26:27]
	s_waitcnt lgkmcnt(0)
	s_barrier
	ds_read2_b64 v[26:29], v24 offset1:16
	ds_read_b128 v[30:33], v25
	ds_read_b128 v[34:37], v25 offset:16
	ds_read_b128 v[38:41], v25 offset:32
	;; [unrolled: 1-line block ×4, first 2 shown]
	ds_read2_b64 v[50:53], v24 offset0:32 offset1:48
	s_waitcnt lgkmcnt(5)
	v_fmac_f64_e32 v[8:9], v[26:27], v[30:31]
	v_fmac_f64_e32 v[6:7], v[28:29], v[30:31]
	ds_read_b128 v[54:57], v25 offset:1040
	s_waitcnt lgkmcnt(2)
	v_fmac_f64_e32 v[4:5], v[26:27], v[46:47]
	v_fmac_f64_e32 v[0:1], v[28:29], v[46:47]
	ds_read2_b64 v[26:29], v24 offset0:64 offset1:80
	s_waitcnt lgkmcnt(2)
	v_fmac_f64_e32 v[8:9], v[50:51], v[32:33]
	v_fmac_f64_e32 v[6:7], v[52:53], v[32:33]
	ds_read2_b64 v[30:33], v24 offset0:96 offset1:112
	v_fmac_f64_e32 v[4:5], v[50:51], v[48:49]
	v_fmac_f64_e32 v[0:1], v[52:53], v[48:49]
	s_waitcnt lgkmcnt(1)
	v_fmac_f64_e32 v[8:9], v[26:27], v[34:35]
	v_fmac_f64_e32 v[6:7], v[28:29], v[34:35]
	ds_read_b128 v[46:49], v25 offset:1072
	v_fmac_f64_e32 v[4:5], v[26:27], v[54:55]
	v_fmac_f64_e32 v[0:1], v[28:29], v[54:55]
	s_waitcnt lgkmcnt(1)
	v_fmac_f64_e32 v[8:9], v[30:31], v[36:37]
	ds_read2_b64 v[26:29], v24 offset0:128 offset1:144
	v_fmac_f64_e32 v[6:7], v[32:33], v[36:37]
	v_fmac_f64_e32 v[4:5], v[30:31], v[56:57]
	;; [unrolled: 1-line block ×3, first 2 shown]
	ds_read_b128 v[30:33], v25 offset:1056
	ds_read2_b64 v[34:37], v24 offset0:160 offset1:176
	s_waitcnt lgkmcnt(2)
	v_fmac_f64_e32 v[8:9], v[26:27], v[38:39]
	v_fmac_f64_e32 v[6:7], v[28:29], v[38:39]
	s_add_u32 s18, s18, 8
	s_waitcnt lgkmcnt(1)
	v_fmac_f64_e32 v[4:5], v[26:27], v[30:31]
	v_fmac_f64_e32 v[0:1], v[28:29], v[30:31]
	ds_read2_b64 v[26:29], v24 offset0:192 offset1:208
	s_waitcnt lgkmcnt(1)
	v_fmac_f64_e32 v[4:5], v[34:35], v[32:33]
	v_fmac_f64_e32 v[0:1], v[36:37], v[32:33]
	ds_read2_b64 v[30:33], v24 offset0:224 offset1:240
	v_fmac_f64_e32 v[8:9], v[34:35], v[40:41]
	v_fmac_f64_e32 v[6:7], v[36:37], v[40:41]
	s_addc_u32 s19, s19, 0
	s_waitcnt lgkmcnt(1)
	v_fmac_f64_e32 v[8:9], v[26:27], v[42:43]
	v_fmac_f64_e32 v[6:7], v[28:29], v[42:43]
	;; [unrolled: 1-line block ×4, first 2 shown]
	v_cmp_lt_i64_e32 vcc, s[18:19], v[20:21]
	s_waitcnt lgkmcnt(0)
	v_fmac_f64_e32 v[8:9], v[30:31], v[44:45]
	v_fmac_f64_e32 v[6:7], v[32:33], v[44:45]
	;; [unrolled: 1-line block ×4, first 2 shown]
	v_lshl_add_u64 v[16:17], v[16:17], 0, s[16:17]
	v_lshl_add_u64 v[18:19], v[18:19], 0, 64
	s_barrier
	s_cbranch_vccz .LBB229_8
.LBB229_3:                              ; =>This Inner Loop Header: Depth=1
	v_lshl_add_u64 v[26:27], v[12:13], 0, s[18:19]
	v_cmp_gt_i64_e32 vcc, s[12:13], v[26:27]
	s_and_b64 s[22:23], s[2:3], vcc
	v_mov_b64_e32 v[26:27], 0
	s_and_saveexec_b64 s[20:21], s[22:23]
	s_cbranch_execz .LBB229_5
; %bb.4:                                ;   in Loop: Header=BB229_3 Depth=1
	flat_load_dwordx2 v[26:27], v[18:19]
.LBB229_5:                              ;   in Loop: Header=BB229_3 Depth=1
	s_or_b64 exec, exec, s[20:21]
	s_waitcnt vmcnt(0) lgkmcnt(0)
	ds_write_b64 v22, v[26:27]
	v_lshl_add_u64 v[26:27], v[14:15], 0, s[18:19]
	v_cmp_gt_i64_e32 vcc, s[12:13], v[26:27]
	s_and_b64 s[22:23], vcc, s[4:5]
	v_mov_b64_e32 v[26:27], 0
	s_and_saveexec_b64 s[20:21], s[22:23]
	s_cbranch_execz .LBB229_2
; %bb.6:                                ;   in Loop: Header=BB229_3 Depth=1
	flat_load_dwordx2 v[26:27], v[16:17]
	s_branch .LBB229_2
.LBB229_7:
	v_mov_b64_e32 v[8:9], 0
	v_mov_b64_e32 v[6:7], 0
	;; [unrolled: 1-line block ×4, first 2 shown]
.LBB229_8:
	s_load_dwordx2 s[2:3], s[0:1], 0x80
	v_lshl_add_u64 v[10:11], s[28:29], 0, v[10:11]
	v_cmp_neq_f64_e64 s[4:5], s[40:41], 0
	v_cmp_gt_i64_e64 s[0:1], s[10:11], v[10:11]
	s_waitcnt lgkmcnt(0)
	s_lshl_b64 s[2:3], s[2:3], 3
	s_add_u32 s12, s26, s2
	s_addc_u32 s13, s27, s3
	s_and_b64 vcc, exec, s[4:5]
	s_cbranch_vccnz .LBB229_21
; %bb.9:
	s_and_saveexec_b64 s[16:17], s[0:1]
	s_cbranch_execz .LBB229_19
; %bb.10:
	v_mul_lo_u32 v16, v11, s50
	v_mul_lo_u32 v17, v10, s51
	v_mad_u64_u32 v[14:15], s[2:3], v10, s50, 0
	v_add3_u32 v15, v15, v17, v16
	v_lshl_add_u64 v[12:13], s[24:25], 0, v[2:3]
	v_lshl_add_u64 v[14:15], v[14:15], 3, s[12:13]
	v_cmp_gt_i64_e32 vcc, s[8:9], v[12:13]
	v_lshl_add_u64 v[16:17], v[12:13], 3, v[14:15]
	s_and_saveexec_b64 s[2:3], vcc
	s_cbranch_execz .LBB229_12
; %bb.11:
	v_mul_f64 v[18:19], s[14:15], v[8:9]
	flat_store_dwordx2 v[16:17], v[18:19]
.LBB229_12:
	s_or_b64 exec, exec, s[2:3]
	v_lshl_add_u64 v[18:19], v[12:13], 0, 16
	v_cmp_gt_i64_e64 s[2:3], s[8:9], v[18:19]
	s_and_saveexec_b64 s[4:5], s[2:3]
	s_cbranch_execz .LBB229_14
; %bb.13:
	v_mul_f64 v[18:19], s[14:15], v[6:7]
	flat_store_dwordx2 v[16:17], v[18:19] offset:128
.LBB229_14:
	s_or_b64 exec, exec, s[4:5]
	v_lshl_add_u64 v[16:17], v[10:11], 0, 16
	v_cmp_gt_i64_e64 s[4:5], s[10:11], v[16:17]
	s_and_b64 exec, exec, s[4:5]
	s_cbranch_execz .LBB229_19
; %bb.15:
	s_lshl_b64 s[4:5], s[50:51], 7
	v_lshl_add_u64 v[14:15], v[14:15], 0, s[4:5]
	v_lshl_add_u64 v[12:13], v[12:13], 3, v[14:15]
	s_and_saveexec_b64 s[4:5], vcc
	s_cbranch_execz .LBB229_17
; %bb.16:
	v_mul_f64 v[14:15], s[14:15], v[4:5]
	flat_store_dwordx2 v[12:13], v[14:15]
.LBB229_17:
	s_or_b64 exec, exec, s[4:5]
	s_and_b64 exec, exec, s[2:3]
	s_cbranch_execz .LBB229_19
; %bb.18:
	v_mul_f64 v[14:15], s[14:15], v[0:1]
	flat_store_dwordx2 v[12:13], v[14:15] offset:128
.LBB229_19:
	s_or_b64 exec, exec, s[16:17]
	s_cbranch_execz .LBB229_22
.LBB229_20:
	s_endpgm
.LBB229_21:
.LBB229_22:
	s_and_saveexec_b64 s[2:3], s[0:1]
	s_cbranch_execz .LBB229_20
; %bb.23:
	s_lshl_b64 s[0:1], s[46:47], 3
	v_lshl_add_u64 v[16:17], s[24:25], 0, v[2:3]
	v_mul_lo_u32 v12, v11, s44
	v_mul_lo_u32 v13, v10, s45
	v_mad_u64_u32 v[2:3], s[2:3], v10, s44, 0
	s_add_u32 s0, s6, s0
	v_add3_u32 v3, v3, v13, v12
	v_mul_lo_u32 v14, v11, s50
	v_mul_lo_u32 v15, v10, s51
	v_mad_u64_u32 v[12:13], s[2:3], v10, s50, 0
	s_addc_u32 s1, s7, s1
	v_add3_u32 v13, v13, v15, v14
	v_cmp_gt_i64_e32 vcc, s[8:9], v[16:17]
	v_lshl_add_u64 v[14:15], v[2:3], 3, s[0:1]
	v_lshl_add_u64 v[12:13], v[12:13], 3, s[12:13]
	v_lshlrev_b64 v[2:3], 3, v[16:17]
	s_and_saveexec_b64 s[0:1], vcc
	s_cbranch_execz .LBB229_25
; %bb.24:
	v_lshl_add_u64 v[18:19], v[14:15], 0, v[2:3]
	flat_load_dwordx2 v[18:19], v[18:19]
	s_waitcnt vmcnt(0) lgkmcnt(0)
	v_mul_f64 v[18:19], s[40:41], v[18:19]
	v_fmac_f64_e32 v[18:19], s[14:15], v[8:9]
	v_lshl_add_u64 v[8:9], v[12:13], 0, v[2:3]
	flat_store_dwordx2 v[8:9], v[18:19]
.LBB229_25:
	s_or_b64 exec, exec, s[0:1]
	v_lshl_add_u64 v[8:9], v[16:17], 0, 16
	v_cmp_gt_i64_e64 s[0:1], s[8:9], v[8:9]
	s_and_saveexec_b64 s[2:3], s[0:1]
	s_cbranch_execz .LBB229_27
; %bb.26:
	v_lshl_add_u64 v[8:9], v[14:15], 0, v[2:3]
	flat_load_dwordx2 v[8:9], v[8:9] offset:128
	s_waitcnt vmcnt(0) lgkmcnt(0)
	v_mul_f64 v[8:9], s[40:41], v[8:9]
	v_fmac_f64_e32 v[8:9], s[14:15], v[6:7]
	v_lshl_add_u64 v[6:7], v[12:13], 0, v[2:3]
	flat_store_dwordx2 v[6:7], v[8:9] offset:128
.LBB229_27:
	s_or_b64 exec, exec, s[2:3]
	v_lshl_add_u64 v[6:7], v[10:11], 0, 16
	v_cmp_gt_i64_e64 s[2:3], s[10:11], v[6:7]
	s_and_b64 exec, exec, s[2:3]
	s_cbranch_execz .LBB229_20
; %bb.28:
	s_lshl_b64 s[2:3], s[44:45], 7
	v_lshl_add_u64 v[6:7], v[14:15], 0, s[2:3]
	s_lshl_b64 s[2:3], s[50:51], 7
	v_lshl_add_u64 v[8:9], v[12:13], 0, s[2:3]
	v_lshl_add_u64 v[6:7], v[6:7], 0, v[2:3]
	;; [unrolled: 1-line block ×3, first 2 shown]
	s_and_saveexec_b64 s[2:3], vcc
	s_cbranch_execz .LBB229_30
; %bb.29:
	flat_load_dwordx2 v[8:9], v[6:7]
	s_waitcnt vmcnt(0) lgkmcnt(0)
	v_mul_f64 v[8:9], s[40:41], v[8:9]
	v_fmac_f64_e32 v[8:9], s[14:15], v[4:5]
	flat_store_dwordx2 v[2:3], v[8:9]
.LBB229_30:
	s_or_b64 exec, exec, s[2:3]
	s_and_b64 exec, exec, s[0:1]
	s_cbranch_execz .LBB229_20
; %bb.31:
	flat_load_dwordx2 v[4:5], v[6:7] offset:128
	s_waitcnt vmcnt(0) lgkmcnt(0)
	v_mul_f64 v[4:5], s[40:41], v[4:5]
	v_fmac_f64_e32 v[4:5], s[14:15], v[0:1]
	flat_store_dwordx2 v[2:3], v[4:5] offset:128
	s_endpgm
	.section	.rodata,"a",@progbits
	.p2align	6, 0x0
	.amdhsa_kernel _ZN12_GLOBAL__N_135rocblas_gemm_batched_general_kernelIdLi16ELi16ELi32ELi32ELi8ELi32ELi8ELi8ELi32ELc67ELc84EKPKdS3_KPdEEvlllT_PT11_llS8_llS6_PT12_llPT13_lli
		.amdhsa_group_segment_fixed_size 4096
		.amdhsa_private_segment_fixed_size 0
		.amdhsa_kernarg_size 140
		.amdhsa_user_sgpr_count 2
		.amdhsa_user_sgpr_dispatch_ptr 0
		.amdhsa_user_sgpr_queue_ptr 0
		.amdhsa_user_sgpr_kernarg_segment_ptr 1
		.amdhsa_user_sgpr_dispatch_id 0
		.amdhsa_user_sgpr_kernarg_preload_length 0
		.amdhsa_user_sgpr_kernarg_preload_offset 0
		.amdhsa_user_sgpr_private_segment_size 0
		.amdhsa_uses_dynamic_stack 0
		.amdhsa_enable_private_segment 0
		.amdhsa_system_sgpr_workgroup_id_x 1
		.amdhsa_system_sgpr_workgroup_id_y 1
		.amdhsa_system_sgpr_workgroup_id_z 1
		.amdhsa_system_sgpr_workgroup_info 0
		.amdhsa_system_vgpr_workitem_id 1
		.amdhsa_next_free_vgpr 58
		.amdhsa_next_free_sgpr 52
		.amdhsa_accum_offset 60
		.amdhsa_reserve_vcc 1
		.amdhsa_float_round_mode_32 0
		.amdhsa_float_round_mode_16_64 0
		.amdhsa_float_denorm_mode_32 3
		.amdhsa_float_denorm_mode_16_64 3
		.amdhsa_dx10_clamp 1
		.amdhsa_ieee_mode 1
		.amdhsa_fp16_overflow 0
		.amdhsa_tg_split 0
		.amdhsa_exception_fp_ieee_invalid_op 0
		.amdhsa_exception_fp_denorm_src 0
		.amdhsa_exception_fp_ieee_div_zero 0
		.amdhsa_exception_fp_ieee_overflow 0
		.amdhsa_exception_fp_ieee_underflow 0
		.amdhsa_exception_fp_ieee_inexact 0
		.amdhsa_exception_int_div_zero 0
	.end_amdhsa_kernel
	.section	.text._ZN12_GLOBAL__N_135rocblas_gemm_batched_general_kernelIdLi16ELi16ELi32ELi32ELi8ELi32ELi8ELi8ELi32ELc67ELc84EKPKdS3_KPdEEvlllT_PT11_llS8_llS6_PT12_llPT13_lli,"axG",@progbits,_ZN12_GLOBAL__N_135rocblas_gemm_batched_general_kernelIdLi16ELi16ELi32ELi32ELi8ELi32ELi8ELi8ELi32ELc67ELc84EKPKdS3_KPdEEvlllT_PT11_llS8_llS6_PT12_llPT13_lli,comdat
.Lfunc_end229:
	.size	_ZN12_GLOBAL__N_135rocblas_gemm_batched_general_kernelIdLi16ELi16ELi32ELi32ELi8ELi32ELi8ELi8ELi32ELc67ELc84EKPKdS3_KPdEEvlllT_PT11_llS8_llS6_PT12_llPT13_lli, .Lfunc_end229-_ZN12_GLOBAL__N_135rocblas_gemm_batched_general_kernelIdLi16ELi16ELi32ELi32ELi8ELi32ELi8ELi8ELi32ELc67ELc84EKPKdS3_KPdEEvlllT_PT11_llS8_llS6_PT12_llPT13_lli
                                        ; -- End function
	.set _ZN12_GLOBAL__N_135rocblas_gemm_batched_general_kernelIdLi16ELi16ELi32ELi32ELi8ELi32ELi8ELi8ELi32ELc67ELc84EKPKdS3_KPdEEvlllT_PT11_llS8_llS6_PT12_llPT13_lli.num_vgpr, 58
	.set _ZN12_GLOBAL__N_135rocblas_gemm_batched_general_kernelIdLi16ELi16ELi32ELi32ELi8ELi32ELi8ELi8ELi32ELc67ELc84EKPKdS3_KPdEEvlllT_PT11_llS8_llS6_PT12_llPT13_lli.num_agpr, 0
	.set _ZN12_GLOBAL__N_135rocblas_gemm_batched_general_kernelIdLi16ELi16ELi32ELi32ELi8ELi32ELi8ELi8ELi32ELc67ELc84EKPKdS3_KPdEEvlllT_PT11_llS8_llS6_PT12_llPT13_lli.numbered_sgpr, 52
	.set _ZN12_GLOBAL__N_135rocblas_gemm_batched_general_kernelIdLi16ELi16ELi32ELi32ELi8ELi32ELi8ELi8ELi32ELc67ELc84EKPKdS3_KPdEEvlllT_PT11_llS8_llS6_PT12_llPT13_lli.num_named_barrier, 0
	.set _ZN12_GLOBAL__N_135rocblas_gemm_batched_general_kernelIdLi16ELi16ELi32ELi32ELi8ELi32ELi8ELi8ELi32ELc67ELc84EKPKdS3_KPdEEvlllT_PT11_llS8_llS6_PT12_llPT13_lli.private_seg_size, 0
	.set _ZN12_GLOBAL__N_135rocblas_gemm_batched_general_kernelIdLi16ELi16ELi32ELi32ELi8ELi32ELi8ELi8ELi32ELc67ELc84EKPKdS3_KPdEEvlllT_PT11_llS8_llS6_PT12_llPT13_lli.uses_vcc, 1
	.set _ZN12_GLOBAL__N_135rocblas_gemm_batched_general_kernelIdLi16ELi16ELi32ELi32ELi8ELi32ELi8ELi8ELi32ELc67ELc84EKPKdS3_KPdEEvlllT_PT11_llS8_llS6_PT12_llPT13_lli.uses_flat_scratch, 0
	.set _ZN12_GLOBAL__N_135rocblas_gemm_batched_general_kernelIdLi16ELi16ELi32ELi32ELi8ELi32ELi8ELi8ELi32ELc67ELc84EKPKdS3_KPdEEvlllT_PT11_llS8_llS6_PT12_llPT13_lli.has_dyn_sized_stack, 0
	.set _ZN12_GLOBAL__N_135rocblas_gemm_batched_general_kernelIdLi16ELi16ELi32ELi32ELi8ELi32ELi8ELi8ELi32ELc67ELc84EKPKdS3_KPdEEvlllT_PT11_llS8_llS6_PT12_llPT13_lli.has_recursion, 0
	.set _ZN12_GLOBAL__N_135rocblas_gemm_batched_general_kernelIdLi16ELi16ELi32ELi32ELi8ELi32ELi8ELi8ELi32ELc67ELc84EKPKdS3_KPdEEvlllT_PT11_llS8_llS6_PT12_llPT13_lli.has_indirect_call, 0
	.section	.AMDGPU.csdata,"",@progbits
; Kernel info:
; codeLenInByte = 1640
; TotalNumSgprs: 58
; NumVgprs: 58
; NumAgprs: 0
; TotalNumVgprs: 58
; ScratchSize: 0
; MemoryBound: 0
; FloatMode: 240
; IeeeMode: 1
; LDSByteSize: 4096 bytes/workgroup (compile time only)
; SGPRBlocks: 7
; VGPRBlocks: 7
; NumSGPRsForWavesPerEU: 58
; NumVGPRsForWavesPerEU: 58
; AccumOffset: 60
; Occupancy: 8
; WaveLimiterHint : 1
; COMPUTE_PGM_RSRC2:SCRATCH_EN: 0
; COMPUTE_PGM_RSRC2:USER_SGPR: 2
; COMPUTE_PGM_RSRC2:TRAP_HANDLER: 0
; COMPUTE_PGM_RSRC2:TGID_X_EN: 1
; COMPUTE_PGM_RSRC2:TGID_Y_EN: 1
; COMPUTE_PGM_RSRC2:TGID_Z_EN: 1
; COMPUTE_PGM_RSRC2:TIDIG_COMP_CNT: 1
; COMPUTE_PGM_RSRC3_GFX90A:ACCUM_OFFSET: 14
; COMPUTE_PGM_RSRC3_GFX90A:TG_SPLIT: 0
	.section	.text._ZN12_GLOBAL__N_135rocblas_gemm_batched_general_kernelIdLi16ELi16ELi32ELi32ELi8ELi32ELi8ELi8ELi32ELc78ELc67EKPKdS3_KPdEEvlllT_PT11_llS8_llS6_PT12_llPT13_lli,"axG",@progbits,_ZN12_GLOBAL__N_135rocblas_gemm_batched_general_kernelIdLi16ELi16ELi32ELi32ELi8ELi32ELi8ELi8ELi32ELc78ELc67EKPKdS3_KPdEEvlllT_PT11_llS8_llS6_PT12_llPT13_lli,comdat
	.globl	_ZN12_GLOBAL__N_135rocblas_gemm_batched_general_kernelIdLi16ELi16ELi32ELi32ELi8ELi32ELi8ELi8ELi32ELc78ELc67EKPKdS3_KPdEEvlllT_PT11_llS8_llS6_PT12_llPT13_lli ; -- Begin function _ZN12_GLOBAL__N_135rocblas_gemm_batched_general_kernelIdLi16ELi16ELi32ELi32ELi8ELi32ELi8ELi8ELi32ELc78ELc67EKPKdS3_KPdEEvlllT_PT11_llS8_llS6_PT12_llPT13_lli
	.p2align	8
	.type	_ZN12_GLOBAL__N_135rocblas_gemm_batched_general_kernelIdLi16ELi16ELi32ELi32ELi8ELi32ELi8ELi8ELi32ELc78ELc67EKPKdS3_KPdEEvlllT_PT11_llS8_llS6_PT12_llPT13_lli,@function
_ZN12_GLOBAL__N_135rocblas_gemm_batched_general_kernelIdLi16ELi16ELi32ELi32ELi8ELi32ELi8ELi8ELi32ELc78ELc67EKPKdS3_KPdEEvlllT_PT11_llS8_llS6_PT12_llPT13_lli: ; @_ZN12_GLOBAL__N_135rocblas_gemm_batched_general_kernelIdLi16ELi16ELi32ELi32ELi8ELi32ELi8ELi8ELi32ELc78ELc67EKPKdS3_KPdEEvlllT_PT11_llS8_llS6_PT12_llPT13_lli
; %bb.0:
	s_load_dwordx16 s[8:23], s[0:1], 0x0
	s_load_dwordx16 s[36:51], s[0:1], 0x40
	s_mov_b32 s5, 0
	s_lshl_b64 s[4:5], s[4:5], 3
	s_mov_b32 s34, s3
	v_mov_b32_e32 v11, 0
	s_waitcnt lgkmcnt(0)
	s_add_u32 s6, s42, s4
	s_addc_u32 s7, s43, s5
	s_load_dwordx2 s[24:25], s[6:7], 0x0
	s_add_u32 s6, s48, s4
	s_addc_u32 s7, s49, s5
	s_load_dwordx2 s[28:29], s[6:7], 0x0
	s_ashr_i32 s3, s2, 31
	s_ashr_i32 s35, s34, 31
	v_cmp_lt_i64_e64 s[6:7], s[12:13], 1
	v_and_b32_e32 v2, 0x3ff, v0
	v_bfe_u32 v10, v0, 10, 10
	v_mov_b32_e32 v3, v11
	s_lshl_b64 s[26:27], s[2:3], 5
	s_lshl_b64 s[30:31], s[34:35], 5
	s_and_b64 vcc, exec, s[6:7]
	s_cbranch_vccnz .LBB230_7
; %bb.1:
	v_lshl_add_u32 v8, v10, 4, v2
	v_lshrrev_b32_e32 v0, 3, v8
	v_mov_b32_e32 v1, v11
	s_add_u32 s6, s22, s4
	v_lshl_add_u64 v[4:5], v[0:1], 0, s[30:31]
	v_and_b32_e32 v1, 31, v8
	v_and_b32_e32 v14, 7, v2
	s_addc_u32 s7, s23, s5
	v_or_b32_e32 v6, s26, v1
	v_mov_b32_e32 v7, s27
	s_load_dwordx2 s[22:23], s[6:7], 0x0
	v_cmp_gt_i64_e64 s[6:7], s[8:9], v[6:7]
	v_lshlrev_b32_e32 v6, 3, v1
	v_lshlrev_b32_e32 v1, 3, v14
	v_lshl_or_b32 v0, v0, 6, v1
	s_add_u32 s4, s16, s4
	v_add_u32_e32 v23, 0x800, v0
	v_mov_b32_e32 v0, 0x800
	s_addc_u32 s5, s17, s5
	v_lshl_add_u32 v25, v10, 6, v0
	v_mad_u64_u32 v[0:1], s[16:17], s36, v14, 0
	s_load_dwordx2 s[42:43], s[4:5], 0x0
	v_cmp_gt_i64_e64 s[4:5], s[10:11], v[4:5]
	v_mov_b32_e32 v4, v1
	v_mad_u64_u32 v[4:5], s[16:17], s37, v14, v[4:5]
	s_lshl_b64 s[16:17], s[34:35], 8
	s_lshl_b64 s[34:35], s[38:39], 3
	s_add_u32 s16, s34, s16
	v_mov_b32_e32 v1, v4
	s_addc_u32 s17, s35, s17
	v_lshl_add_u64 v[0:1], v[0:1], 3, s[16:17]
	v_and_b32_e32 v4, 0x7ff8, v8
	v_mov_b32_e32 v5, v11
	v_lshrrev_b32_e32 v12, 5, v8
	v_lshl_add_u64 v[0:1], v[0:1], 0, v[4:5]
	s_waitcnt lgkmcnt(0)
	v_lshl_add_u64 v[16:17], s[22:23], 0, v[0:1]
	v_mad_u64_u32 v[0:1], s[22:23], s18, v12, 0
	s_lshl_b64 s[16:17], s[36:37], 6
	v_mov_b32_e32 v4, v1
	s_lshl_b64 s[2:3], s[2:3], 8
	s_lshl_b64 s[20:21], s[20:21], 3
	v_mad_u64_u32 v[4:5], s[22:23], s19, v12, v[4:5]
	s_add_u32 s2, s20, s2
	v_mov_b32_e32 v1, v4
	s_addc_u32 s3, s21, s3
	v_lshl_add_u64 v[0:1], v[0:1], 3, s[2:3]
	v_mov_b32_e32 v7, v11
	v_lshl_add_u64 v[0:1], v[0:1], 0, v[6:7]
	v_mov_b32_e32 v13, v11
	v_mov_b32_e32 v15, v11
	v_lshl_or_b32 v22, v12, 8, v6
	v_lshlrev_b32_e32 v24, 3, v2
	v_lshl_add_u64 v[18:19], s[42:43], 0, v[0:1]
	s_lshl_b64 s[2:3], s[18:19], 6
	s_mov_b64 s[18:19], 0
	v_mov_b64_e32 v[0:1], 0
	v_mov_b64_e32 v[20:21], s[12:13]
	;; [unrolled: 1-line block ×5, first 2 shown]
	s_branch .LBB230_3
.LBB230_2:                              ;   in Loop: Header=BB230_3 Depth=1
	s_or_b64 exec, exec, s[20:21]
	s_waitcnt vmcnt(0) lgkmcnt(0)
	ds_write_b64 v23, v[26:27]
	s_waitcnt lgkmcnt(0)
	s_barrier
	ds_read2_b64 v[26:29], v24 offset1:16
	ds_read_b128 v[30:33], v25
	ds_read_b128 v[34:37], v25 offset:16
	ds_read_b128 v[38:41], v25 offset:32
	;; [unrolled: 1-line block ×4, first 2 shown]
	ds_read2_b64 v[50:53], v24 offset0:32 offset1:48
	s_waitcnt lgkmcnt(5)
	v_fmac_f64_e32 v[8:9], v[26:27], v[30:31]
	v_fmac_f64_e32 v[6:7], v[28:29], v[30:31]
	ds_read_b128 v[54:57], v25 offset:1040
	s_waitcnt lgkmcnt(2)
	v_fmac_f64_e32 v[4:5], v[26:27], v[46:47]
	v_fmac_f64_e32 v[0:1], v[28:29], v[46:47]
	ds_read2_b64 v[26:29], v24 offset0:64 offset1:80
	s_waitcnt lgkmcnt(2)
	v_fmac_f64_e32 v[8:9], v[50:51], v[32:33]
	v_fmac_f64_e32 v[6:7], v[52:53], v[32:33]
	ds_read2_b64 v[30:33], v24 offset0:96 offset1:112
	v_fmac_f64_e32 v[4:5], v[50:51], v[48:49]
	v_fmac_f64_e32 v[0:1], v[52:53], v[48:49]
	s_waitcnt lgkmcnt(1)
	v_fmac_f64_e32 v[8:9], v[26:27], v[34:35]
	v_fmac_f64_e32 v[6:7], v[28:29], v[34:35]
	ds_read_b128 v[46:49], v25 offset:1072
	v_fmac_f64_e32 v[4:5], v[26:27], v[54:55]
	v_fmac_f64_e32 v[0:1], v[28:29], v[54:55]
	s_waitcnt lgkmcnt(1)
	v_fmac_f64_e32 v[8:9], v[30:31], v[36:37]
	ds_read2_b64 v[26:29], v24 offset0:128 offset1:144
	v_fmac_f64_e32 v[6:7], v[32:33], v[36:37]
	v_fmac_f64_e32 v[4:5], v[30:31], v[56:57]
	;; [unrolled: 1-line block ×3, first 2 shown]
	ds_read_b128 v[30:33], v25 offset:1056
	ds_read2_b64 v[34:37], v24 offset0:160 offset1:176
	s_waitcnt lgkmcnt(2)
	v_fmac_f64_e32 v[8:9], v[26:27], v[38:39]
	v_fmac_f64_e32 v[6:7], v[28:29], v[38:39]
	s_add_u32 s18, s18, 8
	s_waitcnt lgkmcnt(1)
	v_fmac_f64_e32 v[4:5], v[26:27], v[30:31]
	v_fmac_f64_e32 v[0:1], v[28:29], v[30:31]
	ds_read2_b64 v[26:29], v24 offset0:192 offset1:208
	s_waitcnt lgkmcnt(1)
	v_fmac_f64_e32 v[4:5], v[34:35], v[32:33]
	v_fmac_f64_e32 v[0:1], v[36:37], v[32:33]
	ds_read2_b64 v[30:33], v24 offset0:224 offset1:240
	v_fmac_f64_e32 v[8:9], v[34:35], v[40:41]
	v_fmac_f64_e32 v[6:7], v[36:37], v[40:41]
	s_addc_u32 s19, s19, 0
	s_waitcnt lgkmcnt(1)
	v_fmac_f64_e32 v[8:9], v[26:27], v[42:43]
	v_fmac_f64_e32 v[6:7], v[28:29], v[42:43]
	;; [unrolled: 1-line block ×4, first 2 shown]
	v_cmp_lt_i64_e32 vcc, s[18:19], v[20:21]
	s_waitcnt lgkmcnt(0)
	v_fmac_f64_e32 v[8:9], v[30:31], v[44:45]
	v_fmac_f64_e32 v[6:7], v[32:33], v[44:45]
	;; [unrolled: 1-line block ×4, first 2 shown]
	v_lshl_add_u64 v[16:17], v[16:17], 0, s[16:17]
	v_lshl_add_u64 v[18:19], v[18:19], 0, s[2:3]
	s_barrier
	s_cbranch_vccz .LBB230_8
.LBB230_3:                              ; =>This Inner Loop Header: Depth=1
	v_lshl_add_u64 v[26:27], v[12:13], 0, s[18:19]
	v_cmp_gt_i64_e32 vcc, s[12:13], v[26:27]
	s_and_b64 s[22:23], s[6:7], vcc
	v_mov_b64_e32 v[26:27], 0
	s_and_saveexec_b64 s[20:21], s[22:23]
	s_cbranch_execz .LBB230_5
; %bb.4:                                ;   in Loop: Header=BB230_3 Depth=1
	flat_load_dwordx2 v[26:27], v[18:19]
.LBB230_5:                              ;   in Loop: Header=BB230_3 Depth=1
	s_or_b64 exec, exec, s[20:21]
	s_waitcnt vmcnt(0) lgkmcnt(0)
	ds_write_b64 v22, v[26:27]
	v_lshl_add_u64 v[26:27], v[14:15], 0, s[18:19]
	v_cmp_gt_i64_e32 vcc, s[12:13], v[26:27]
	s_and_b64 s[22:23], vcc, s[4:5]
	v_mov_b64_e32 v[26:27], 0
	s_and_saveexec_b64 s[20:21], s[22:23]
	s_cbranch_execz .LBB230_2
; %bb.6:                                ;   in Loop: Header=BB230_3 Depth=1
	flat_load_dwordx2 v[26:27], v[16:17]
	s_branch .LBB230_2
.LBB230_7:
	v_mov_b64_e32 v[8:9], 0
	v_mov_b64_e32 v[6:7], 0
	;; [unrolled: 1-line block ×4, first 2 shown]
.LBB230_8:
	s_load_dwordx2 s[2:3], s[0:1], 0x80
	v_lshl_add_u64 v[10:11], s[30:31], 0, v[10:11]
	v_cmp_neq_f64_e64 s[4:5], s[40:41], 0
	v_cmp_gt_i64_e64 s[0:1], s[10:11], v[10:11]
	s_waitcnt lgkmcnt(0)
	s_lshl_b64 s[2:3], s[2:3], 3
	s_add_u32 s6, s28, s2
	s_addc_u32 s7, s29, s3
	s_and_b64 vcc, exec, s[4:5]
	s_cbranch_vccnz .LBB230_21
; %bb.9:
	s_and_saveexec_b64 s[12:13], s[0:1]
	s_cbranch_execz .LBB230_19
; %bb.10:
	v_mul_lo_u32 v16, v11, s50
	v_mul_lo_u32 v17, v10, s51
	v_mad_u64_u32 v[14:15], s[2:3], v10, s50, 0
	v_add3_u32 v15, v15, v17, v16
	v_lshl_add_u64 v[12:13], s[26:27], 0, v[2:3]
	v_lshl_add_u64 v[14:15], v[14:15], 3, s[6:7]
	v_cmp_gt_i64_e32 vcc, s[8:9], v[12:13]
	v_lshl_add_u64 v[16:17], v[12:13], 3, v[14:15]
	s_and_saveexec_b64 s[2:3], vcc
	s_cbranch_execz .LBB230_12
; %bb.11:
	v_mul_f64 v[18:19], s[14:15], v[8:9]
	flat_store_dwordx2 v[16:17], v[18:19]
.LBB230_12:
	s_or_b64 exec, exec, s[2:3]
	v_lshl_add_u64 v[18:19], v[12:13], 0, 16
	v_cmp_gt_i64_e64 s[2:3], s[8:9], v[18:19]
	s_and_saveexec_b64 s[4:5], s[2:3]
	s_cbranch_execz .LBB230_14
; %bb.13:
	v_mul_f64 v[18:19], s[14:15], v[6:7]
	flat_store_dwordx2 v[16:17], v[18:19] offset:128
.LBB230_14:
	s_or_b64 exec, exec, s[4:5]
	v_lshl_add_u64 v[16:17], v[10:11], 0, 16
	v_cmp_gt_i64_e64 s[4:5], s[10:11], v[16:17]
	s_and_b64 exec, exec, s[4:5]
	s_cbranch_execz .LBB230_19
; %bb.15:
	s_lshl_b64 s[4:5], s[50:51], 7
	v_lshl_add_u64 v[14:15], v[14:15], 0, s[4:5]
	v_lshl_add_u64 v[12:13], v[12:13], 3, v[14:15]
	s_and_saveexec_b64 s[4:5], vcc
	s_cbranch_execz .LBB230_17
; %bb.16:
	v_mul_f64 v[14:15], s[14:15], v[4:5]
	flat_store_dwordx2 v[12:13], v[14:15]
.LBB230_17:
	s_or_b64 exec, exec, s[4:5]
	s_and_b64 exec, exec, s[2:3]
	s_cbranch_execz .LBB230_19
; %bb.18:
	v_mul_f64 v[14:15], s[14:15], v[0:1]
	flat_store_dwordx2 v[12:13], v[14:15] offset:128
.LBB230_19:
	s_or_b64 exec, exec, s[12:13]
	s_cbranch_execz .LBB230_22
.LBB230_20:
	s_endpgm
.LBB230_21:
.LBB230_22:
	s_and_saveexec_b64 s[2:3], s[0:1]
	s_cbranch_execz .LBB230_20
; %bb.23:
	s_lshl_b64 s[0:1], s[46:47], 3
	v_lshl_add_u64 v[16:17], s[26:27], 0, v[2:3]
	v_mul_lo_u32 v12, v11, s44
	v_mul_lo_u32 v13, v10, s45
	v_mad_u64_u32 v[2:3], s[2:3], v10, s44, 0
	s_add_u32 s0, s24, s0
	v_add3_u32 v3, v3, v13, v12
	v_mul_lo_u32 v14, v11, s50
	v_mul_lo_u32 v15, v10, s51
	v_mad_u64_u32 v[12:13], s[2:3], v10, s50, 0
	s_addc_u32 s1, s25, s1
	v_add3_u32 v13, v13, v15, v14
	v_cmp_gt_i64_e32 vcc, s[8:9], v[16:17]
	v_lshl_add_u64 v[14:15], v[2:3], 3, s[0:1]
	v_lshl_add_u64 v[12:13], v[12:13], 3, s[6:7]
	v_lshlrev_b64 v[2:3], 3, v[16:17]
	s_and_saveexec_b64 s[0:1], vcc
	s_cbranch_execz .LBB230_25
; %bb.24:
	v_lshl_add_u64 v[18:19], v[14:15], 0, v[2:3]
	flat_load_dwordx2 v[18:19], v[18:19]
	s_waitcnt vmcnt(0) lgkmcnt(0)
	v_mul_f64 v[18:19], s[40:41], v[18:19]
	v_fmac_f64_e32 v[18:19], s[14:15], v[8:9]
	v_lshl_add_u64 v[8:9], v[12:13], 0, v[2:3]
	flat_store_dwordx2 v[8:9], v[18:19]
.LBB230_25:
	s_or_b64 exec, exec, s[0:1]
	v_lshl_add_u64 v[8:9], v[16:17], 0, 16
	v_cmp_gt_i64_e64 s[0:1], s[8:9], v[8:9]
	s_and_saveexec_b64 s[2:3], s[0:1]
	s_cbranch_execz .LBB230_27
; %bb.26:
	v_lshl_add_u64 v[8:9], v[14:15], 0, v[2:3]
	flat_load_dwordx2 v[8:9], v[8:9] offset:128
	s_waitcnt vmcnt(0) lgkmcnt(0)
	v_mul_f64 v[8:9], s[40:41], v[8:9]
	v_fmac_f64_e32 v[8:9], s[14:15], v[6:7]
	v_lshl_add_u64 v[6:7], v[12:13], 0, v[2:3]
	flat_store_dwordx2 v[6:7], v[8:9] offset:128
.LBB230_27:
	s_or_b64 exec, exec, s[2:3]
	v_lshl_add_u64 v[6:7], v[10:11], 0, 16
	v_cmp_gt_i64_e64 s[2:3], s[10:11], v[6:7]
	s_and_b64 exec, exec, s[2:3]
	s_cbranch_execz .LBB230_20
; %bb.28:
	s_lshl_b64 s[2:3], s[44:45], 7
	v_lshl_add_u64 v[6:7], v[14:15], 0, s[2:3]
	s_lshl_b64 s[2:3], s[50:51], 7
	v_lshl_add_u64 v[8:9], v[12:13], 0, s[2:3]
	v_lshl_add_u64 v[6:7], v[6:7], 0, v[2:3]
	;; [unrolled: 1-line block ×3, first 2 shown]
	s_and_saveexec_b64 s[2:3], vcc
	s_cbranch_execz .LBB230_30
; %bb.29:
	flat_load_dwordx2 v[8:9], v[6:7]
	s_waitcnt vmcnt(0) lgkmcnt(0)
	v_mul_f64 v[8:9], s[40:41], v[8:9]
	v_fmac_f64_e32 v[8:9], s[14:15], v[4:5]
	flat_store_dwordx2 v[2:3], v[8:9]
.LBB230_30:
	s_or_b64 exec, exec, s[2:3]
	s_and_b64 exec, exec, s[0:1]
	s_cbranch_execz .LBB230_20
; %bb.31:
	flat_load_dwordx2 v[4:5], v[6:7] offset:128
	s_waitcnt vmcnt(0) lgkmcnt(0)
	v_mul_f64 v[4:5], s[40:41], v[4:5]
	v_fmac_f64_e32 v[4:5], s[14:15], v[0:1]
	flat_store_dwordx2 v[2:3], v[4:5] offset:128
	s_endpgm
	.section	.rodata,"a",@progbits
	.p2align	6, 0x0
	.amdhsa_kernel _ZN12_GLOBAL__N_135rocblas_gemm_batched_general_kernelIdLi16ELi16ELi32ELi32ELi8ELi32ELi8ELi8ELi32ELc78ELc67EKPKdS3_KPdEEvlllT_PT11_llS8_llS6_PT12_llPT13_lli
		.amdhsa_group_segment_fixed_size 4096
		.amdhsa_private_segment_fixed_size 0
		.amdhsa_kernarg_size 140
		.amdhsa_user_sgpr_count 2
		.amdhsa_user_sgpr_dispatch_ptr 0
		.amdhsa_user_sgpr_queue_ptr 0
		.amdhsa_user_sgpr_kernarg_segment_ptr 1
		.amdhsa_user_sgpr_dispatch_id 0
		.amdhsa_user_sgpr_kernarg_preload_length 0
		.amdhsa_user_sgpr_kernarg_preload_offset 0
		.amdhsa_user_sgpr_private_segment_size 0
		.amdhsa_uses_dynamic_stack 0
		.amdhsa_enable_private_segment 0
		.amdhsa_system_sgpr_workgroup_id_x 1
		.amdhsa_system_sgpr_workgroup_id_y 1
		.amdhsa_system_sgpr_workgroup_id_z 1
		.amdhsa_system_sgpr_workgroup_info 0
		.amdhsa_system_vgpr_workitem_id 1
		.amdhsa_next_free_vgpr 58
		.amdhsa_next_free_sgpr 52
		.amdhsa_accum_offset 60
		.amdhsa_reserve_vcc 1
		.amdhsa_float_round_mode_32 0
		.amdhsa_float_round_mode_16_64 0
		.amdhsa_float_denorm_mode_32 3
		.amdhsa_float_denorm_mode_16_64 3
		.amdhsa_dx10_clamp 1
		.amdhsa_ieee_mode 1
		.amdhsa_fp16_overflow 0
		.amdhsa_tg_split 0
		.amdhsa_exception_fp_ieee_invalid_op 0
		.amdhsa_exception_fp_denorm_src 0
		.amdhsa_exception_fp_ieee_div_zero 0
		.amdhsa_exception_fp_ieee_overflow 0
		.amdhsa_exception_fp_ieee_underflow 0
		.amdhsa_exception_fp_ieee_inexact 0
		.amdhsa_exception_int_div_zero 0
	.end_amdhsa_kernel
	.section	.text._ZN12_GLOBAL__N_135rocblas_gemm_batched_general_kernelIdLi16ELi16ELi32ELi32ELi8ELi32ELi8ELi8ELi32ELc78ELc67EKPKdS3_KPdEEvlllT_PT11_llS8_llS6_PT12_llPT13_lli,"axG",@progbits,_ZN12_GLOBAL__N_135rocblas_gemm_batched_general_kernelIdLi16ELi16ELi32ELi32ELi8ELi32ELi8ELi8ELi32ELc78ELc67EKPKdS3_KPdEEvlllT_PT11_llS8_llS6_PT12_llPT13_lli,comdat
.Lfunc_end230:
	.size	_ZN12_GLOBAL__N_135rocblas_gemm_batched_general_kernelIdLi16ELi16ELi32ELi32ELi8ELi32ELi8ELi8ELi32ELc78ELc67EKPKdS3_KPdEEvlllT_PT11_llS8_llS6_PT12_llPT13_lli, .Lfunc_end230-_ZN12_GLOBAL__N_135rocblas_gemm_batched_general_kernelIdLi16ELi16ELi32ELi32ELi8ELi32ELi8ELi8ELi32ELc78ELc67EKPKdS3_KPdEEvlllT_PT11_llS8_llS6_PT12_llPT13_lli
                                        ; -- End function
	.set _ZN12_GLOBAL__N_135rocblas_gemm_batched_general_kernelIdLi16ELi16ELi32ELi32ELi8ELi32ELi8ELi8ELi32ELc78ELc67EKPKdS3_KPdEEvlllT_PT11_llS8_llS6_PT12_llPT13_lli.num_vgpr, 58
	.set _ZN12_GLOBAL__N_135rocblas_gemm_batched_general_kernelIdLi16ELi16ELi32ELi32ELi8ELi32ELi8ELi8ELi32ELc78ELc67EKPKdS3_KPdEEvlllT_PT11_llS8_llS6_PT12_llPT13_lli.num_agpr, 0
	.set _ZN12_GLOBAL__N_135rocblas_gemm_batched_general_kernelIdLi16ELi16ELi32ELi32ELi8ELi32ELi8ELi8ELi32ELc78ELc67EKPKdS3_KPdEEvlllT_PT11_llS8_llS6_PT12_llPT13_lli.numbered_sgpr, 52
	.set _ZN12_GLOBAL__N_135rocblas_gemm_batched_general_kernelIdLi16ELi16ELi32ELi32ELi8ELi32ELi8ELi8ELi32ELc78ELc67EKPKdS3_KPdEEvlllT_PT11_llS8_llS6_PT12_llPT13_lli.num_named_barrier, 0
	.set _ZN12_GLOBAL__N_135rocblas_gemm_batched_general_kernelIdLi16ELi16ELi32ELi32ELi8ELi32ELi8ELi8ELi32ELc78ELc67EKPKdS3_KPdEEvlllT_PT11_llS8_llS6_PT12_llPT13_lli.private_seg_size, 0
	.set _ZN12_GLOBAL__N_135rocblas_gemm_batched_general_kernelIdLi16ELi16ELi32ELi32ELi8ELi32ELi8ELi8ELi32ELc78ELc67EKPKdS3_KPdEEvlllT_PT11_llS8_llS6_PT12_llPT13_lli.uses_vcc, 1
	.set _ZN12_GLOBAL__N_135rocblas_gemm_batched_general_kernelIdLi16ELi16ELi32ELi32ELi8ELi32ELi8ELi8ELi32ELc78ELc67EKPKdS3_KPdEEvlllT_PT11_llS8_llS6_PT12_llPT13_lli.uses_flat_scratch, 0
	.set _ZN12_GLOBAL__N_135rocblas_gemm_batched_general_kernelIdLi16ELi16ELi32ELi32ELi8ELi32ELi8ELi8ELi32ELc78ELc67EKPKdS3_KPdEEvlllT_PT11_llS8_llS6_PT12_llPT13_lli.has_dyn_sized_stack, 0
	.set _ZN12_GLOBAL__N_135rocblas_gemm_batched_general_kernelIdLi16ELi16ELi32ELi32ELi8ELi32ELi8ELi8ELi32ELc78ELc67EKPKdS3_KPdEEvlllT_PT11_llS8_llS6_PT12_llPT13_lli.has_recursion, 0
	.set _ZN12_GLOBAL__N_135rocblas_gemm_batched_general_kernelIdLi16ELi16ELi32ELi32ELi8ELi32ELi8ELi8ELi32ELc78ELc67EKPKdS3_KPdEEvlllT_PT11_llS8_llS6_PT12_llPT13_lli.has_indirect_call, 0
	.section	.AMDGPU.csdata,"",@progbits
; Kernel info:
; codeLenInByte = 1632
; TotalNumSgprs: 58
; NumVgprs: 58
; NumAgprs: 0
; TotalNumVgprs: 58
; ScratchSize: 0
; MemoryBound: 0
; FloatMode: 240
; IeeeMode: 1
; LDSByteSize: 4096 bytes/workgroup (compile time only)
; SGPRBlocks: 7
; VGPRBlocks: 7
; NumSGPRsForWavesPerEU: 58
; NumVGPRsForWavesPerEU: 58
; AccumOffset: 60
; Occupancy: 8
; WaveLimiterHint : 1
; COMPUTE_PGM_RSRC2:SCRATCH_EN: 0
; COMPUTE_PGM_RSRC2:USER_SGPR: 2
; COMPUTE_PGM_RSRC2:TRAP_HANDLER: 0
; COMPUTE_PGM_RSRC2:TGID_X_EN: 1
; COMPUTE_PGM_RSRC2:TGID_Y_EN: 1
; COMPUTE_PGM_RSRC2:TGID_Z_EN: 1
; COMPUTE_PGM_RSRC2:TIDIG_COMP_CNT: 1
; COMPUTE_PGM_RSRC3_GFX90A:ACCUM_OFFSET: 14
; COMPUTE_PGM_RSRC3_GFX90A:TG_SPLIT: 0
	.section	.text._ZN12_GLOBAL__N_135rocblas_gemm_batched_general_kernelIdLi16ELi16ELi32ELi32ELi8ELi32ELi8ELi8ELi32ELc84ELc67EKPKdS3_KPdEEvlllT_PT11_llS8_llS6_PT12_llPT13_lli,"axG",@progbits,_ZN12_GLOBAL__N_135rocblas_gemm_batched_general_kernelIdLi16ELi16ELi32ELi32ELi8ELi32ELi8ELi8ELi32ELc84ELc67EKPKdS3_KPdEEvlllT_PT11_llS8_llS6_PT12_llPT13_lli,comdat
	.globl	_ZN12_GLOBAL__N_135rocblas_gemm_batched_general_kernelIdLi16ELi16ELi32ELi32ELi8ELi32ELi8ELi8ELi32ELc84ELc67EKPKdS3_KPdEEvlllT_PT11_llS8_llS6_PT12_llPT13_lli ; -- Begin function _ZN12_GLOBAL__N_135rocblas_gemm_batched_general_kernelIdLi16ELi16ELi32ELi32ELi8ELi32ELi8ELi8ELi32ELc84ELc67EKPKdS3_KPdEEvlllT_PT11_llS8_llS6_PT12_llPT13_lli
	.p2align	8
	.type	_ZN12_GLOBAL__N_135rocblas_gemm_batched_general_kernelIdLi16ELi16ELi32ELi32ELi8ELi32ELi8ELi8ELi32ELc84ELc67EKPKdS3_KPdEEvlllT_PT11_llS8_llS6_PT12_llPT13_lli,@function
_ZN12_GLOBAL__N_135rocblas_gemm_batched_general_kernelIdLi16ELi16ELi32ELi32ELi8ELi32ELi8ELi8ELi32ELc84ELc67EKPKdS3_KPdEEvlllT_PT11_llS8_llS6_PT12_llPT13_lli: ; @_ZN12_GLOBAL__N_135rocblas_gemm_batched_general_kernelIdLi16ELi16ELi32ELi32ELi8ELi32ELi8ELi8ELi32ELc84ELc67EKPKdS3_KPdEEvlllT_PT11_llS8_llS6_PT12_llPT13_lli
; %bb.0:
	s_load_dwordx16 s[8:23], s[0:1], 0x0
	s_load_dwordx16 s[36:51], s[0:1], 0x40
	s_mov_b32 s5, 0
	s_lshl_b64 s[4:5], s[4:5], 3
	s_mov_b32 s30, s3
	v_mov_b32_e32 v11, 0
	s_waitcnt lgkmcnt(0)
	s_add_u32 s6, s42, s4
	s_addc_u32 s7, s43, s5
	s_add_u32 s24, s48, s4
	s_addc_u32 s25, s49, s5
	s_load_dwordx2 s[6:7], s[6:7], 0x0
	s_ashr_i32 s3, s2, 31
	s_load_dwordx2 s[26:27], s[24:25], 0x0
	s_lshl_b64 s[24:25], s[2:3], 5
	s_ashr_i32 s31, s30, 31
	v_cmp_lt_i64_e64 s[2:3], s[12:13], 1
	v_and_b32_e32 v2, 0x3ff, v0
	v_bfe_u32 v10, v0, 10, 10
	v_mov_b32_e32 v3, v11
	s_lshl_b64 s[28:29], s[30:31], 5
	s_and_b64 vcc, exec, s[2:3]
	s_cbranch_vccnz .LBB231_7
; %bb.1:
	v_lshl_add_u32 v16, v10, 4, v2
	v_lshrrev_b32_e32 v0, 3, v16
	v_mov_b32_e32 v1, v11
	v_and_b32_e32 v6, 31, v16
	v_lshrrev_b32_e32 v12, 5, v16
	v_and_b32_e32 v14, 7, v2
	v_lshl_add_u64 v[4:5], v[0:1], 0, s[28:29]
	v_lshlrev_b32_e32 v1, 3, v6
	s_add_u32 s2, s22, s4
	v_lshl_or_b32 v22, v12, 8, v1
	v_lshlrev_b32_e32 v1, 3, v14
	s_addc_u32 s3, s23, s5
	v_lshl_or_b32 v0, v0, 6, v1
	s_load_dwordx2 s[22:23], s[2:3], 0x0
	s_add_u32 s2, s16, s4
	v_add_u32_e32 v23, 0x800, v0
	v_mov_b32_e32 v0, 0x800
	s_addc_u32 s3, s17, s5
	v_lshl_add_u32 v25, v10, 6, v0
	v_mad_u64_u32 v[0:1], s[16:17], s36, v14, 0
	v_cmp_gt_i64_e64 s[4:5], s[10:11], v[4:5]
	v_mov_b32_e32 v4, v1
	v_mad_u64_u32 v[4:5], s[16:17], s37, v14, v[4:5]
	s_lshl_b64 s[16:17], s[30:31], 8
	s_lshl_b64 s[30:31], s[38:39], 3
	s_add_u32 s16, s30, s16
	v_mov_b32_e32 v1, v4
	s_addc_u32 s17, s31, s17
	v_lshl_add_u64 v[0:1], v[0:1], 3, s[16:17]
	v_and_b32_e32 v4, 0x7ff8, v16
	v_mov_b32_e32 v5, v11
	v_mov_b32_e32 v7, v11
	v_lshl_add_u64 v[0:1], v[0:1], 0, v[4:5]
	s_load_dwordx2 s[34:35], s[2:3], 0x0
	s_waitcnt lgkmcnt(0)
	v_lshl_add_u64 v[16:17], s[22:23], 0, v[0:1]
	v_lshl_add_u64 v[0:1], s[24:25], 0, v[6:7]
	v_mul_lo_u32 v4, s19, v0
	v_mul_lo_u32 v5, s18, v1
	v_mad_u64_u32 v[0:1], s[18:19], s18, v0, 0
	v_add3_u32 v1, v1, v5, v4
	s_lshl_b64 s[18:19], s[20:21], 3
	v_lshl_add_u64 v[0:1], v[0:1], 3, s[18:19]
	v_lshlrev_b32_e32 v4, 3, v12
	v_mov_b32_e32 v5, v11
	v_or_b32_e32 v8, s24, v6
	v_mov_b32_e32 v9, s25
	v_lshl_add_u64 v[0:1], v[0:1], 0, v[4:5]
	v_mov_b32_e32 v13, v11
	v_mov_b32_e32 v15, v11
	v_cmp_gt_i64_e64 s[2:3], s[8:9], v[8:9]
	v_lshlrev_b32_e32 v24, 3, v2
	s_lshl_b64 s[16:17], s[36:37], 6
	v_lshl_add_u64 v[18:19], s[34:35], 0, v[0:1]
	s_mov_b64 s[18:19], 0
	v_mov_b64_e32 v[0:1], 0
	v_mov_b64_e32 v[20:21], s[12:13]
	;; [unrolled: 1-line block ×5, first 2 shown]
	s_branch .LBB231_3
.LBB231_2:                              ;   in Loop: Header=BB231_3 Depth=1
	s_or_b64 exec, exec, s[20:21]
	s_waitcnt vmcnt(0) lgkmcnt(0)
	ds_write_b64 v23, v[26:27]
	s_waitcnt lgkmcnt(0)
	s_barrier
	ds_read2_b64 v[26:29], v24 offset1:16
	ds_read_b128 v[30:33], v25
	ds_read_b128 v[34:37], v25 offset:16
	ds_read_b128 v[38:41], v25 offset:32
	;; [unrolled: 1-line block ×4, first 2 shown]
	ds_read2_b64 v[50:53], v24 offset0:32 offset1:48
	s_waitcnt lgkmcnt(5)
	v_fmac_f64_e32 v[8:9], v[26:27], v[30:31]
	v_fmac_f64_e32 v[6:7], v[28:29], v[30:31]
	ds_read_b128 v[54:57], v25 offset:1040
	s_waitcnt lgkmcnt(2)
	v_fmac_f64_e32 v[4:5], v[26:27], v[46:47]
	v_fmac_f64_e32 v[0:1], v[28:29], v[46:47]
	ds_read2_b64 v[26:29], v24 offset0:64 offset1:80
	s_waitcnt lgkmcnt(2)
	v_fmac_f64_e32 v[8:9], v[50:51], v[32:33]
	v_fmac_f64_e32 v[6:7], v[52:53], v[32:33]
	ds_read2_b64 v[30:33], v24 offset0:96 offset1:112
	v_fmac_f64_e32 v[4:5], v[50:51], v[48:49]
	v_fmac_f64_e32 v[0:1], v[52:53], v[48:49]
	s_waitcnt lgkmcnt(1)
	v_fmac_f64_e32 v[8:9], v[26:27], v[34:35]
	v_fmac_f64_e32 v[6:7], v[28:29], v[34:35]
	ds_read_b128 v[46:49], v25 offset:1072
	v_fmac_f64_e32 v[4:5], v[26:27], v[54:55]
	v_fmac_f64_e32 v[0:1], v[28:29], v[54:55]
	s_waitcnt lgkmcnt(1)
	v_fmac_f64_e32 v[8:9], v[30:31], v[36:37]
	ds_read2_b64 v[26:29], v24 offset0:128 offset1:144
	v_fmac_f64_e32 v[6:7], v[32:33], v[36:37]
	v_fmac_f64_e32 v[4:5], v[30:31], v[56:57]
	;; [unrolled: 1-line block ×3, first 2 shown]
	ds_read_b128 v[30:33], v25 offset:1056
	ds_read2_b64 v[34:37], v24 offset0:160 offset1:176
	s_waitcnt lgkmcnt(2)
	v_fmac_f64_e32 v[8:9], v[26:27], v[38:39]
	v_fmac_f64_e32 v[6:7], v[28:29], v[38:39]
	s_add_u32 s18, s18, 8
	s_waitcnt lgkmcnt(1)
	v_fmac_f64_e32 v[4:5], v[26:27], v[30:31]
	v_fmac_f64_e32 v[0:1], v[28:29], v[30:31]
	ds_read2_b64 v[26:29], v24 offset0:192 offset1:208
	s_waitcnt lgkmcnt(1)
	v_fmac_f64_e32 v[4:5], v[34:35], v[32:33]
	v_fmac_f64_e32 v[0:1], v[36:37], v[32:33]
	ds_read2_b64 v[30:33], v24 offset0:224 offset1:240
	v_fmac_f64_e32 v[8:9], v[34:35], v[40:41]
	v_fmac_f64_e32 v[6:7], v[36:37], v[40:41]
	s_addc_u32 s19, s19, 0
	s_waitcnt lgkmcnt(1)
	v_fmac_f64_e32 v[8:9], v[26:27], v[42:43]
	v_fmac_f64_e32 v[6:7], v[28:29], v[42:43]
	;; [unrolled: 1-line block ×4, first 2 shown]
	v_cmp_lt_i64_e32 vcc, s[18:19], v[20:21]
	s_waitcnt lgkmcnt(0)
	v_fmac_f64_e32 v[8:9], v[30:31], v[44:45]
	v_fmac_f64_e32 v[6:7], v[32:33], v[44:45]
	;; [unrolled: 1-line block ×4, first 2 shown]
	v_lshl_add_u64 v[16:17], v[16:17], 0, s[16:17]
	v_lshl_add_u64 v[18:19], v[18:19], 0, 64
	s_barrier
	s_cbranch_vccz .LBB231_8
.LBB231_3:                              ; =>This Inner Loop Header: Depth=1
	v_lshl_add_u64 v[26:27], v[12:13], 0, s[18:19]
	v_cmp_gt_i64_e32 vcc, s[12:13], v[26:27]
	s_and_b64 s[22:23], s[2:3], vcc
	v_mov_b64_e32 v[26:27], 0
	s_and_saveexec_b64 s[20:21], s[22:23]
	s_cbranch_execz .LBB231_5
; %bb.4:                                ;   in Loop: Header=BB231_3 Depth=1
	flat_load_dwordx2 v[26:27], v[18:19]
.LBB231_5:                              ;   in Loop: Header=BB231_3 Depth=1
	s_or_b64 exec, exec, s[20:21]
	s_waitcnt vmcnt(0) lgkmcnt(0)
	ds_write_b64 v22, v[26:27]
	v_lshl_add_u64 v[26:27], v[14:15], 0, s[18:19]
	v_cmp_gt_i64_e32 vcc, s[12:13], v[26:27]
	s_and_b64 s[22:23], vcc, s[4:5]
	v_mov_b64_e32 v[26:27], 0
	s_and_saveexec_b64 s[20:21], s[22:23]
	s_cbranch_execz .LBB231_2
; %bb.6:                                ;   in Loop: Header=BB231_3 Depth=1
	flat_load_dwordx2 v[26:27], v[16:17]
	s_branch .LBB231_2
.LBB231_7:
	v_mov_b64_e32 v[8:9], 0
	v_mov_b64_e32 v[6:7], 0
	;; [unrolled: 1-line block ×4, first 2 shown]
.LBB231_8:
	s_load_dwordx2 s[2:3], s[0:1], 0x80
	v_lshl_add_u64 v[10:11], s[28:29], 0, v[10:11]
	v_cmp_neq_f64_e64 s[4:5], s[40:41], 0
	v_cmp_gt_i64_e64 s[0:1], s[10:11], v[10:11]
	s_waitcnt lgkmcnt(0)
	s_lshl_b64 s[2:3], s[2:3], 3
	s_add_u32 s12, s26, s2
	s_addc_u32 s13, s27, s3
	s_and_b64 vcc, exec, s[4:5]
	s_cbranch_vccnz .LBB231_21
; %bb.9:
	s_and_saveexec_b64 s[16:17], s[0:1]
	s_cbranch_execz .LBB231_19
; %bb.10:
	v_mul_lo_u32 v16, v11, s50
	v_mul_lo_u32 v17, v10, s51
	v_mad_u64_u32 v[14:15], s[2:3], v10, s50, 0
	v_add3_u32 v15, v15, v17, v16
	v_lshl_add_u64 v[12:13], s[24:25], 0, v[2:3]
	v_lshl_add_u64 v[14:15], v[14:15], 3, s[12:13]
	v_cmp_gt_i64_e32 vcc, s[8:9], v[12:13]
	v_lshl_add_u64 v[16:17], v[12:13], 3, v[14:15]
	s_and_saveexec_b64 s[2:3], vcc
	s_cbranch_execz .LBB231_12
; %bb.11:
	v_mul_f64 v[18:19], s[14:15], v[8:9]
	flat_store_dwordx2 v[16:17], v[18:19]
.LBB231_12:
	s_or_b64 exec, exec, s[2:3]
	v_lshl_add_u64 v[18:19], v[12:13], 0, 16
	v_cmp_gt_i64_e64 s[2:3], s[8:9], v[18:19]
	s_and_saveexec_b64 s[4:5], s[2:3]
	s_cbranch_execz .LBB231_14
; %bb.13:
	v_mul_f64 v[18:19], s[14:15], v[6:7]
	flat_store_dwordx2 v[16:17], v[18:19] offset:128
.LBB231_14:
	s_or_b64 exec, exec, s[4:5]
	v_lshl_add_u64 v[16:17], v[10:11], 0, 16
	v_cmp_gt_i64_e64 s[4:5], s[10:11], v[16:17]
	s_and_b64 exec, exec, s[4:5]
	s_cbranch_execz .LBB231_19
; %bb.15:
	s_lshl_b64 s[4:5], s[50:51], 7
	v_lshl_add_u64 v[14:15], v[14:15], 0, s[4:5]
	v_lshl_add_u64 v[12:13], v[12:13], 3, v[14:15]
	s_and_saveexec_b64 s[4:5], vcc
	s_cbranch_execz .LBB231_17
; %bb.16:
	v_mul_f64 v[14:15], s[14:15], v[4:5]
	flat_store_dwordx2 v[12:13], v[14:15]
.LBB231_17:
	s_or_b64 exec, exec, s[4:5]
	s_and_b64 exec, exec, s[2:3]
	s_cbranch_execz .LBB231_19
; %bb.18:
	v_mul_f64 v[14:15], s[14:15], v[0:1]
	flat_store_dwordx2 v[12:13], v[14:15] offset:128
.LBB231_19:
	s_or_b64 exec, exec, s[16:17]
	s_cbranch_execz .LBB231_22
.LBB231_20:
	s_endpgm
.LBB231_21:
.LBB231_22:
	s_and_saveexec_b64 s[2:3], s[0:1]
	s_cbranch_execz .LBB231_20
; %bb.23:
	s_lshl_b64 s[0:1], s[46:47], 3
	v_lshl_add_u64 v[16:17], s[24:25], 0, v[2:3]
	v_mul_lo_u32 v12, v11, s44
	v_mul_lo_u32 v13, v10, s45
	v_mad_u64_u32 v[2:3], s[2:3], v10, s44, 0
	s_add_u32 s0, s6, s0
	v_add3_u32 v3, v3, v13, v12
	v_mul_lo_u32 v14, v11, s50
	v_mul_lo_u32 v15, v10, s51
	v_mad_u64_u32 v[12:13], s[2:3], v10, s50, 0
	s_addc_u32 s1, s7, s1
	v_add3_u32 v13, v13, v15, v14
	v_cmp_gt_i64_e32 vcc, s[8:9], v[16:17]
	v_lshl_add_u64 v[14:15], v[2:3], 3, s[0:1]
	v_lshl_add_u64 v[12:13], v[12:13], 3, s[12:13]
	v_lshlrev_b64 v[2:3], 3, v[16:17]
	s_and_saveexec_b64 s[0:1], vcc
	s_cbranch_execz .LBB231_25
; %bb.24:
	v_lshl_add_u64 v[18:19], v[14:15], 0, v[2:3]
	flat_load_dwordx2 v[18:19], v[18:19]
	s_waitcnt vmcnt(0) lgkmcnt(0)
	v_mul_f64 v[18:19], s[40:41], v[18:19]
	v_fmac_f64_e32 v[18:19], s[14:15], v[8:9]
	v_lshl_add_u64 v[8:9], v[12:13], 0, v[2:3]
	flat_store_dwordx2 v[8:9], v[18:19]
.LBB231_25:
	s_or_b64 exec, exec, s[0:1]
	v_lshl_add_u64 v[8:9], v[16:17], 0, 16
	v_cmp_gt_i64_e64 s[0:1], s[8:9], v[8:9]
	s_and_saveexec_b64 s[2:3], s[0:1]
	s_cbranch_execz .LBB231_27
; %bb.26:
	v_lshl_add_u64 v[8:9], v[14:15], 0, v[2:3]
	flat_load_dwordx2 v[8:9], v[8:9] offset:128
	s_waitcnt vmcnt(0) lgkmcnt(0)
	v_mul_f64 v[8:9], s[40:41], v[8:9]
	v_fmac_f64_e32 v[8:9], s[14:15], v[6:7]
	v_lshl_add_u64 v[6:7], v[12:13], 0, v[2:3]
	flat_store_dwordx2 v[6:7], v[8:9] offset:128
.LBB231_27:
	s_or_b64 exec, exec, s[2:3]
	v_lshl_add_u64 v[6:7], v[10:11], 0, 16
	v_cmp_gt_i64_e64 s[2:3], s[10:11], v[6:7]
	s_and_b64 exec, exec, s[2:3]
	s_cbranch_execz .LBB231_20
; %bb.28:
	s_lshl_b64 s[2:3], s[44:45], 7
	v_lshl_add_u64 v[6:7], v[14:15], 0, s[2:3]
	s_lshl_b64 s[2:3], s[50:51], 7
	v_lshl_add_u64 v[8:9], v[12:13], 0, s[2:3]
	v_lshl_add_u64 v[6:7], v[6:7], 0, v[2:3]
	;; [unrolled: 1-line block ×3, first 2 shown]
	s_and_saveexec_b64 s[2:3], vcc
	s_cbranch_execz .LBB231_30
; %bb.29:
	flat_load_dwordx2 v[8:9], v[6:7]
	s_waitcnt vmcnt(0) lgkmcnt(0)
	v_mul_f64 v[8:9], s[40:41], v[8:9]
	v_fmac_f64_e32 v[8:9], s[14:15], v[4:5]
	flat_store_dwordx2 v[2:3], v[8:9]
.LBB231_30:
	s_or_b64 exec, exec, s[2:3]
	s_and_b64 exec, exec, s[0:1]
	s_cbranch_execz .LBB231_20
; %bb.31:
	flat_load_dwordx2 v[4:5], v[6:7] offset:128
	s_waitcnt vmcnt(0) lgkmcnt(0)
	v_mul_f64 v[4:5], s[40:41], v[4:5]
	v_fmac_f64_e32 v[4:5], s[14:15], v[0:1]
	flat_store_dwordx2 v[2:3], v[4:5] offset:128
	s_endpgm
	.section	.rodata,"a",@progbits
	.p2align	6, 0x0
	.amdhsa_kernel _ZN12_GLOBAL__N_135rocblas_gemm_batched_general_kernelIdLi16ELi16ELi32ELi32ELi8ELi32ELi8ELi8ELi32ELc84ELc67EKPKdS3_KPdEEvlllT_PT11_llS8_llS6_PT12_llPT13_lli
		.amdhsa_group_segment_fixed_size 4096
		.amdhsa_private_segment_fixed_size 0
		.amdhsa_kernarg_size 140
		.amdhsa_user_sgpr_count 2
		.amdhsa_user_sgpr_dispatch_ptr 0
		.amdhsa_user_sgpr_queue_ptr 0
		.amdhsa_user_sgpr_kernarg_segment_ptr 1
		.amdhsa_user_sgpr_dispatch_id 0
		.amdhsa_user_sgpr_kernarg_preload_length 0
		.amdhsa_user_sgpr_kernarg_preload_offset 0
		.amdhsa_user_sgpr_private_segment_size 0
		.amdhsa_uses_dynamic_stack 0
		.amdhsa_enable_private_segment 0
		.amdhsa_system_sgpr_workgroup_id_x 1
		.amdhsa_system_sgpr_workgroup_id_y 1
		.amdhsa_system_sgpr_workgroup_id_z 1
		.amdhsa_system_sgpr_workgroup_info 0
		.amdhsa_system_vgpr_workitem_id 1
		.amdhsa_next_free_vgpr 58
		.amdhsa_next_free_sgpr 52
		.amdhsa_accum_offset 60
		.amdhsa_reserve_vcc 1
		.amdhsa_float_round_mode_32 0
		.amdhsa_float_round_mode_16_64 0
		.amdhsa_float_denorm_mode_32 3
		.amdhsa_float_denorm_mode_16_64 3
		.amdhsa_dx10_clamp 1
		.amdhsa_ieee_mode 1
		.amdhsa_fp16_overflow 0
		.amdhsa_tg_split 0
		.amdhsa_exception_fp_ieee_invalid_op 0
		.amdhsa_exception_fp_denorm_src 0
		.amdhsa_exception_fp_ieee_div_zero 0
		.amdhsa_exception_fp_ieee_overflow 0
		.amdhsa_exception_fp_ieee_underflow 0
		.amdhsa_exception_fp_ieee_inexact 0
		.amdhsa_exception_int_div_zero 0
	.end_amdhsa_kernel
	.section	.text._ZN12_GLOBAL__N_135rocblas_gemm_batched_general_kernelIdLi16ELi16ELi32ELi32ELi8ELi32ELi8ELi8ELi32ELc84ELc67EKPKdS3_KPdEEvlllT_PT11_llS8_llS6_PT12_llPT13_lli,"axG",@progbits,_ZN12_GLOBAL__N_135rocblas_gemm_batched_general_kernelIdLi16ELi16ELi32ELi32ELi8ELi32ELi8ELi8ELi32ELc84ELc67EKPKdS3_KPdEEvlllT_PT11_llS8_llS6_PT12_llPT13_lli,comdat
.Lfunc_end231:
	.size	_ZN12_GLOBAL__N_135rocblas_gemm_batched_general_kernelIdLi16ELi16ELi32ELi32ELi8ELi32ELi8ELi8ELi32ELc84ELc67EKPKdS3_KPdEEvlllT_PT11_llS8_llS6_PT12_llPT13_lli, .Lfunc_end231-_ZN12_GLOBAL__N_135rocblas_gemm_batched_general_kernelIdLi16ELi16ELi32ELi32ELi8ELi32ELi8ELi8ELi32ELc84ELc67EKPKdS3_KPdEEvlllT_PT11_llS8_llS6_PT12_llPT13_lli
                                        ; -- End function
	.set _ZN12_GLOBAL__N_135rocblas_gemm_batched_general_kernelIdLi16ELi16ELi32ELi32ELi8ELi32ELi8ELi8ELi32ELc84ELc67EKPKdS3_KPdEEvlllT_PT11_llS8_llS6_PT12_llPT13_lli.num_vgpr, 58
	.set _ZN12_GLOBAL__N_135rocblas_gemm_batched_general_kernelIdLi16ELi16ELi32ELi32ELi8ELi32ELi8ELi8ELi32ELc84ELc67EKPKdS3_KPdEEvlllT_PT11_llS8_llS6_PT12_llPT13_lli.num_agpr, 0
	.set _ZN12_GLOBAL__N_135rocblas_gemm_batched_general_kernelIdLi16ELi16ELi32ELi32ELi8ELi32ELi8ELi8ELi32ELc84ELc67EKPKdS3_KPdEEvlllT_PT11_llS8_llS6_PT12_llPT13_lli.numbered_sgpr, 52
	.set _ZN12_GLOBAL__N_135rocblas_gemm_batched_general_kernelIdLi16ELi16ELi32ELi32ELi8ELi32ELi8ELi8ELi32ELc84ELc67EKPKdS3_KPdEEvlllT_PT11_llS8_llS6_PT12_llPT13_lli.num_named_barrier, 0
	.set _ZN12_GLOBAL__N_135rocblas_gemm_batched_general_kernelIdLi16ELi16ELi32ELi32ELi8ELi32ELi8ELi8ELi32ELc84ELc67EKPKdS3_KPdEEvlllT_PT11_llS8_llS6_PT12_llPT13_lli.private_seg_size, 0
	.set _ZN12_GLOBAL__N_135rocblas_gemm_batched_general_kernelIdLi16ELi16ELi32ELi32ELi8ELi32ELi8ELi8ELi32ELc84ELc67EKPKdS3_KPdEEvlllT_PT11_llS8_llS6_PT12_llPT13_lli.uses_vcc, 1
	.set _ZN12_GLOBAL__N_135rocblas_gemm_batched_general_kernelIdLi16ELi16ELi32ELi32ELi8ELi32ELi8ELi8ELi32ELc84ELc67EKPKdS3_KPdEEvlllT_PT11_llS8_llS6_PT12_llPT13_lli.uses_flat_scratch, 0
	.set _ZN12_GLOBAL__N_135rocblas_gemm_batched_general_kernelIdLi16ELi16ELi32ELi32ELi8ELi32ELi8ELi8ELi32ELc84ELc67EKPKdS3_KPdEEvlllT_PT11_llS8_llS6_PT12_llPT13_lli.has_dyn_sized_stack, 0
	.set _ZN12_GLOBAL__N_135rocblas_gemm_batched_general_kernelIdLi16ELi16ELi32ELi32ELi8ELi32ELi8ELi8ELi32ELc84ELc67EKPKdS3_KPdEEvlllT_PT11_llS8_llS6_PT12_llPT13_lli.has_recursion, 0
	.set _ZN12_GLOBAL__N_135rocblas_gemm_batched_general_kernelIdLi16ELi16ELi32ELi32ELi8ELi32ELi8ELi8ELi32ELc84ELc67EKPKdS3_KPdEEvlllT_PT11_llS8_llS6_PT12_llPT13_lli.has_indirect_call, 0
	.section	.AMDGPU.csdata,"",@progbits
; Kernel info:
; codeLenInByte = 1640
; TotalNumSgprs: 58
; NumVgprs: 58
; NumAgprs: 0
; TotalNumVgprs: 58
; ScratchSize: 0
; MemoryBound: 0
; FloatMode: 240
; IeeeMode: 1
; LDSByteSize: 4096 bytes/workgroup (compile time only)
; SGPRBlocks: 7
; VGPRBlocks: 7
; NumSGPRsForWavesPerEU: 58
; NumVGPRsForWavesPerEU: 58
; AccumOffset: 60
; Occupancy: 8
; WaveLimiterHint : 1
; COMPUTE_PGM_RSRC2:SCRATCH_EN: 0
; COMPUTE_PGM_RSRC2:USER_SGPR: 2
; COMPUTE_PGM_RSRC2:TRAP_HANDLER: 0
; COMPUTE_PGM_RSRC2:TGID_X_EN: 1
; COMPUTE_PGM_RSRC2:TGID_Y_EN: 1
; COMPUTE_PGM_RSRC2:TGID_Z_EN: 1
; COMPUTE_PGM_RSRC2:TIDIG_COMP_CNT: 1
; COMPUTE_PGM_RSRC3_GFX90A:ACCUM_OFFSET: 14
; COMPUTE_PGM_RSRC3_GFX90A:TG_SPLIT: 0
	.section	.text._ZN12_GLOBAL__N_125rocblas_gemm_scale_kernelILi32ELi32E19rocblas_complex_numIfEPKPS2_EEviiT1_T2_llli,"axG",@progbits,_ZN12_GLOBAL__N_125rocblas_gemm_scale_kernelILi32ELi32E19rocblas_complex_numIfEPKPS2_EEviiT1_T2_llli,comdat
	.globl	_ZN12_GLOBAL__N_125rocblas_gemm_scale_kernelILi32ELi32E19rocblas_complex_numIfEPKPS2_EEviiT1_T2_llli ; -- Begin function _ZN12_GLOBAL__N_125rocblas_gemm_scale_kernelILi32ELi32E19rocblas_complex_numIfEPKPS2_EEviiT1_T2_llli
	.p2align	8
	.type	_ZN12_GLOBAL__N_125rocblas_gemm_scale_kernelILi32ELi32E19rocblas_complex_numIfEPKPS2_EEviiT1_T2_llli,@function
_ZN12_GLOBAL__N_125rocblas_gemm_scale_kernelILi32ELi32E19rocblas_complex_numIfEPKPS2_EEviiT1_T2_llli: ; @_ZN12_GLOBAL__N_125rocblas_gemm_scale_kernelILi32ELi32E19rocblas_complex_numIfEPKPS2_EEviiT1_T2_llli
; %bb.0:
	s_load_dwordx4 s[8:11], s[0:1], 0x0
	v_and_b32_e32 v1, 0x3ff, v0
	v_bfe_u32 v0, v0, 10, 10
	v_lshl_add_u32 v2, s2, 5, v1
	v_lshl_add_u32 v0, s3, 5, v0
	s_waitcnt lgkmcnt(0)
	v_cmp_gt_u32_e32 vcc, s8, v2
	v_cmp_gt_u32_e64 s[2:3], s9, v0
	s_and_b64 s[2:3], vcc, s[2:3]
	s_and_saveexec_b64 s[6:7], s[2:3]
	s_cbranch_execz .LBB232_4
; %bb.1:
	s_load_dwordx4 s[12:15], s[0:1], 0x10
	s_load_dwordx2 s[2:3], s[0:1], 0x20
	s_mov_b32 s5, 0
	s_lshl_b64 s[0:1], s[4:5], 3
	v_mov_b32_e32 v3, 0
	s_waitcnt lgkmcnt(0)
	s_add_u32 s0, s12, s0
	s_addc_u32 s1, s13, s1
	s_load_dwordx2 s[0:1], s[0:1], 0x0
	v_mad_u64_u32 v[4:5], s[4:5], s2, v0, 0
	s_lshl_b64 s[4:5], s[14:15], 3
	v_mov_b32_e32 v6, v5
	s_waitcnt lgkmcnt(0)
	s_add_u32 s0, s0, s4
	s_addc_u32 s1, s1, s5
	s_or_b32 s2, s10, s11
	s_and_b32 s4, s2, 0x7fffffff
	v_mad_u64_u32 v[0:1], s[2:3], s3, v0, v[6:7]
	v_mov_b32_e32 v5, v0
	s_cmp_eq_u32 s4, 0
	v_lshl_add_u64 v[0:1], v[4:5], 3, s[0:1]
	v_mov_b32_e32 v4, v3
	v_mov_b32_e32 v5, v3
	s_cbranch_scc1 .LBB232_3
; %bb.2:
	v_lshl_add_u64 v[4:5], v[2:3], 3, v[0:1]
	flat_load_dwordx2 v[6:7], v[4:5]
	s_mov_b32 s0, s11
	s_waitcnt vmcnt(0) lgkmcnt(0)
	v_pk_mul_f32 v[8:9], v[6:7], s[0:1] op_sel:[1,0] op_sel_hi:[0,0]
	v_pk_fma_f32 v[4:5], v[6:7], s[10:11], v[8:9] neg_lo:[0,0,1] neg_hi:[0,0,1]
	v_pk_fma_f32 v[6:7], v[6:7], s[10:11], v[8:9] op_sel_hi:[1,0,1]
	s_nop 0
	v_mov_b32_e32 v5, v7
.LBB232_3:
	v_lshl_add_u64 v[0:1], v[2:3], 3, v[0:1]
	flat_store_dwordx2 v[0:1], v[4:5]
.LBB232_4:
	s_endpgm
	.section	.rodata,"a",@progbits
	.p2align	6, 0x0
	.amdhsa_kernel _ZN12_GLOBAL__N_125rocblas_gemm_scale_kernelILi32ELi32E19rocblas_complex_numIfEPKPS2_EEviiT1_T2_llli
		.amdhsa_group_segment_fixed_size 0
		.amdhsa_private_segment_fixed_size 0
		.amdhsa_kernarg_size 52
		.amdhsa_user_sgpr_count 2
		.amdhsa_user_sgpr_dispatch_ptr 0
		.amdhsa_user_sgpr_queue_ptr 0
		.amdhsa_user_sgpr_kernarg_segment_ptr 1
		.amdhsa_user_sgpr_dispatch_id 0
		.amdhsa_user_sgpr_kernarg_preload_length 0
		.amdhsa_user_sgpr_kernarg_preload_offset 0
		.amdhsa_user_sgpr_private_segment_size 0
		.amdhsa_uses_dynamic_stack 0
		.amdhsa_enable_private_segment 0
		.amdhsa_system_sgpr_workgroup_id_x 1
		.amdhsa_system_sgpr_workgroup_id_y 1
		.amdhsa_system_sgpr_workgroup_id_z 1
		.amdhsa_system_sgpr_workgroup_info 0
		.amdhsa_system_vgpr_workitem_id 1
		.amdhsa_next_free_vgpr 10
		.amdhsa_next_free_sgpr 16
		.amdhsa_accum_offset 12
		.amdhsa_reserve_vcc 1
		.amdhsa_float_round_mode_32 0
		.amdhsa_float_round_mode_16_64 0
		.amdhsa_float_denorm_mode_32 3
		.amdhsa_float_denorm_mode_16_64 3
		.amdhsa_dx10_clamp 1
		.amdhsa_ieee_mode 1
		.amdhsa_fp16_overflow 0
		.amdhsa_tg_split 0
		.amdhsa_exception_fp_ieee_invalid_op 0
		.amdhsa_exception_fp_denorm_src 0
		.amdhsa_exception_fp_ieee_div_zero 0
		.amdhsa_exception_fp_ieee_overflow 0
		.amdhsa_exception_fp_ieee_underflow 0
		.amdhsa_exception_fp_ieee_inexact 0
		.amdhsa_exception_int_div_zero 0
	.end_amdhsa_kernel
	.section	.text._ZN12_GLOBAL__N_125rocblas_gemm_scale_kernelILi32ELi32E19rocblas_complex_numIfEPKPS2_EEviiT1_T2_llli,"axG",@progbits,_ZN12_GLOBAL__N_125rocblas_gemm_scale_kernelILi32ELi32E19rocblas_complex_numIfEPKPS2_EEviiT1_T2_llli,comdat
.Lfunc_end232:
	.size	_ZN12_GLOBAL__N_125rocblas_gemm_scale_kernelILi32ELi32E19rocblas_complex_numIfEPKPS2_EEviiT1_T2_llli, .Lfunc_end232-_ZN12_GLOBAL__N_125rocblas_gemm_scale_kernelILi32ELi32E19rocblas_complex_numIfEPKPS2_EEviiT1_T2_llli
                                        ; -- End function
	.set _ZN12_GLOBAL__N_125rocblas_gemm_scale_kernelILi32ELi32E19rocblas_complex_numIfEPKPS2_EEviiT1_T2_llli.num_vgpr, 10
	.set _ZN12_GLOBAL__N_125rocblas_gemm_scale_kernelILi32ELi32E19rocblas_complex_numIfEPKPS2_EEviiT1_T2_llli.num_agpr, 0
	.set _ZN12_GLOBAL__N_125rocblas_gemm_scale_kernelILi32ELi32E19rocblas_complex_numIfEPKPS2_EEviiT1_T2_llli.numbered_sgpr, 16
	.set _ZN12_GLOBAL__N_125rocblas_gemm_scale_kernelILi32ELi32E19rocblas_complex_numIfEPKPS2_EEviiT1_T2_llli.num_named_barrier, 0
	.set _ZN12_GLOBAL__N_125rocblas_gemm_scale_kernelILi32ELi32E19rocblas_complex_numIfEPKPS2_EEviiT1_T2_llli.private_seg_size, 0
	.set _ZN12_GLOBAL__N_125rocblas_gemm_scale_kernelILi32ELi32E19rocblas_complex_numIfEPKPS2_EEviiT1_T2_llli.uses_vcc, 1
	.set _ZN12_GLOBAL__N_125rocblas_gemm_scale_kernelILi32ELi32E19rocblas_complex_numIfEPKPS2_EEviiT1_T2_llli.uses_flat_scratch, 0
	.set _ZN12_GLOBAL__N_125rocblas_gemm_scale_kernelILi32ELi32E19rocblas_complex_numIfEPKPS2_EEviiT1_T2_llli.has_dyn_sized_stack, 0
	.set _ZN12_GLOBAL__N_125rocblas_gemm_scale_kernelILi32ELi32E19rocblas_complex_numIfEPKPS2_EEviiT1_T2_llli.has_recursion, 0
	.set _ZN12_GLOBAL__N_125rocblas_gemm_scale_kernelILi32ELi32E19rocblas_complex_numIfEPKPS2_EEviiT1_T2_llli.has_indirect_call, 0
	.section	.AMDGPU.csdata,"",@progbits
; Kernel info:
; codeLenInByte = 268
; TotalNumSgprs: 22
; NumVgprs: 10
; NumAgprs: 0
; TotalNumVgprs: 10
; ScratchSize: 0
; MemoryBound: 0
; FloatMode: 240
; IeeeMode: 1
; LDSByteSize: 0 bytes/workgroup (compile time only)
; SGPRBlocks: 2
; VGPRBlocks: 1
; NumSGPRsForWavesPerEU: 22
; NumVGPRsForWavesPerEU: 10
; AccumOffset: 12
; Occupancy: 8
; WaveLimiterHint : 1
; COMPUTE_PGM_RSRC2:SCRATCH_EN: 0
; COMPUTE_PGM_RSRC2:USER_SGPR: 2
; COMPUTE_PGM_RSRC2:TRAP_HANDLER: 0
; COMPUTE_PGM_RSRC2:TGID_X_EN: 1
; COMPUTE_PGM_RSRC2:TGID_Y_EN: 1
; COMPUTE_PGM_RSRC2:TGID_Z_EN: 1
; COMPUTE_PGM_RSRC2:TIDIG_COMP_CNT: 1
; COMPUTE_PGM_RSRC3_GFX90A:ACCUM_OFFSET: 2
; COMPUTE_PGM_RSRC3_GFX90A:TG_SPLIT: 0
	.section	.text._ZN12_GLOBAL__N_120gemm_ex_scale_kernelILi32ELi32E19rocblas_complex_numIfEPKPKS2_PKPS2_EEviiT1_T2_lllT3_llli,"axG",@progbits,_ZN12_GLOBAL__N_120gemm_ex_scale_kernelILi32ELi32E19rocblas_complex_numIfEPKPKS2_PKPS2_EEviiT1_T2_lllT3_llli,comdat
	.globl	_ZN12_GLOBAL__N_120gemm_ex_scale_kernelILi32ELi32E19rocblas_complex_numIfEPKPKS2_PKPS2_EEviiT1_T2_lllT3_llli ; -- Begin function _ZN12_GLOBAL__N_120gemm_ex_scale_kernelILi32ELi32E19rocblas_complex_numIfEPKPKS2_PKPS2_EEviiT1_T2_lllT3_llli
	.p2align	8
	.type	_ZN12_GLOBAL__N_120gemm_ex_scale_kernelILi32ELi32E19rocblas_complex_numIfEPKPKS2_PKPS2_EEviiT1_T2_lllT3_llli,@function
_ZN12_GLOBAL__N_120gemm_ex_scale_kernelILi32ELi32E19rocblas_complex_numIfEPKPKS2_PKPS2_EEviiT1_T2_lllT3_llli: ; @_ZN12_GLOBAL__N_120gemm_ex_scale_kernelILi32ELi32E19rocblas_complex_numIfEPKPKS2_PKPS2_EEviiT1_T2_lllT3_llli
; %bb.0:
	s_load_dwordx8 s[8:15], s[0:1], 0x0
	s_load_dwordx2 s[6:7], s[0:1], 0x20
	s_mov_b32 s5, 0
	s_waitcnt lgkmcnt(0)
	v_cmp_neq_f32_e64 s[16:17], s11, 0
	v_cmp_neq_f32_e64 s[18:19], s10, 0
	s_or_b64 s[16:17], s[18:19], s[16:17]
	s_andn2_b64 vcc, exec, s[16:17]
	s_mov_b64 s[16:17], 0
	s_cbranch_vccnz .LBB233_2
; %bb.1:
	s_lshl_b64 s[16:17], s[4:5], 3
	s_add_u32 s12, s12, s16
	s_addc_u32 s13, s13, s17
	s_load_dwordx2 s[12:13], s[12:13], 0x0
	s_lshl_b64 s[14:15], s[14:15], 3
	s_waitcnt lgkmcnt(0)
	s_add_u32 s16, s12, s14
	s_addc_u32 s17, s13, s15
.LBB233_2:
	v_and_b32_e32 v1, 0x3ff, v0
	v_bfe_u32 v0, v0, 10, 10
	v_lshl_add_u32 v2, s2, 5, v1
	v_lshl_add_u32 v6, s3, 5, v0
	v_cmp_gt_u32_e32 vcc, s8, v2
	v_cmp_gt_u32_e64 s[2:3], s9, v6
	s_and_b64 s[2:3], vcc, s[2:3]
	s_and_saveexec_b64 s[8:9], s[2:3]
	s_cbranch_execz .LBB233_8
; %bb.3:
	s_load_dwordx4 s[12:15], s[0:1], 0x30
	s_load_dwordx2 s[2:3], s[0:1], 0x40
	s_lshl_b64 s[0:1], s[4:5], 3
	v_mov_b32_e32 v3, 0
	s_waitcnt lgkmcnt(0)
	s_add_u32 s0, s12, s0
	s_addc_u32 s1, s13, s1
	s_load_dwordx2 s[0:1], s[0:1], 0x0
	s_or_b32 s4, s10, s11
	s_bitset0_b32 s4, 31
	s_cmp_lg_u32 s4, 0
	s_cbranch_scc1 .LBB233_5
; %bb.4:
	v_mov_b32_e32 v1, 0
	v_mov_b32_e32 v0, v2
	;; [unrolled: 1-line block ×3, first 2 shown]
	s_cbranch_execz .LBB233_6
	s_branch .LBB233_7
.LBB233_5:
	v_mov_b64_e32 v[0:1], v[2:3]
	v_mov_b32_e32 v5, 0
.LBB233_6:
	v_mad_u64_u32 v[4:5], s[4:5], s6, v6, 0
	v_mov_b32_e32 v8, v5
	v_mad_u64_u32 v[8:9], s[4:5], s7, v6, v[8:9]
	v_mov_b32_e32 v5, v8
	v_lshl_add_u64 v[4:5], v[4:5], 3, s[16:17]
	v_lshl_add_u64 v[2:3], v[2:3], 3, v[4:5]
	flat_load_dwordx2 v[2:3], v[2:3]
	s_waitcnt vmcnt(0) lgkmcnt(0)
	v_pk_mul_f32 v[4:5], v[2:3], s[10:11] op_sel:[1,1] op_sel_hi:[0,1]
	v_pk_fma_f32 v[8:9], v[2:3], s[10:11], v[4:5] neg_lo:[0,0,1] neg_hi:[0,0,1]
	v_pk_fma_f32 v[4:5], v[2:3], s[10:11], v[4:5] op_sel_hi:[1,0,1]
	v_mov_b32_e32 v3, v8
.LBB233_7:
	s_lshl_b64 s[4:5], s[14:15], 3
	s_waitcnt lgkmcnt(0)
	s_add_u32 s0, s0, s4
	s_addc_u32 s1, s1, s5
	v_mov_b32_e32 v4, v3
	v_mad_u64_u32 v[2:3], s[4:5], s2, v6, 0
	v_mov_b32_e32 v8, v3
	v_mad_u64_u32 v[6:7], s[2:3], s3, v6, v[8:9]
	v_mov_b32_e32 v3, v6
	v_lshl_add_u64 v[2:3], v[2:3], 3, s[0:1]
	v_lshl_add_u64 v[0:1], v[0:1], 3, v[2:3]
	flat_store_dwordx2 v[0:1], v[4:5]
.LBB233_8:
	s_endpgm
	.section	.rodata,"a",@progbits
	.p2align	6, 0x0
	.amdhsa_kernel _ZN12_GLOBAL__N_120gemm_ex_scale_kernelILi32ELi32E19rocblas_complex_numIfEPKPKS2_PKPS2_EEviiT1_T2_lllT3_llli
		.amdhsa_group_segment_fixed_size 0
		.amdhsa_private_segment_fixed_size 0
		.amdhsa_kernarg_size 84
		.amdhsa_user_sgpr_count 2
		.amdhsa_user_sgpr_dispatch_ptr 0
		.amdhsa_user_sgpr_queue_ptr 0
		.amdhsa_user_sgpr_kernarg_segment_ptr 1
		.amdhsa_user_sgpr_dispatch_id 0
		.amdhsa_user_sgpr_kernarg_preload_length 0
		.amdhsa_user_sgpr_kernarg_preload_offset 0
		.amdhsa_user_sgpr_private_segment_size 0
		.amdhsa_uses_dynamic_stack 0
		.amdhsa_enable_private_segment 0
		.amdhsa_system_sgpr_workgroup_id_x 1
		.amdhsa_system_sgpr_workgroup_id_y 1
		.amdhsa_system_sgpr_workgroup_id_z 1
		.amdhsa_system_sgpr_workgroup_info 0
		.amdhsa_system_vgpr_workitem_id 1
		.amdhsa_next_free_vgpr 10
		.amdhsa_next_free_sgpr 20
		.amdhsa_accum_offset 12
		.amdhsa_reserve_vcc 1
		.amdhsa_float_round_mode_32 0
		.amdhsa_float_round_mode_16_64 0
		.amdhsa_float_denorm_mode_32 3
		.amdhsa_float_denorm_mode_16_64 3
		.amdhsa_dx10_clamp 1
		.amdhsa_ieee_mode 1
		.amdhsa_fp16_overflow 0
		.amdhsa_tg_split 0
		.amdhsa_exception_fp_ieee_invalid_op 0
		.amdhsa_exception_fp_denorm_src 0
		.amdhsa_exception_fp_ieee_div_zero 0
		.amdhsa_exception_fp_ieee_overflow 0
		.amdhsa_exception_fp_ieee_underflow 0
		.amdhsa_exception_fp_ieee_inexact 0
		.amdhsa_exception_int_div_zero 0
	.end_amdhsa_kernel
	.section	.text._ZN12_GLOBAL__N_120gemm_ex_scale_kernelILi32ELi32E19rocblas_complex_numIfEPKPKS2_PKPS2_EEviiT1_T2_lllT3_llli,"axG",@progbits,_ZN12_GLOBAL__N_120gemm_ex_scale_kernelILi32ELi32E19rocblas_complex_numIfEPKPKS2_PKPS2_EEviiT1_T2_lllT3_llli,comdat
.Lfunc_end233:
	.size	_ZN12_GLOBAL__N_120gemm_ex_scale_kernelILi32ELi32E19rocblas_complex_numIfEPKPKS2_PKPS2_EEviiT1_T2_lllT3_llli, .Lfunc_end233-_ZN12_GLOBAL__N_120gemm_ex_scale_kernelILi32ELi32E19rocblas_complex_numIfEPKPKS2_PKPS2_EEviiT1_T2_lllT3_llli
                                        ; -- End function
	.set _ZN12_GLOBAL__N_120gemm_ex_scale_kernelILi32ELi32E19rocblas_complex_numIfEPKPKS2_PKPS2_EEviiT1_T2_lllT3_llli.num_vgpr, 10
	.set _ZN12_GLOBAL__N_120gemm_ex_scale_kernelILi32ELi32E19rocblas_complex_numIfEPKPKS2_PKPS2_EEviiT1_T2_lllT3_llli.num_agpr, 0
	.set _ZN12_GLOBAL__N_120gemm_ex_scale_kernelILi32ELi32E19rocblas_complex_numIfEPKPKS2_PKPS2_EEviiT1_T2_lllT3_llli.numbered_sgpr, 20
	.set _ZN12_GLOBAL__N_120gemm_ex_scale_kernelILi32ELi32E19rocblas_complex_numIfEPKPKS2_PKPS2_EEviiT1_T2_lllT3_llli.num_named_barrier, 0
	.set _ZN12_GLOBAL__N_120gemm_ex_scale_kernelILi32ELi32E19rocblas_complex_numIfEPKPKS2_PKPS2_EEviiT1_T2_lllT3_llli.private_seg_size, 0
	.set _ZN12_GLOBAL__N_120gemm_ex_scale_kernelILi32ELi32E19rocblas_complex_numIfEPKPKS2_PKPS2_EEviiT1_T2_lllT3_llli.uses_vcc, 1
	.set _ZN12_GLOBAL__N_120gemm_ex_scale_kernelILi32ELi32E19rocblas_complex_numIfEPKPKS2_PKPS2_EEviiT1_T2_lllT3_llli.uses_flat_scratch, 0
	.set _ZN12_GLOBAL__N_120gemm_ex_scale_kernelILi32ELi32E19rocblas_complex_numIfEPKPKS2_PKPS2_EEviiT1_T2_lllT3_llli.has_dyn_sized_stack, 0
	.set _ZN12_GLOBAL__N_120gemm_ex_scale_kernelILi32ELi32E19rocblas_complex_numIfEPKPKS2_PKPS2_EEviiT1_T2_lllT3_llli.has_recursion, 0
	.set _ZN12_GLOBAL__N_120gemm_ex_scale_kernelILi32ELi32E19rocblas_complex_numIfEPKPKS2_PKPS2_EEviiT1_T2_lllT3_llli.has_indirect_call, 0
	.section	.AMDGPU.csdata,"",@progbits
; Kernel info:
; codeLenInByte = 388
; TotalNumSgprs: 26
; NumVgprs: 10
; NumAgprs: 0
; TotalNumVgprs: 10
; ScratchSize: 0
; MemoryBound: 0
; FloatMode: 240
; IeeeMode: 1
; LDSByteSize: 0 bytes/workgroup (compile time only)
; SGPRBlocks: 3
; VGPRBlocks: 1
; NumSGPRsForWavesPerEU: 26
; NumVGPRsForWavesPerEU: 10
; AccumOffset: 12
; Occupancy: 8
; WaveLimiterHint : 1
; COMPUTE_PGM_RSRC2:SCRATCH_EN: 0
; COMPUTE_PGM_RSRC2:USER_SGPR: 2
; COMPUTE_PGM_RSRC2:TRAP_HANDLER: 0
; COMPUTE_PGM_RSRC2:TGID_X_EN: 1
; COMPUTE_PGM_RSRC2:TGID_Y_EN: 1
; COMPUTE_PGM_RSRC2:TGID_Z_EN: 1
; COMPUTE_PGM_RSRC2:TIDIG_COMP_CNT: 1
; COMPUTE_PGM_RSRC3_GFX90A:ACCUM_OFFSET: 2
; COMPUTE_PGM_RSRC3_GFX90A:TG_SPLIT: 0
	.section	.text._ZN12_GLOBAL__N_127rocblas_gemm_batched_kernelI19rocblas_complex_numIfELi16ELi16ELi64ELi64ELi4ELi64ELi4ELi4ELi64ELc78ELc78EKPKS2_S5_KPS2_EEvlllT_PT11_llSA_llS8_PT12_llPT13_lli,"axG",@progbits,_ZN12_GLOBAL__N_127rocblas_gemm_batched_kernelI19rocblas_complex_numIfELi16ELi16ELi64ELi64ELi4ELi64ELi4ELi4ELi64ELc78ELc78EKPKS2_S5_KPS2_EEvlllT_PT11_llSA_llS8_PT12_llPT13_lli,comdat
	.globl	_ZN12_GLOBAL__N_127rocblas_gemm_batched_kernelI19rocblas_complex_numIfELi16ELi16ELi64ELi64ELi4ELi64ELi4ELi4ELi64ELc78ELc78EKPKS2_S5_KPS2_EEvlllT_PT11_llSA_llS8_PT12_llPT13_lli ; -- Begin function _ZN12_GLOBAL__N_127rocblas_gemm_batched_kernelI19rocblas_complex_numIfELi16ELi16ELi64ELi64ELi4ELi64ELi4ELi4ELi64ELc78ELc78EKPKS2_S5_KPS2_EEvlllT_PT11_llSA_llS8_PT12_llPT13_lli
	.p2align	8
	.type	_ZN12_GLOBAL__N_127rocblas_gemm_batched_kernelI19rocblas_complex_numIfELi16ELi16ELi64ELi64ELi4ELi64ELi4ELi4ELi64ELc78ELc78EKPKS2_S5_KPS2_EEvlllT_PT11_llSA_llS8_PT12_llPT13_lli,@function
_ZN12_GLOBAL__N_127rocblas_gemm_batched_kernelI19rocblas_complex_numIfELi16ELi16ELi64ELi64ELi4ELi64ELi4ELi4ELi64ELc78ELc78EKPKS2_S5_KPS2_EEvlllT_PT11_llSA_llS8_PT12_llPT13_lli: ; @_ZN12_GLOBAL__N_127rocblas_gemm_batched_kernelI19rocblas_complex_numIfELi16ELi16ELi64ELi64ELi4ELi64ELi4ELi4ELi64ELc78ELc78EKPKS2_S5_KPS2_EEvlllT_PT11_llSA_llS8_PT12_llPT13_lli
; %bb.0:
	s_load_dwordx16 s[8:23], s[0:1], 0x10
	s_load_dwordx4 s[36:39], s[0:1], 0x78
	s_load_dwordx8 s[24:31], s[0:1], 0x58
	s_load_dwordx2 s[6:7], s[0:1], 0x50
	s_mov_b32 s5, 0
	s_lshl_b64 s[34:35], s[4:5], 3
	s_mov_b32 s40, s3
	s_waitcnt lgkmcnt(0)
	s_add_u32 s0, s24, s34
	s_addc_u32 s1, s25, s35
	s_add_u32 s4, s30, s34
	s_addc_u32 s5, s31, s35
	s_load_dwordx2 s[0:1], s[0:1], 0x0
	v_mov_b32_e32 v39, 0
	s_load_dwordx2 s[4:5], s[4:5], 0x0
	s_ashr_i32 s3, s2, 31
	s_ashr_i32 s41, s40, 31
	v_cmp_lt_i64_e64 s[30:31], s[8:9], 1
	v_bfe_u32 v38, v0, 10, 10
	v_and_b32_e32 v36, 0x3ff, v0
	v_mov_b32_e32 v37, v39
	s_lshl_b64 s[2:3], s[2:3], 6
	s_lshl_b64 s[24:25], s[40:41], 6
	s_and_b64 vcc, exec, s[30:31]
	v_mov_b32_e32 v59, v39
	v_mov_b32_e32 v58, v39
	;; [unrolled: 1-line block ×32, first 2 shown]
	s_cbranch_vccnz .LBB234_3
; %bb.1:
	s_add_u32 s12, s12, s34
	s_addc_u32 s13, s13, s35
	s_load_dwordx2 s[12:13], s[12:13], 0x0
	v_lshl_add_u32 v4, v38, 4, v36
	v_lshrrev_b32_e32 v9, 6, v4
	v_mov_b64_e32 v[6:7], s[2:3]
	v_and_b32_e32 v2, 63, v4
	v_mad_u64_u32 v[6:7], s[30:31], s14, v9, v[6:7]
	s_add_u32 s18, s18, s34
	v_lshrrev_b32_e32 v40, 2, v4
	v_lshlrev_b32_e32 v4, 3, v2
	v_mov_b32_e32 v8, v7
	s_addc_u32 s19, s19, s35
	v_mov_b32_e32 v41, 0
	v_lshl_or_b32 v43, v9, 9, v4
	s_lshl_b64 s[16:17], s[16:17], 3
	v_mad_u64_u32 v[8:9], s[30:31], s15, v9, v[8:9]
	v_and_b32_e32 v5, 3, v36
	v_mov_b32_e32 v3, v41
	v_mov_b32_e32 v7, v8
	s_waitcnt lgkmcnt(0)
	s_add_u32 s12, s12, s16
	s_load_dwordx2 s[18:19], s[18:19], 0x0
	v_lshl_add_u64 v[0:1], v[40:41], 0, s[24:25]
	v_lshlrev_b32_e32 v4, 3, v5
	v_lshl_add_u64 v[2:3], v[6:7], 0, v[2:3]
	s_addc_u32 s13, s13, s17
	v_lshl_or_b32 v5, v40, 5, v4
	v_lshl_add_u64 v[46:47], v[2:3], 3, s[12:13]
	s_lshl_b64 s[12:13], s[14:15], 5
	v_mul_lo_u32 v2, s21, v0
	v_mul_lo_u32 v3, s20, v1
	v_mad_u64_u32 v[0:1], s[14:15], s20, v0, 0
	v_add_u32_e32 v45, 0x800, v5
	v_mov_b32_e32 v5, 0x800
	v_add3_u32 v1, v1, v3, v2
	s_lshl_b64 s[14:15], s[22:23], 3
	v_lshl_add_u32 v51, v38, 5, v5
	v_lshl_add_u64 v[0:1], v[0:1], 3, s[14:15]
	v_mov_b32_e32 v5, v41
	v_lshl_add_u64 v[0:1], v[0:1], 0, v[4:5]
	v_lshlrev_b32_e32 v49, 3, v36
	s_waitcnt lgkmcnt(0)
	v_lshl_add_u64 v[52:53], s[18:19], 0, v[0:1]
	s_mov_b64 s[14:15], 0
	v_mov_b64_e32 v[54:55], s[8:9]
	v_mov_b32_e32 v40, v41
	v_mov_b32_e32 v44, v41
	;; [unrolled: 1-line block ×31, first 2 shown]
.LBB234_2:                              ; =>This Inner Loop Header: Depth=1
	flat_load_dwordx2 v[0:1], v[46:47]
	s_add_u32 s14, s14, 4
	s_addc_u32 s15, s15, 0
	v_cmp_lt_i64_e32 vcc, s[14:15], v[54:55]
	v_lshl_add_u64 v[46:47], v[46:47], 0, s[12:13]
	s_and_b64 vcc, exec, vcc
	s_waitcnt vmcnt(0) lgkmcnt(0)
	ds_write_b64 v43, v[0:1]
	flat_load_dwordx2 v[0:1], v[52:53]
	v_lshl_add_u64 v[52:53], v[52:53], 0, 32
	s_waitcnt vmcnt(0) lgkmcnt(0)
	ds_write_b64 v45, v[0:1]
	s_waitcnt lgkmcnt(0)
	s_barrier
	ds_read_b128 v[0:3], v51
	ds_read_b128 v[32:35], v51 offset:16
	ds_read2_b64 v[8:11], v49 offset1:16
	ds_read2_b64 v[12:15], v49 offset0:32 offset1:48
	s_waitcnt lgkmcnt(1)
	v_mul_f32_e32 v4, v1, v9
	v_fma_f32 v4, v0, v8, -v4
	v_mul_f32_e32 v5, v0, v9
	v_add_f32_e32 v20, v102, v4
	v_mul_f32_e32 v4, v1, v11
	v_fmac_f32_e32 v5, v1, v8
	v_fma_f32 v4, v0, v10, -v4
	v_add_f32_e32 v21, v104, v5
	v_mul_f32_e32 v5, v0, v11
	v_add_f32_e32 v22, v98, v4
	s_waitcnt lgkmcnt(0)
	v_mul_f32_e32 v4, v1, v13
	v_fmac_f32_e32 v5, v1, v10
	v_fma_f32 v4, v0, v12, -v4
	v_add_f32_e32 v23, v100, v5
	v_mul_f32_e32 v5, v0, v13
	v_add_f32_e32 v57, v94, v4
	v_mul_f32_e32 v4, v1, v15
	v_fmac_f32_e32 v5, v1, v12
	v_fma_f32 v4, v0, v14, -v4
	v_mul_f32_e32 v0, v0, v15
	v_add_f32_e32 v61, v96, v5
	v_fmac_f32_e32 v0, v1, v14
	v_add_f32_e32 v1, v90, v4
	ds_read_b128 v[4:7], v51 offset:512
	ds_read_b128 v[104:107], v51 offset:1040
	v_add_f32_e32 v0, v92, v0
	s_waitcnt lgkmcnt(1)
	v_mul_f32_e32 v16, v5, v9
	v_fma_f32 v16, v4, v8, -v16
	v_mul_f32_e32 v17, v4, v9
	v_add_f32_e32 v63, v86, v16
	v_mul_f32_e32 v16, v5, v11
	v_fmac_f32_e32 v17, v5, v8
	v_fma_f32 v16, v4, v10, -v16
	v_add_f32_e32 v65, v88, v17
	v_mul_f32_e32 v17, v4, v11
	v_add_f32_e32 v67, v82, v16
	v_mul_f32_e32 v16, v5, v13
	v_fmac_f32_e32 v17, v5, v10
	v_fma_f32 v16, v4, v12, -v16
	v_add_f32_e32 v69, v84, v17
	v_mul_f32_e32 v17, v4, v13
	v_add_f32_e32 v71, v78, v16
	v_mul_f32_e32 v16, v5, v15
	v_fmac_f32_e32 v17, v5, v12
	v_fma_f32 v16, v4, v14, -v16
	v_mul_f32_e32 v4, v4, v15
	v_add_f32_e32 v73, v80, v17
	v_fmac_f32_e32 v4, v5, v14
	v_add_f32_e32 v5, v74, v16
	ds_read_b128 v[16:19], v51 offset:1024
	v_add_f32_e32 v4, v76, v4
	s_waitcnt lgkmcnt(0)
	v_mul_f32_e32 v24, v17, v9
	v_fma_f32 v24, v16, v8, -v24
	v_mul_f32_e32 v25, v16, v9
	v_add_f32_e32 v70, v70, v24
	v_mul_f32_e32 v24, v17, v11
	v_fmac_f32_e32 v25, v17, v8
	v_fma_f32 v24, v16, v10, -v24
	v_add_f32_e32 v72, v72, v25
	v_mul_f32_e32 v25, v16, v11
	v_add_f32_e32 v66, v66, v24
	v_mul_f32_e32 v24, v17, v13
	v_fmac_f32_e32 v25, v17, v10
	v_fma_f32 v24, v16, v12, -v24
	v_add_f32_e32 v68, v68, v25
	v_mul_f32_e32 v25, v16, v13
	v_add_f32_e32 v62, v62, v24
	v_mul_f32_e32 v24, v17, v15
	v_fmac_f32_e32 v25, v17, v12
	v_fma_f32 v24, v16, v14, -v24
	v_mul_f32_e32 v16, v16, v15
	v_add_f32_e32 v64, v64, v25
	v_fmac_f32_e32 v16, v17, v14
	v_add_f32_e32 v17, v56, v24
	ds_read2_b64 v[24:27], v49 offset0:64 offset1:80
	v_add_f32_e32 v16, v60, v16
	s_waitcnt lgkmcnt(0)
	v_mul_f32_e32 v28, v3, v25
	v_mul_f32_e32 v29, v2, v25
	v_fma_f32 v28, v2, v24, -v28
	v_fmac_f32_e32 v29, v3, v24
	v_add_f32_e32 v20, v20, v28
	v_add_f32_e32 v21, v21, v29
	v_mul_f32_e32 v28, v3, v27
	v_mul_f32_e32 v29, v2, v27
	v_fma_f32 v28, v2, v26, -v28
	v_fmac_f32_e32 v29, v3, v26
	v_add_f32_e32 v22, v22, v28
	v_add_f32_e32 v23, v23, v29
	ds_read2_b64 v[28:31], v49 offset0:96 offset1:112
	s_waitcnt lgkmcnt(0)
	v_mul_f32_e32 v56, v3, v29
	v_mul_f32_e32 v60, v2, v29
	v_fma_f32 v56, v2, v28, -v56
	v_fmac_f32_e32 v60, v3, v28
	v_add_f32_e32 v56, v57, v56
	v_add_f32_e32 v57, v61, v60
	v_mul_f32_e32 v60, v3, v31
	v_fma_f32 v60, v2, v30, -v60
	v_mul_f32_e32 v2, v2, v31
	v_fmac_f32_e32 v2, v3, v30
	v_add_f32_e32 v60, v1, v60
	v_add_f32_e32 v61, v0, v2
	v_mul_f32_e32 v0, v7, v25
	v_mul_f32_e32 v1, v6, v25
	v_fma_f32 v0, v6, v24, -v0
	v_fmac_f32_e32 v1, v7, v24
	v_add_f32_e32 v74, v63, v0
	v_add_f32_e32 v65, v65, v1
	v_mul_f32_e32 v0, v7, v27
	v_mul_f32_e32 v1, v6, v27
	v_fma_f32 v0, v6, v26, -v0
	v_fmac_f32_e32 v1, v7, v26
	v_add_f32_e32 v67, v67, v0
	v_add_f32_e32 v69, v69, v1
	v_mul_f32_e32 v0, v7, v29
	v_mul_f32_e32 v1, v6, v29
	v_fma_f32 v0, v6, v28, -v0
	v_fmac_f32_e32 v1, v7, v28
	v_add_f32_e32 v71, v71, v0
	v_add_f32_e32 v73, v73, v1
	v_mul_f32_e32 v0, v7, v31
	v_mul_f32_e32 v1, v6, v31
	v_fma_f32 v0, v6, v30, -v0
	v_fmac_f32_e32 v1, v7, v30
	v_add_f32_e32 v75, v5, v0
	v_add_f32_e32 v76, v4, v1
	v_mul_f32_e32 v0, v19, v25
	v_mul_f32_e32 v1, v18, v25
	v_fma_f32 v0, v18, v24, -v0
	v_fmac_f32_e32 v1, v19, v24
	v_add_f32_e32 v70, v70, v0
	v_add_f32_e32 v72, v72, v1
	v_mul_f32_e32 v0, v19, v27
	v_mul_f32_e32 v1, v18, v27
	v_fma_f32 v0, v18, v26, -v0
	v_fmac_f32_e32 v1, v19, v26
	ds_read2_b64 v[4:7], v49 offset0:128 offset1:144
	v_add_f32_e32 v66, v66, v0
	v_add_f32_e32 v68, v68, v1
	v_mul_f32_e32 v0, v19, v29
	v_mul_f32_e32 v1, v18, v29
	v_fma_f32 v0, v18, v28, -v0
	v_fmac_f32_e32 v1, v19, v28
	v_add_f32_e32 v77, v62, v0
	v_add_f32_e32 v64, v64, v1
	v_mul_f32_e32 v0, v19, v31
	v_mul_f32_e32 v1, v18, v31
	v_fma_f32 v0, v18, v30, -v0
	v_fmac_f32_e32 v1, v19, v30
	v_add_f32_e32 v17, v17, v0
	v_add_f32_e32 v16, v16, v1
	s_waitcnt lgkmcnt(0)
	v_mul_f32_e32 v0, v33, v5
	v_mul_f32_e32 v1, v32, v5
	v_fma_f32 v0, v32, v4, -v0
	v_fmac_f32_e32 v1, v33, v4
	v_add_f32_e32 v18, v20, v0
	v_add_f32_e32 v19, v21, v1
	v_mul_f32_e32 v0, v33, v7
	v_mul_f32_e32 v1, v32, v7
	v_fma_f32 v0, v32, v6, -v0
	v_fmac_f32_e32 v1, v33, v6
	v_add_f32_e32 v78, v22, v0
	v_add_f32_e32 v79, v23, v1
	ds_read2_b64 v[0:3], v49 offset0:160 offset1:176
	s_waitcnt lgkmcnt(0)
	v_mul_f32_e32 v20, v33, v1
	v_mul_f32_e32 v21, v32, v1
	v_fma_f32 v20, v32, v0, -v20
	v_fmac_f32_e32 v21, v33, v0
	v_add_f32_e32 v56, v56, v20
	v_add_f32_e32 v57, v57, v21
	v_mul_f32_e32 v20, v33, v3
	v_mul_f32_e32 v21, v32, v3
	v_fma_f32 v20, v32, v2, -v20
	v_fmac_f32_e32 v21, v33, v2
	v_add_f32_e32 v32, v60, v20
	v_add_f32_e32 v33, v61, v21
	ds_read_b128 v[60:63], v51 offset:528
	s_waitcnt lgkmcnt(0)
	v_mul_f32_e32 v20, v61, v5
	v_mul_f32_e32 v21, v60, v5
	v_fma_f32 v20, v60, v4, -v20
	v_fmac_f32_e32 v21, v61, v4
	v_add_f32_e32 v74, v74, v20
	v_add_f32_e32 v65, v65, v21
	v_mul_f32_e32 v20, v61, v7
	v_mul_f32_e32 v21, v60, v7
	v_fma_f32 v20, v60, v6, -v20
	v_fmac_f32_e32 v21, v61, v6
	v_add_f32_e32 v67, v67, v20
	v_add_f32_e32 v69, v69, v21
	;; [unrolled: 6-line block ×8, first 2 shown]
	ds_read2_b64 v[20:23], v49 offset0:192 offset1:208
	s_waitcnt lgkmcnt(0)
	v_mul_f32_e32 v16, v35, v21
	v_mul_f32_e32 v17, v34, v21
	v_fma_f32 v16, v34, v20, -v16
	v_fmac_f32_e32 v17, v35, v20
	v_add_f32_e32 v102, v18, v16
	v_add_f32_e32 v104, v19, v17
	v_mul_f32_e32 v16, v35, v23
	v_mul_f32_e32 v17, v34, v23
	v_fma_f32 v16, v34, v22, -v16
	v_fmac_f32_e32 v17, v35, v22
	v_add_f32_e32 v98, v78, v16
	v_add_f32_e32 v100, v79, v17
	ds_read2_b64 v[16:19], v49 offset0:224 offset1:240
	s_waitcnt lgkmcnt(0)
	v_mul_f32_e32 v76, v35, v17
	v_fma_f32 v76, v34, v16, -v76
	v_add_f32_e32 v94, v56, v76
	v_mul_f32_e32 v56, v35, v19
	v_mul_f32_e32 v78, v34, v17
	v_fma_f32 v56, v34, v18, -v56
	v_mul_f32_e32 v34, v34, v19
	v_fmac_f32_e32 v34, v35, v18
	v_add_f32_e32 v90, v32, v56
	v_add_f32_e32 v92, v33, v34
	v_mul_f32_e32 v32, v63, v21
	v_mul_f32_e32 v33, v62, v21
	v_fma_f32 v32, v62, v20, -v32
	v_fmac_f32_e32 v33, v63, v20
	v_add_f32_e32 v86, v74, v32
	v_add_f32_e32 v88, v65, v33
	v_mul_f32_e32 v32, v63, v23
	v_mul_f32_e32 v33, v62, v23
	v_fma_f32 v32, v62, v22, -v32
	v_fmac_f32_e32 v33, v63, v22
	v_add_f32_e32 v82, v67, v32
	v_add_f32_e32 v84, v69, v33
	v_mul_f32_e32 v32, v63, v17
	v_mul_f32_e32 v33, v62, v17
	v_fmac_f32_e32 v78, v35, v16
	v_fma_f32 v32, v62, v16, -v32
	v_fmac_f32_e32 v33, v63, v16
	v_add_f32_e32 v96, v57, v78
	v_add_f32_e32 v78, v71, v32
	;; [unrolled: 1-line block ×3, first 2 shown]
	v_mul_f32_e32 v32, v63, v19
	v_mul_f32_e32 v33, v62, v19
	v_fma_f32 v32, v62, v18, -v32
	v_fmac_f32_e32 v33, v63, v18
	v_add_f32_e32 v74, v60, v32
	v_add_f32_e32 v76, v61, v33
	v_mul_f32_e32 v32, v107, v21
	v_mul_f32_e32 v33, v106, v21
	v_fma_f32 v32, v106, v20, -v32
	v_fmac_f32_e32 v33, v107, v20
	v_add_f32_e32 v70, v70, v32
	v_add_f32_e32 v72, v72, v33
	;; [unrolled: 6-line block ×5, first 2 shown]
	ds_read_b128 v[32:35], v51 offset:1536
	s_waitcnt lgkmcnt(0)
	v_mul_f32_e32 v57, v33, v9
	v_mul_f32_e32 v9, v32, v9
	v_fmac_f32_e32 v9, v33, v8
	v_fma_f32 v57, v32, v8, -v57
	v_add_f32_e32 v50, v50, v9
	v_mul_f32_e32 v8, v33, v11
	v_mul_f32_e32 v9, v32, v11
	v_fma_f32 v8, v32, v10, -v8
	v_fmac_f32_e32 v9, v33, v10
	v_add_f32_e32 v42, v42, v8
	v_add_f32_e32 v44, v44, v9
	v_mul_f32_e32 v8, v33, v13
	v_mul_f32_e32 v9, v32, v13
	v_fma_f32 v8, v32, v12, -v8
	v_fmac_f32_e32 v9, v33, v12
	v_add_f32_e32 v12, v40, v8
	v_add_f32_e32 v13, v41, v9
	v_pk_mul_f32 v[8:9], v[32:33], v[14:15] op_sel:[1,1] op_sel_hi:[0,1]
	v_pk_fma_f32 v[10:11], v[32:33], v[14:15], v[8:9] neg_lo:[0,0,1] neg_hi:[0,0,1]
	v_pk_fma_f32 v[8:9], v[32:33], v[14:15], v[8:9] op_sel_hi:[1,0,1]
	v_add_f32_e32 v48, v48, v57
	v_mov_b32_e32 v11, v9
	v_pk_add_f32 v[8:9], v[58:59], v[10:11]
	v_mul_f32_e32 v10, v35, v25
	v_mul_f32_e32 v11, v34, v25
	v_fma_f32 v10, v34, v24, -v10
	v_fmac_f32_e32 v11, v35, v24
	v_add_f32_e32 v32, v48, v10
	v_add_f32_e32 v33, v50, v11
	v_mul_f32_e32 v10, v35, v27
	v_mul_f32_e32 v11, v34, v27
	v_fma_f32 v10, v34, v26, -v10
	v_fmac_f32_e32 v11, v35, v26
	v_add_f32_e32 v24, v42, v10
	v_add_f32_e32 v25, v44, v11
	;; [unrolled: 6-line block ×3, first 2 shown]
	v_pk_mul_f32 v[10:11], v[34:35], v[30:31] op_sel:[1,1] op_sel_hi:[0,1]
	v_pk_fma_f32 v[12:13], v[34:35], v[30:31], v[10:11] neg_lo:[0,0,1] neg_hi:[0,0,1]
	v_pk_fma_f32 v[10:11], v[34:35], v[30:31], v[10:11] op_sel_hi:[1,0,1]
	s_nop 0
	v_mov_b32_e32 v13, v11
	v_pk_add_f32 v[12:13], v[8:9], v[12:13]
	ds_read_b128 v[8:11], v51 offset:1552
	s_waitcnt lgkmcnt(0)
	s_barrier
	v_mul_f32_e32 v26, v9, v5
	v_mul_f32_e32 v5, v8, v5
	v_fma_f32 v26, v8, v4, -v26
	v_fmac_f32_e32 v5, v9, v4
	v_mul_f32_e32 v4, v9, v7
	v_add_f32_e32 v27, v33, v5
	v_fma_f32 v4, v8, v6, -v4
	v_mul_f32_e32 v5, v8, v7
	v_fmac_f32_e32 v5, v9, v6
	v_add_f32_e32 v6, v24, v4
	v_mul_f32_e32 v4, v9, v1
	v_mul_f32_e32 v1, v8, v1
	v_fmac_f32_e32 v1, v9, v0
	v_fma_f32 v4, v8, v0, -v4
	v_add_f32_e32 v15, v15, v1
	v_pk_mul_f32 v[0:1], v[8:9], v[2:3] op_sel:[1,1] op_sel_hi:[0,1]
	v_add_f32_e32 v7, v25, v5
	v_add_f32_e32 v14, v14, v4
	v_pk_fma_f32 v[4:5], v[8:9], v[2:3], v[0:1] neg_lo:[0,0,1] neg_hi:[0,0,1]
	v_pk_fma_f32 v[0:1], v[8:9], v[2:3], v[0:1] op_sel_hi:[1,0,1]
	v_mul_f32_e32 v2, v11, v21
	v_mul_f32_e32 v3, v10, v21
	v_add_f32_e32 v26, v32, v26
	v_fma_f32 v2, v10, v20, -v2
	v_fmac_f32_e32 v3, v11, v20
	v_add_f32_e32 v48, v26, v2
	v_add_f32_e32 v50, v27, v3
	v_mul_f32_e32 v2, v11, v23
	v_mul_f32_e32 v3, v10, v23
	v_fma_f32 v2, v10, v22, -v2
	v_fmac_f32_e32 v3, v11, v22
	v_add_f32_e32 v42, v6, v2
	v_add_f32_e32 v44, v7, v3
	v_mul_f32_e32 v2, v11, v17
	v_mul_f32_e32 v3, v10, v17
	v_fma_f32 v2, v10, v16, -v2
	v_fmac_f32_e32 v3, v11, v16
	v_mov_b32_e32 v5, v1
	v_add_f32_e32 v40, v14, v2
	v_add_f32_e32 v41, v15, v3
	v_pk_mul_f32 v[2:3], v[10:11], v[18:19] op_sel:[1,1] op_sel_hi:[0,1]
	v_pk_add_f32 v[0:1], v[12:13], v[4:5]
	v_pk_fma_f32 v[4:5], v[10:11], v[18:19], v[2:3] neg_lo:[0,0,1] neg_hi:[0,0,1]
	v_pk_fma_f32 v[2:3], v[10:11], v[18:19], v[2:3] op_sel_hi:[1,0,1]
	s_nop 0
	v_mov_b32_e32 v5, v3
	v_pk_add_f32 v[58:59], v[0:1], v[4:5]
	s_cbranch_vccnz .LBB234_2
.LBB234_3:
	s_lshl_b64 s[8:9], s[38:39], 3
	s_waitcnt lgkmcnt(0)
	s_add_u32 s4, s4, s8
	s_addc_u32 s5, s5, s9
	s_or_b32 s8, s6, s7
	s_bitset0_b32 s8, 31
	v_lshl_add_u64 v[2:3], s[24:25], 0, v[38:39]
	s_cmp_lg_u32 s8, 0
	v_lshl_add_u64 v[0:1], s[2:3], 0, v[36:37]
	s_mov_b32 s2, s11
	s_mov_b32 s3, s10
	s_cbranch_scc1 .LBB234_5
; %bb.4:
	v_mul_lo_u32 v6, v3, s36
	v_mul_lo_u32 v7, v2, s37
	v_mad_u64_u32 v[4:5], s[8:9], v2, s36, 0
	v_add3_u32 v5, v5, v7, v6
	v_pk_mul_f32 v[6:7], v[104:105], s[2:3] op_sel_hi:[0,1]
	v_lshl_add_u64 v[4:5], v[4:5], 3, s[4:5]
	v_lshlrev_b64 v[8:9], 3, v[0:1]
	v_pk_fma_f32 v[12:13], v[102:103], s[2:3], v[6:7] op_sel:[0,1,0] op_sel_hi:[1,0,1] neg_lo:[0,0,1] neg_hi:[0,0,1]
	v_pk_fma_f32 v[6:7], v[102:103], s[2:3], v[6:7] op_sel:[0,1,0] op_sel_hi:[0,0,1]
	v_lshl_add_u64 v[10:11], v[4:5], 0, v[8:9]
	v_mov_b32_e32 v13, v7
	v_pk_mul_f32 v[6:7], v[100:101], s[2:3] op_sel_hi:[0,1]
	flat_store_dwordx2 v[10:11], v[12:13]
	v_pk_fma_f32 v[12:13], v[98:99], s[2:3], v[6:7] op_sel:[0,1,0] op_sel_hi:[1,0,1] neg_lo:[0,0,1] neg_hi:[0,0,1]
	v_pk_fma_f32 v[6:7], v[98:99], s[2:3], v[6:7] op_sel:[0,1,0] op_sel_hi:[0,0,1]
	v_mov_b32_e32 v13, v7
	v_pk_mul_f32 v[6:7], v[96:97], s[2:3] op_sel_hi:[0,1]
	flat_store_dwordx2 v[10:11], v[12:13] offset:128
	v_pk_fma_f32 v[12:13], v[94:95], s[2:3], v[6:7] op_sel:[0,1,0] op_sel_hi:[1,0,1] neg_lo:[0,0,1] neg_hi:[0,0,1]
	v_pk_fma_f32 v[6:7], v[94:95], s[2:3], v[6:7] op_sel:[0,1,0] op_sel_hi:[0,0,1]
	v_mov_b32_e32 v13, v7
	v_pk_mul_f32 v[6:7], v[92:93], s[2:3] op_sel_hi:[0,1]
	flat_store_dwordx2 v[10:11], v[12:13] offset:256
	v_pk_fma_f32 v[12:13], v[90:91], s[2:3], v[6:7] op_sel:[0,1,0] op_sel_hi:[1,0,1] neg_lo:[0,0,1] neg_hi:[0,0,1]
	v_pk_fma_f32 v[6:7], v[90:91], s[2:3], v[6:7] op_sel:[0,1,0] op_sel_hi:[0,0,1]
	v_mov_b32_e32 v13, v7
	s_lshl_b64 s[8:9], s[36:37], 7
	v_pk_mul_f32 v[6:7], v[88:89], s[2:3] op_sel_hi:[0,1]
	flat_store_dwordx2 v[10:11], v[12:13] offset:384
	v_lshl_add_u64 v[4:5], v[4:5], 0, s[8:9]
	v_pk_fma_f32 v[12:13], v[86:87], s[2:3], v[6:7] op_sel:[0,1,0] op_sel_hi:[1,0,1] neg_lo:[0,0,1] neg_hi:[0,0,1]
	v_pk_fma_f32 v[6:7], v[86:87], s[2:3], v[6:7] op_sel:[0,1,0] op_sel_hi:[0,0,1]
	v_lshl_add_u64 v[10:11], v[4:5], 0, v[8:9]
	v_mov_b32_e32 v13, v7
	v_pk_mul_f32 v[6:7], v[84:85], s[2:3] op_sel_hi:[0,1]
	flat_store_dwordx2 v[10:11], v[12:13]
	v_pk_fma_f32 v[12:13], v[82:83], s[2:3], v[6:7] op_sel:[0,1,0] op_sel_hi:[1,0,1] neg_lo:[0,0,1] neg_hi:[0,0,1]
	v_pk_fma_f32 v[6:7], v[82:83], s[2:3], v[6:7] op_sel:[0,1,0] op_sel_hi:[0,0,1]
	v_mov_b32_e32 v13, v7
	v_pk_mul_f32 v[6:7], v[80:81], s[2:3] op_sel_hi:[0,1]
	flat_store_dwordx2 v[10:11], v[12:13] offset:128
	v_pk_fma_f32 v[12:13], v[78:79], s[2:3], v[6:7] op_sel:[0,1,0] op_sel_hi:[1,0,1] neg_lo:[0,0,1] neg_hi:[0,0,1]
	v_pk_fma_f32 v[6:7], v[78:79], s[2:3], v[6:7] op_sel:[0,1,0] op_sel_hi:[0,0,1]
	v_mov_b32_e32 v13, v7
	v_pk_mul_f32 v[6:7], v[76:77], s[2:3] op_sel_hi:[0,1]
	flat_store_dwordx2 v[10:11], v[12:13] offset:256
	;; [unrolled: 5-line block ×3, first 2 shown]
	v_lshl_add_u64 v[4:5], v[4:5], 0, s[8:9]
	v_pk_fma_f32 v[12:13], v[70:71], s[2:3], v[6:7] op_sel:[0,1,0] op_sel_hi:[1,0,1] neg_lo:[0,0,1] neg_hi:[0,0,1]
	v_pk_fma_f32 v[6:7], v[70:71], s[2:3], v[6:7] op_sel:[0,1,0] op_sel_hi:[0,0,1]
	v_lshl_add_u64 v[10:11], v[4:5], 0, v[8:9]
	v_mov_b32_e32 v13, v7
	v_pk_mul_f32 v[6:7], v[68:69], s[2:3] op_sel_hi:[0,1]
	flat_store_dwordx2 v[10:11], v[12:13]
	v_pk_fma_f32 v[12:13], v[66:67], s[2:3], v[6:7] op_sel:[0,1,0] op_sel_hi:[1,0,1] neg_lo:[0,0,1] neg_hi:[0,0,1]
	v_pk_fma_f32 v[6:7], v[66:67], s[2:3], v[6:7] op_sel:[0,1,0] op_sel_hi:[0,0,1]
	v_mov_b32_e32 v13, v7
	v_pk_mul_f32 v[6:7], v[64:65], s[2:3] op_sel_hi:[0,1]
	flat_store_dwordx2 v[10:11], v[12:13] offset:128
	v_pk_fma_f32 v[12:13], v[62:63], s[2:3], v[6:7] op_sel:[0,1,0] op_sel_hi:[1,0,1] neg_lo:[0,0,1] neg_hi:[0,0,1]
	v_pk_fma_f32 v[6:7], v[62:63], s[2:3], v[6:7] op_sel:[0,1,0] op_sel_hi:[0,0,1]
	v_mov_b32_e32 v13, v7
	v_pk_mul_f32 v[6:7], v[60:61], s[2:3] op_sel_hi:[0,1]
	flat_store_dwordx2 v[10:11], v[12:13] offset:256
	v_pk_fma_f32 v[12:13], v[56:57], s[2:3], v[6:7] op_sel:[0,1,0] op_sel_hi:[1,0,1] neg_lo:[0,0,1] neg_hi:[0,0,1]
	v_pk_fma_f32 v[6:7], v[56:57], s[2:3], v[6:7] op_sel:[0,1,0] op_sel_hi:[0,0,1]
	v_mov_b32_e32 v13, v7
	v_lshl_add_u64 v[4:5], v[4:5], 0, s[8:9]
	v_pk_mul_f32 v[6:7], v[50:51], s[2:3] op_sel_hi:[0,1]
	v_lshl_add_u64 v[8:9], v[4:5], 0, v[8:9]
	v_pk_fma_f32 v[4:5], v[48:49], s[2:3], v[6:7] op_sel:[0,1,0] op_sel_hi:[1,0,1] neg_lo:[0,0,1] neg_hi:[0,0,1]
	v_pk_fma_f32 v[6:7], v[48:49], s[2:3], v[6:7] op_sel:[0,1,0] op_sel_hi:[0,0,1]
	v_mov_b32_e32 v5, v7
	flat_store_dwordx2 v[10:11], v[12:13] offset:384
	flat_store_dwordx2 v[8:9], v[4:5]
	v_pk_mul_f32 v[4:5], v[44:45], s[2:3] op_sel_hi:[0,1]
	v_pk_fma_f32 v[6:7], v[42:43], s[2:3], v[4:5] op_sel:[0,1,0] op_sel_hi:[1,0,1] neg_lo:[0,0,1] neg_hi:[0,0,1]
	v_pk_fma_f32 v[4:5], v[42:43], s[2:3], v[4:5] op_sel:[0,1,0] op_sel_hi:[0,0,1]
	v_mov_b32_e32 v4, v41
	v_mov_b32_e32 v7, v5
	v_pk_mul_f32 v[4:5], v[4:5], s[2:3] op_sel_hi:[0,1]
	flat_store_dwordx2 v[8:9], v[6:7] offset:128
	v_pk_fma_f32 v[6:7], v[40:41], s[2:3], v[4:5] op_sel:[0,1,0] op_sel_hi:[1,0,1] neg_lo:[0,0,1] neg_hi:[0,0,1]
	v_pk_fma_f32 v[4:5], v[40:41], s[2:3], v[4:5] op_sel:[0,1,0] op_sel_hi:[0,0,1]
	v_mov_b32_e32 v7, v5
	v_mul_f32_e32 v4, s3, v58
	flat_store_dwordx2 v[8:9], v[6:7] offset:256
	v_fma_f32 v7, -v59, s2, v4
	v_pk_mul_f32 v[4:5], v[58:59], s[2:3]
	s_mov_b64 s[8:9], 0x180
	v_add_f32_e32 v6, v4, v5
	v_lshl_add_u64 v[4:5], v[8:9], 0, s[8:9]
	flat_store_dword v[8:9], v7 offset:384
	s_cbranch_execz .LBB234_6
	s_branch .LBB234_7
.LBB234_5:
                                        ; implicit-def: $vgpr6
                                        ; implicit-def: $vgpr4_vgpr5
.LBB234_6:
	s_lshl_b64 s[8:9], s[28:29], 3
	s_add_u32 s0, s0, s8
	s_addc_u32 s1, s1, s9
	v_mul_lo_u32 v6, v3, s26
	v_mul_lo_u32 v7, v2, s27
	v_mad_u64_u32 v[4:5], s[8:9], v2, s26, 0
	v_add3_u32 v5, v5, v7, v6
	v_lshl_add_u64 v[4:5], v[4:5], 3, s[0:1]
	v_lshlrev_b64 v[0:1], 3, v[0:1]
	v_lshl_add_u64 v[6:7], v[4:5], 0, v[0:1]
	flat_load_dwordx2 v[8:9], v[6:7]
	v_mul_lo_u32 v12, v3, s36
	v_mul_lo_u32 v13, v2, s37
	v_mad_u64_u32 v[2:3], s[0:1], v2, s36, 0
	s_mov_b32 s0, s7
	v_pk_mul_f32 v[10:11], v[104:105], s[2:3] op_sel_hi:[0,1]
	v_add3_u32 v3, v3, v13, v12
	v_pk_fma_f32 v[12:13], v[102:103], s[2:3], v[10:11] op_sel:[0,1,0] op_sel_hi:[1,0,1] neg_lo:[0,0,1] neg_hi:[0,0,1]
	v_pk_fma_f32 v[10:11], v[102:103], s[2:3], v[10:11] op_sel:[0,1,0] op_sel_hi:[0,0,1]
	v_lshl_add_u64 v[2:3], v[2:3], 3, s[4:5]
	v_mov_b32_e32 v13, v11
	v_lshl_add_u64 v[10:11], v[2:3], 0, v[0:1]
	s_lshl_b64 s[4:5], s[26:27], 7
	v_lshl_add_u64 v[4:5], v[4:5], 0, s[4:5]
	s_lshl_b64 s[8:9], s[36:37], 7
	v_lshl_add_u64 v[2:3], v[2:3], 0, s[8:9]
	s_mov_b32 s11, s6
	s_waitcnt vmcnt(0) lgkmcnt(0)
	v_pk_mul_f32 v[14:15], v[8:9], s[0:1] op_sel_hi:[1,0]
	s_nop 0
	v_pk_fma_f32 v[16:17], v[8:9], s[6:7], v[14:15] op_sel:[0,0,1] op_sel_hi:[1,1,0] neg_lo:[0,0,1] neg_hi:[0,0,1]
	v_pk_fma_f32 v[8:9], v[8:9], s[6:7], v[14:15] op_sel:[0,0,1] op_sel_hi:[1,0,0]
	s_nop 0
	v_mov_b32_e32 v17, v9
	v_pk_add_f32 v[8:9], v[12:13], v[16:17]
	flat_store_dwordx2 v[10:11], v[8:9]
	flat_load_dwordx2 v[8:9], v[6:7] offset:128
	v_pk_mul_f32 v[12:13], v[100:101], s[2:3] op_sel_hi:[0,1]
	v_pk_fma_f32 v[14:15], v[98:99], s[2:3], v[12:13] op_sel:[0,1,0] op_sel_hi:[1,0,1] neg_lo:[0,0,1] neg_hi:[0,0,1]
	v_pk_fma_f32 v[12:13], v[98:99], s[2:3], v[12:13] op_sel:[0,1,0] op_sel_hi:[0,0,1]
	v_mov_b32_e32 v15, v13
	s_waitcnt vmcnt(0) lgkmcnt(0)
	v_pk_mul_f32 v[12:13], v[8:9], s[0:1] op_sel_hi:[1,0]
	s_nop 0
	v_pk_fma_f32 v[16:17], v[8:9], s[6:7], v[12:13] op_sel:[0,0,1] op_sel_hi:[1,1,0] neg_lo:[0,0,1] neg_hi:[0,0,1]
	v_pk_fma_f32 v[8:9], v[8:9], s[6:7], v[12:13] op_sel:[0,0,1] op_sel_hi:[1,0,0]
	v_pk_mul_f32 v[12:13], v[96:97], s[2:3] op_sel_hi:[0,1]
	v_mov_b32_e32 v17, v9
	v_pk_add_f32 v[8:9], v[14:15], v[16:17]
	flat_store_dwordx2 v[10:11], v[8:9] offset:128
	flat_load_dwordx2 v[8:9], v[6:7] offset:256
	v_pk_fma_f32 v[14:15], v[94:95], s[2:3], v[12:13] op_sel:[0,1,0] op_sel_hi:[1,0,1] neg_lo:[0,0,1] neg_hi:[0,0,1]
	v_pk_fma_f32 v[12:13], v[94:95], s[2:3], v[12:13] op_sel:[0,1,0] op_sel_hi:[0,0,1]
	v_mov_b32_e32 v15, v13
	s_waitcnt vmcnt(0) lgkmcnt(0)
	v_pk_mul_f32 v[12:13], v[8:9], s[0:1] op_sel_hi:[1,0]
	s_nop 0
	v_pk_fma_f32 v[16:17], v[8:9], s[6:7], v[12:13] op_sel:[0,0,1] op_sel_hi:[1,1,0] neg_lo:[0,0,1] neg_hi:[0,0,1]
	v_pk_fma_f32 v[8:9], v[8:9], s[6:7], v[12:13] op_sel:[0,0,1] op_sel_hi:[1,0,0]
	s_nop 0
	v_mov_b32_e32 v17, v9
	v_pk_add_f32 v[8:9], v[14:15], v[16:17]
	flat_store_dwordx2 v[10:11], v[8:9] offset:256
	flat_load_dwordx2 v[6:7], v[6:7] offset:384
	v_pk_mul_f32 v[8:9], v[92:93], s[2:3] op_sel_hi:[0,1]
	v_pk_fma_f32 v[12:13], v[90:91], s[2:3], v[8:9] op_sel:[0,1,0] op_sel_hi:[1,0,1] neg_lo:[0,0,1] neg_hi:[0,0,1]
	v_pk_fma_f32 v[8:9], v[90:91], s[2:3], v[8:9] op_sel:[0,1,0] op_sel_hi:[0,0,1]
	v_mov_b32_e32 v13, v9
	v_lshl_add_u64 v[8:9], v[4:5], 0, v[0:1]
	v_lshl_add_u64 v[4:5], v[4:5], 0, s[4:5]
	s_waitcnt vmcnt(0) lgkmcnt(0)
	v_pk_mul_f32 v[14:15], v[6:7], s[0:1] op_sel_hi:[1,0]
	s_nop 0
	v_pk_fma_f32 v[16:17], v[6:7], s[6:7], v[14:15] op_sel:[0,0,1] op_sel_hi:[1,1,0] neg_lo:[0,0,1] neg_hi:[0,0,1]
	v_pk_fma_f32 v[6:7], v[6:7], s[6:7], v[14:15] op_sel:[0,0,1] op_sel_hi:[1,0,0]
	s_nop 0
	v_mov_b32_e32 v17, v7
	v_pk_add_f32 v[6:7], v[12:13], v[16:17]
	flat_store_dwordx2 v[10:11], v[6:7] offset:384
	flat_load_dwordx2 v[6:7], v[8:9]
	v_pk_mul_f32 v[10:11], v[88:89], s[2:3] op_sel_hi:[0,1]
	v_pk_fma_f32 v[12:13], v[86:87], s[2:3], v[10:11] op_sel:[0,1,0] op_sel_hi:[1,0,1] neg_lo:[0,0,1] neg_hi:[0,0,1]
	v_pk_fma_f32 v[10:11], v[86:87], s[2:3], v[10:11] op_sel:[0,1,0] op_sel_hi:[0,0,1]
	v_mov_b32_e32 v13, v11
	v_lshl_add_u64 v[10:11], v[2:3], 0, v[0:1]
	v_lshl_add_u64 v[2:3], v[2:3], 0, s[8:9]
	s_waitcnt vmcnt(0) lgkmcnt(0)
	v_pk_mul_f32 v[14:15], v[6:7], s[0:1] op_sel_hi:[1,0]
	s_nop 0
	v_pk_fma_f32 v[16:17], v[6:7], s[6:7], v[14:15] op_sel:[0,0,1] op_sel_hi:[1,1,0] neg_lo:[0,0,1] neg_hi:[0,0,1]
	v_pk_fma_f32 v[6:7], v[6:7], s[6:7], v[14:15] op_sel:[0,0,1] op_sel_hi:[1,0,0]
	s_nop 0
	v_mov_b32_e32 v17, v7
	v_pk_add_f32 v[6:7], v[12:13], v[16:17]
	flat_store_dwordx2 v[10:11], v[6:7]
	flat_load_dwordx2 v[6:7], v[8:9] offset:128
	v_pk_mul_f32 v[12:13], v[84:85], s[2:3] op_sel_hi:[0,1]
	v_pk_fma_f32 v[14:15], v[82:83], s[2:3], v[12:13] op_sel:[0,1,0] op_sel_hi:[1,0,1] neg_lo:[0,0,1] neg_hi:[0,0,1]
	v_pk_fma_f32 v[12:13], v[82:83], s[2:3], v[12:13] op_sel:[0,1,0] op_sel_hi:[0,0,1]
	v_mov_b32_e32 v15, v13
	s_waitcnt vmcnt(0) lgkmcnt(0)
	v_pk_mul_f32 v[12:13], v[6:7], s[0:1] op_sel_hi:[1,0]
	s_nop 0
	v_pk_fma_f32 v[16:17], v[6:7], s[6:7], v[12:13] op_sel:[0,0,1] op_sel_hi:[1,1,0] neg_lo:[0,0,1] neg_hi:[0,0,1]
	v_pk_fma_f32 v[6:7], v[6:7], s[6:7], v[12:13] op_sel:[0,0,1] op_sel_hi:[1,0,0]
	v_pk_mul_f32 v[12:13], v[80:81], s[2:3] op_sel_hi:[0,1]
	v_mov_b32_e32 v17, v7
	v_pk_add_f32 v[6:7], v[14:15], v[16:17]
	flat_store_dwordx2 v[10:11], v[6:7] offset:128
	flat_load_dwordx2 v[6:7], v[8:9] offset:256
	v_pk_fma_f32 v[14:15], v[78:79], s[2:3], v[12:13] op_sel:[0,1,0] op_sel_hi:[1,0,1] neg_lo:[0,0,1] neg_hi:[0,0,1]
	v_pk_fma_f32 v[12:13], v[78:79], s[2:3], v[12:13] op_sel:[0,1,0] op_sel_hi:[0,0,1]
	v_mov_b32_e32 v15, v13
	s_waitcnt vmcnt(0) lgkmcnt(0)
	v_pk_mul_f32 v[12:13], v[6:7], s[0:1] op_sel_hi:[1,0]
	s_nop 0
	v_pk_fma_f32 v[16:17], v[6:7], s[6:7], v[12:13] op_sel:[0,0,1] op_sel_hi:[1,1,0] neg_lo:[0,0,1] neg_hi:[0,0,1]
	v_pk_fma_f32 v[6:7], v[6:7], s[6:7], v[12:13] op_sel:[0,0,1] op_sel_hi:[1,0,0]
	s_nop 0
	v_mov_b32_e32 v17, v7
	v_pk_add_f32 v[6:7], v[14:15], v[16:17]
	flat_store_dwordx2 v[10:11], v[6:7] offset:256
	flat_load_dwordx2 v[6:7], v[8:9] offset:384
	v_pk_mul_f32 v[8:9], v[76:77], s[2:3] op_sel_hi:[0,1]
	v_pk_fma_f32 v[12:13], v[74:75], s[2:3], v[8:9] op_sel:[0,1,0] op_sel_hi:[1,0,1] neg_lo:[0,0,1] neg_hi:[0,0,1]
	v_pk_fma_f32 v[8:9], v[74:75], s[2:3], v[8:9] op_sel:[0,1,0] op_sel_hi:[0,0,1]
	v_mov_b32_e32 v13, v9
	v_lshl_add_u64 v[8:9], v[4:5], 0, v[0:1]
	v_lshl_add_u64 v[4:5], v[4:5], 0, s[4:5]
	;; [unrolled: 1-line block ×3, first 2 shown]
	s_waitcnt vmcnt(0) lgkmcnt(0)
	v_pk_mul_f32 v[14:15], v[6:7], s[0:1] op_sel_hi:[1,0]
	s_nop 0
	v_pk_fma_f32 v[16:17], v[6:7], s[6:7], v[14:15] op_sel:[0,0,1] op_sel_hi:[1,1,0] neg_lo:[0,0,1] neg_hi:[0,0,1]
	v_pk_fma_f32 v[6:7], v[6:7], s[6:7], v[14:15] op_sel:[0,0,1] op_sel_hi:[1,0,0]
	s_nop 0
	v_mov_b32_e32 v17, v7
	v_pk_add_f32 v[6:7], v[12:13], v[16:17]
	flat_store_dwordx2 v[10:11], v[6:7] offset:384
	flat_load_dwordx2 v[6:7], v[8:9]
	v_pk_mul_f32 v[10:11], v[72:73], s[2:3] op_sel_hi:[0,1]
	v_pk_fma_f32 v[12:13], v[70:71], s[2:3], v[10:11] op_sel:[0,1,0] op_sel_hi:[1,0,1] neg_lo:[0,0,1] neg_hi:[0,0,1]
	v_pk_fma_f32 v[10:11], v[70:71], s[2:3], v[10:11] op_sel:[0,1,0] op_sel_hi:[0,0,1]
	v_mov_b32_e32 v13, v11
	v_lshl_add_u64 v[10:11], v[2:3], 0, v[0:1]
	v_lshl_add_u64 v[2:3], v[2:3], 0, s[8:9]
	;; [unrolled: 1-line block ×3, first 2 shown]
	s_waitcnt vmcnt(0) lgkmcnt(0)
	v_pk_mul_f32 v[14:15], v[6:7], s[0:1] op_sel_hi:[1,0]
	s_nop 0
	v_pk_fma_f32 v[16:17], v[6:7], s[6:7], v[14:15] op_sel:[0,0,1] op_sel_hi:[1,1,0] neg_lo:[0,0,1] neg_hi:[0,0,1]
	v_pk_fma_f32 v[6:7], v[6:7], s[6:7], v[14:15] op_sel:[0,0,1] op_sel_hi:[1,0,0]
	s_nop 0
	v_mov_b32_e32 v17, v7
	v_pk_add_f32 v[6:7], v[12:13], v[16:17]
	flat_store_dwordx2 v[10:11], v[6:7]
	flat_load_dwordx2 v[6:7], v[8:9] offset:128
	v_pk_mul_f32 v[12:13], v[68:69], s[2:3] op_sel_hi:[0,1]
	v_pk_fma_f32 v[14:15], v[66:67], s[2:3], v[12:13] op_sel:[0,1,0] op_sel_hi:[1,0,1] neg_lo:[0,0,1] neg_hi:[0,0,1]
	v_pk_fma_f32 v[12:13], v[66:67], s[2:3], v[12:13] op_sel:[0,1,0] op_sel_hi:[0,0,1]
	v_mov_b32_e32 v15, v13
	s_waitcnt vmcnt(0) lgkmcnt(0)
	v_pk_mul_f32 v[12:13], v[6:7], s[0:1] op_sel_hi:[1,0]
	s_nop 0
	v_pk_fma_f32 v[16:17], v[6:7], s[6:7], v[12:13] op_sel:[0,0,1] op_sel_hi:[1,1,0] neg_lo:[0,0,1] neg_hi:[0,0,1]
	v_pk_fma_f32 v[6:7], v[6:7], s[6:7], v[12:13] op_sel:[0,0,1] op_sel_hi:[1,0,0]
	v_pk_mul_f32 v[12:13], v[64:65], s[2:3] op_sel_hi:[0,1]
	v_mov_b32_e32 v17, v7
	v_pk_add_f32 v[6:7], v[14:15], v[16:17]
	flat_store_dwordx2 v[10:11], v[6:7] offset:128
	flat_load_dwordx2 v[6:7], v[8:9] offset:256
	v_pk_fma_f32 v[14:15], v[62:63], s[2:3], v[12:13] op_sel:[0,1,0] op_sel_hi:[1,0,1] neg_lo:[0,0,1] neg_hi:[0,0,1]
	v_pk_fma_f32 v[12:13], v[62:63], s[2:3], v[12:13] op_sel:[0,1,0] op_sel_hi:[0,0,1]
	v_mov_b32_e32 v15, v13
	s_waitcnt vmcnt(0) lgkmcnt(0)
	v_pk_mul_f32 v[12:13], v[6:7], s[0:1] op_sel_hi:[1,0]
	s_nop 0
	v_pk_fma_f32 v[16:17], v[6:7], s[6:7], v[12:13] op_sel:[0,0,1] op_sel_hi:[1,1,0] neg_lo:[0,0,1] neg_hi:[0,0,1]
	v_pk_fma_f32 v[6:7], v[6:7], s[6:7], v[12:13] op_sel:[0,0,1] op_sel_hi:[1,0,0]
	s_nop 0
	v_mov_b32_e32 v17, v7
	v_pk_add_f32 v[6:7], v[14:15], v[16:17]
	flat_store_dwordx2 v[10:11], v[6:7] offset:256
	flat_load_dwordx2 v[6:7], v[8:9] offset:384
	v_pk_mul_f32 v[8:9], v[60:61], s[2:3] op_sel_hi:[0,1]
	v_pk_fma_f32 v[12:13], v[56:57], s[2:3], v[8:9] op_sel:[0,1,0] op_sel_hi:[1,0,1] neg_lo:[0,0,1] neg_hi:[0,0,1]
	v_pk_fma_f32 v[8:9], v[56:57], s[2:3], v[8:9] op_sel:[0,1,0] op_sel_hi:[0,0,1]
	v_mov_b32_e32 v13, v9
	s_waitcnt vmcnt(0) lgkmcnt(0)
	v_pk_mul_f32 v[8:9], v[6:7], s[0:1] op_sel_hi:[1,0]
	s_nop 0
	v_pk_fma_f32 v[14:15], v[6:7], s[6:7], v[8:9] op_sel:[0,0,1] op_sel_hi:[1,1,0] neg_lo:[0,0,1] neg_hi:[0,0,1]
	v_pk_fma_f32 v[6:7], v[6:7], s[6:7], v[8:9] op_sel:[0,0,1] op_sel_hi:[1,0,0]
	v_pk_mul_f32 v[8:9], v[50:51], s[2:3] op_sel_hi:[0,1]
	v_mov_b32_e32 v15, v7
	v_pk_add_f32 v[6:7], v[12:13], v[14:15]
	flat_store_dwordx2 v[10:11], v[6:7] offset:384
	flat_load_dwordx2 v[6:7], v[4:5]
	v_pk_fma_f32 v[10:11], v[48:49], s[2:3], v[8:9] op_sel:[0,1,0] op_sel_hi:[1,0,1] neg_lo:[0,0,1] neg_hi:[0,0,1]
	v_pk_fma_f32 v[8:9], v[48:49], s[2:3], v[8:9] op_sel:[0,1,0] op_sel_hi:[0,0,1]
	v_mov_b32_e32 v11, v9
	s_waitcnt vmcnt(0) lgkmcnt(0)
	v_pk_mul_f32 v[2:3], v[6:7], s[0:1] op_sel_hi:[1,0]
	s_nop 0
	v_pk_fma_f32 v[8:9], v[6:7], s[6:7], v[2:3] op_sel:[0,0,1] op_sel_hi:[1,1,0] neg_lo:[0,0,1] neg_hi:[0,0,1]
	v_pk_fma_f32 v[2:3], v[6:7], s[6:7], v[2:3] op_sel:[0,0,1] op_sel_hi:[1,0,0]
	v_pk_mul_f32 v[6:7], v[44:45], s[2:3] op_sel_hi:[0,1]
	v_mov_b32_e32 v9, v3
	v_pk_add_f32 v[2:3], v[10:11], v[8:9]
	flat_store_dwordx2 v[0:1], v[2:3]
	flat_load_dwordx2 v[2:3], v[4:5] offset:128
	v_pk_fma_f32 v[8:9], v[42:43], s[2:3], v[6:7] op_sel:[0,1,0] op_sel_hi:[1,0,1] neg_lo:[0,0,1] neg_hi:[0,0,1]
	v_pk_fma_f32 v[6:7], v[42:43], s[2:3], v[6:7] op_sel:[0,1,0] op_sel_hi:[0,0,1]
	v_mov_b32_e32 v9, v7
	s_waitcnt vmcnt(0) lgkmcnt(0)
	v_pk_mul_f32 v[6:7], v[2:3], s[0:1] op_sel_hi:[1,0]
	s_nop 0
	v_pk_fma_f32 v[10:11], v[2:3], s[6:7], v[6:7] op_sel:[0,0,1] op_sel_hi:[1,1,0] neg_lo:[0,0,1] neg_hi:[0,0,1]
	v_pk_fma_f32 v[2:3], v[2:3], s[6:7], v[6:7] op_sel:[0,0,1] op_sel_hi:[1,0,0]
	v_mov_b32_e32 v6, v41
	v_mov_b32_e32 v11, v3
	v_pk_add_f32 v[2:3], v[8:9], v[10:11]
	flat_store_dwordx2 v[0:1], v[2:3] offset:128
	flat_load_dwordx2 v[2:3], v[4:5] offset:256
	v_pk_mul_f32 v[6:7], v[6:7], s[2:3] op_sel_hi:[0,1]
	v_pk_fma_f32 v[8:9], v[40:41], s[2:3], v[6:7] op_sel:[0,1,0] op_sel_hi:[1,0,1] neg_lo:[0,0,1] neg_hi:[0,0,1]
	v_pk_fma_f32 v[6:7], v[40:41], s[2:3], v[6:7] op_sel:[0,1,0] op_sel_hi:[0,0,1]
	v_mov_b32_e32 v9, v7
	s_waitcnt vmcnt(0) lgkmcnt(0)
	v_pk_mul_f32 v[6:7], v[2:3], s[0:1] op_sel_hi:[1,0]
	s_nop 0
	v_pk_fma_f32 v[10:11], v[2:3], s[6:7], v[6:7] op_sel:[0,0,1] op_sel_hi:[1,1,0] neg_lo:[0,0,1] neg_hi:[0,0,1]
	v_pk_fma_f32 v[2:3], v[2:3], s[6:7], v[6:7] op_sel:[0,0,1] op_sel_hi:[1,0,0]
	v_mov_b32_e32 v6, v58
	v_mov_b32_e32 v11, v3
	v_pk_add_f32 v[2:3], v[8:9], v[10:11]
	flat_store_dwordx2 v[0:1], v[2:3] offset:256
	flat_load_dwordx2 v[2:3], v[4:5] offset:384
	v_mul_f32_e32 v4, s3, v58
	s_mov_b32 s3, s7
	s_mov_b64 s[0:1], 0x180
	v_fma_f32 v8, -v59, s2, v4
	v_lshl_add_u64 v[4:5], v[0:1], 0, s[0:1]
	s_waitcnt vmcnt(0) lgkmcnt(0)
	v_mul_f32_e32 v9, s7, v3
	v_mov_b32_e32 v7, v2
	v_fma_f32 v9, v2, s6, -v9
	v_mov_b32_e32 v2, v59
	v_pk_mul_f32 v[2:3], v[2:3], s[10:11]
	v_add_f32_e32 v8, v8, v9
	v_pk_fma_f32 v[2:3], v[6:7], s[2:3], v[2:3]
	flat_store_dword v[0:1], v8 offset:384
	v_add_f32_e32 v6, v2, v3
.LBB234_7:
	flat_store_dword v[4:5], v6 offset:4
	s_endpgm
	.section	.rodata,"a",@progbits
	.p2align	6, 0x0
	.amdhsa_kernel _ZN12_GLOBAL__N_127rocblas_gemm_batched_kernelI19rocblas_complex_numIfELi16ELi16ELi64ELi64ELi4ELi64ELi4ELi4ELi64ELc78ELc78EKPKS2_S5_KPS2_EEvlllT_PT11_llSA_llS8_PT12_llPT13_lli
		.amdhsa_group_segment_fixed_size 4096
		.amdhsa_private_segment_fixed_size 0
		.amdhsa_kernarg_size 140
		.amdhsa_user_sgpr_count 2
		.amdhsa_user_sgpr_dispatch_ptr 0
		.amdhsa_user_sgpr_queue_ptr 0
		.amdhsa_user_sgpr_kernarg_segment_ptr 1
		.amdhsa_user_sgpr_dispatch_id 0
		.amdhsa_user_sgpr_kernarg_preload_length 0
		.amdhsa_user_sgpr_kernarg_preload_offset 0
		.amdhsa_user_sgpr_private_segment_size 0
		.amdhsa_uses_dynamic_stack 0
		.amdhsa_enable_private_segment 0
		.amdhsa_system_sgpr_workgroup_id_x 1
		.amdhsa_system_sgpr_workgroup_id_y 1
		.amdhsa_system_sgpr_workgroup_id_z 1
		.amdhsa_system_sgpr_workgroup_info 0
		.amdhsa_system_vgpr_workitem_id 1
		.amdhsa_next_free_vgpr 108
		.amdhsa_next_free_sgpr 42
		.amdhsa_accum_offset 108
		.amdhsa_reserve_vcc 1
		.amdhsa_float_round_mode_32 0
		.amdhsa_float_round_mode_16_64 0
		.amdhsa_float_denorm_mode_32 3
		.amdhsa_float_denorm_mode_16_64 3
		.amdhsa_dx10_clamp 1
		.amdhsa_ieee_mode 1
		.amdhsa_fp16_overflow 0
		.amdhsa_tg_split 0
		.amdhsa_exception_fp_ieee_invalid_op 0
		.amdhsa_exception_fp_denorm_src 0
		.amdhsa_exception_fp_ieee_div_zero 0
		.amdhsa_exception_fp_ieee_overflow 0
		.amdhsa_exception_fp_ieee_underflow 0
		.amdhsa_exception_fp_ieee_inexact 0
		.amdhsa_exception_int_div_zero 0
	.end_amdhsa_kernel
	.section	.text._ZN12_GLOBAL__N_127rocblas_gemm_batched_kernelI19rocblas_complex_numIfELi16ELi16ELi64ELi64ELi4ELi64ELi4ELi4ELi64ELc78ELc78EKPKS2_S5_KPS2_EEvlllT_PT11_llSA_llS8_PT12_llPT13_lli,"axG",@progbits,_ZN12_GLOBAL__N_127rocblas_gemm_batched_kernelI19rocblas_complex_numIfELi16ELi16ELi64ELi64ELi4ELi64ELi4ELi4ELi64ELc78ELc78EKPKS2_S5_KPS2_EEvlllT_PT11_llSA_llS8_PT12_llPT13_lli,comdat
.Lfunc_end234:
	.size	_ZN12_GLOBAL__N_127rocblas_gemm_batched_kernelI19rocblas_complex_numIfELi16ELi16ELi64ELi64ELi4ELi64ELi4ELi4ELi64ELc78ELc78EKPKS2_S5_KPS2_EEvlllT_PT11_llSA_llS8_PT12_llPT13_lli, .Lfunc_end234-_ZN12_GLOBAL__N_127rocblas_gemm_batched_kernelI19rocblas_complex_numIfELi16ELi16ELi64ELi64ELi4ELi64ELi4ELi4ELi64ELc78ELc78EKPKS2_S5_KPS2_EEvlllT_PT11_llSA_llS8_PT12_llPT13_lli
                                        ; -- End function
	.set _ZN12_GLOBAL__N_127rocblas_gemm_batched_kernelI19rocblas_complex_numIfELi16ELi16ELi64ELi64ELi4ELi64ELi4ELi4ELi64ELc78ELc78EKPKS2_S5_KPS2_EEvlllT_PT11_llSA_llS8_PT12_llPT13_lli.num_vgpr, 108
	.set _ZN12_GLOBAL__N_127rocblas_gemm_batched_kernelI19rocblas_complex_numIfELi16ELi16ELi64ELi64ELi4ELi64ELi4ELi4ELi64ELc78ELc78EKPKS2_S5_KPS2_EEvlllT_PT11_llSA_llS8_PT12_llPT13_lli.num_agpr, 0
	.set _ZN12_GLOBAL__N_127rocblas_gemm_batched_kernelI19rocblas_complex_numIfELi16ELi16ELi64ELi64ELi4ELi64ELi4ELi4ELi64ELc78ELc78EKPKS2_S5_KPS2_EEvlllT_PT11_llSA_llS8_PT12_llPT13_lli.numbered_sgpr, 42
	.set _ZN12_GLOBAL__N_127rocblas_gemm_batched_kernelI19rocblas_complex_numIfELi16ELi16ELi64ELi64ELi4ELi64ELi4ELi4ELi64ELc78ELc78EKPKS2_S5_KPS2_EEvlllT_PT11_llSA_llS8_PT12_llPT13_lli.num_named_barrier, 0
	.set _ZN12_GLOBAL__N_127rocblas_gemm_batched_kernelI19rocblas_complex_numIfELi16ELi16ELi64ELi64ELi4ELi64ELi4ELi4ELi64ELc78ELc78EKPKS2_S5_KPS2_EEvlllT_PT11_llSA_llS8_PT12_llPT13_lli.private_seg_size, 0
	.set _ZN12_GLOBAL__N_127rocblas_gemm_batched_kernelI19rocblas_complex_numIfELi16ELi16ELi64ELi64ELi4ELi64ELi4ELi4ELi64ELc78ELc78EKPKS2_S5_KPS2_EEvlllT_PT11_llSA_llS8_PT12_llPT13_lli.uses_vcc, 1
	.set _ZN12_GLOBAL__N_127rocblas_gemm_batched_kernelI19rocblas_complex_numIfELi16ELi16ELi64ELi64ELi4ELi64ELi4ELi4ELi64ELc78ELc78EKPKS2_S5_KPS2_EEvlllT_PT11_llSA_llS8_PT12_llPT13_lli.uses_flat_scratch, 0
	.set _ZN12_GLOBAL__N_127rocblas_gemm_batched_kernelI19rocblas_complex_numIfELi16ELi16ELi64ELi64ELi4ELi64ELi4ELi4ELi64ELc78ELc78EKPKS2_S5_KPS2_EEvlllT_PT11_llSA_llS8_PT12_llPT13_lli.has_dyn_sized_stack, 0
	.set _ZN12_GLOBAL__N_127rocblas_gemm_batched_kernelI19rocblas_complex_numIfELi16ELi16ELi64ELi64ELi4ELi64ELi4ELi4ELi64ELc78ELc78EKPKS2_S5_KPS2_EEvlllT_PT11_llSA_llS8_PT12_llPT13_lli.has_recursion, 0
	.set _ZN12_GLOBAL__N_127rocblas_gemm_batched_kernelI19rocblas_complex_numIfELi16ELi16ELi64ELi64ELi4ELi64ELi4ELi4ELi64ELc78ELc78EKPKS2_S5_KPS2_EEvlllT_PT11_llSA_llS8_PT12_llPT13_lli.has_indirect_call, 0
	.section	.AMDGPU.csdata,"",@progbits
; Kernel info:
; codeLenInByte = 5212
; TotalNumSgprs: 48
; NumVgprs: 108
; NumAgprs: 0
; TotalNumVgprs: 108
; ScratchSize: 0
; MemoryBound: 0
; FloatMode: 240
; IeeeMode: 1
; LDSByteSize: 4096 bytes/workgroup (compile time only)
; SGPRBlocks: 5
; VGPRBlocks: 13
; NumSGPRsForWavesPerEU: 48
; NumVGPRsForWavesPerEU: 108
; AccumOffset: 108
; Occupancy: 4
; WaveLimiterHint : 1
; COMPUTE_PGM_RSRC2:SCRATCH_EN: 0
; COMPUTE_PGM_RSRC2:USER_SGPR: 2
; COMPUTE_PGM_RSRC2:TRAP_HANDLER: 0
; COMPUTE_PGM_RSRC2:TGID_X_EN: 1
; COMPUTE_PGM_RSRC2:TGID_Y_EN: 1
; COMPUTE_PGM_RSRC2:TGID_Z_EN: 1
; COMPUTE_PGM_RSRC2:TIDIG_COMP_CNT: 1
; COMPUTE_PGM_RSRC3_GFX90A:ACCUM_OFFSET: 26
; COMPUTE_PGM_RSRC3_GFX90A:TG_SPLIT: 0
	.section	.text._ZN12_GLOBAL__N_127rocblas_gemm_batched_kernelI19rocblas_complex_numIfELi16ELi16ELi64ELi64ELi4ELi64ELi4ELi4ELi64ELc84ELc78EKPKS2_S5_KPS2_EEvlllT_PT11_llSA_llS8_PT12_llPT13_lli,"axG",@progbits,_ZN12_GLOBAL__N_127rocblas_gemm_batched_kernelI19rocblas_complex_numIfELi16ELi16ELi64ELi64ELi4ELi64ELi4ELi4ELi64ELc84ELc78EKPKS2_S5_KPS2_EEvlllT_PT11_llSA_llS8_PT12_llPT13_lli,comdat
	.globl	_ZN12_GLOBAL__N_127rocblas_gemm_batched_kernelI19rocblas_complex_numIfELi16ELi16ELi64ELi64ELi4ELi64ELi4ELi4ELi64ELc84ELc78EKPKS2_S5_KPS2_EEvlllT_PT11_llSA_llS8_PT12_llPT13_lli ; -- Begin function _ZN12_GLOBAL__N_127rocblas_gemm_batched_kernelI19rocblas_complex_numIfELi16ELi16ELi64ELi64ELi4ELi64ELi4ELi4ELi64ELc84ELc78EKPKS2_S5_KPS2_EEvlllT_PT11_llSA_llS8_PT12_llPT13_lli
	.p2align	8
	.type	_ZN12_GLOBAL__N_127rocblas_gemm_batched_kernelI19rocblas_complex_numIfELi16ELi16ELi64ELi64ELi4ELi64ELi4ELi4ELi64ELc84ELc78EKPKS2_S5_KPS2_EEvlllT_PT11_llSA_llS8_PT12_llPT13_lli,@function
_ZN12_GLOBAL__N_127rocblas_gemm_batched_kernelI19rocblas_complex_numIfELi16ELi16ELi64ELi64ELi4ELi64ELi4ELi4ELi64ELc84ELc78EKPKS2_S5_KPS2_EEvlllT_PT11_llSA_llS8_PT12_llPT13_lli: ; @_ZN12_GLOBAL__N_127rocblas_gemm_batched_kernelI19rocblas_complex_numIfELi16ELi16ELi64ELi64ELi4ELi64ELi4ELi4ELi64ELc84ELc78EKPKS2_S5_KPS2_EEvlllT_PT11_llSA_llS8_PT12_llPT13_lli
; %bb.0:
	s_load_dwordx16 s[8:23], s[0:1], 0x10
	s_load_dwordx4 s[36:39], s[0:1], 0x78
	s_load_dwordx8 s[24:31], s[0:1], 0x58
	s_load_dwordx2 s[6:7], s[0:1], 0x50
	s_mov_b32 s5, 0
	s_lshl_b64 s[34:35], s[4:5], 3
	s_mov_b32 s40, s3
	s_waitcnt lgkmcnt(0)
	s_add_u32 s0, s24, s34
	s_addc_u32 s1, s25, s35
	s_add_u32 s4, s30, s34
	s_addc_u32 s5, s31, s35
	s_load_dwordx2 s[0:1], s[0:1], 0x0
	v_mov_b32_e32 v39, 0
	s_load_dwordx2 s[4:5], s[4:5], 0x0
	s_ashr_i32 s3, s2, 31
	s_ashr_i32 s41, s40, 31
	v_cmp_lt_i64_e64 s[30:31], s[8:9], 1
	v_bfe_u32 v38, v0, 10, 10
	v_and_b32_e32 v36, 0x3ff, v0
	v_mov_b32_e32 v37, v39
	s_lshl_b64 s[2:3], s[2:3], 6
	s_lshl_b64 s[24:25], s[40:41], 6
	s_and_b64 vcc, exec, s[30:31]
	v_mov_b32_e32 v59, v39
	v_mov_b32_e32 v58, v39
	;; [unrolled: 1-line block ×32, first 2 shown]
	s_cbranch_vccnz .LBB235_3
; %bb.1:
	v_lshl_add_u32 v4, v38, 4, v36
	v_and_b32_e32 v2, 63, v4
	v_lshrrev_b32_e32 v40, 2, v4
	v_and_b32_e32 v5, 3, v36
	v_lshrrev_b32_e32 v6, 6, v4
	v_lshlrev_b32_e32 v4, 3, v2
	s_add_u32 s12, s12, s34
	v_mov_b32_e32 v41, 0
	v_lshl_or_b32 v43, v6, 9, v4
	v_lshlrev_b32_e32 v4, 3, v5
	s_addc_u32 s13, s13, s35
	v_mov_b32_e32 v3, v41
	v_lshl_or_b32 v5, v40, 5, v4
	s_load_dwordx2 s[12:13], s[12:13], 0x0
	v_add_u32_e32 v45, 0x800, v5
	v_mov_b32_e32 v5, 0x800
	v_lshl_add_u64 v[2:3], s[2:3], 0, v[2:3]
	s_add_u32 s18, s18, s34
	v_lshl_add_u32 v51, v38, 5, v5
	v_mul_lo_u32 v5, s15, v2
	v_mul_lo_u32 v7, s14, v3
	v_mad_u64_u32 v[2:3], s[14:15], s14, v2, 0
	s_addc_u32 s19, s19, s35
	v_add3_u32 v3, v3, v7, v5
	s_lshl_b64 s[14:15], s[16:17], 3
	v_lshl_add_u64 v[0:1], v[40:41], 0, s[24:25]
	v_lshl_add_u64 v[2:3], v[2:3], 3, s[14:15]
	v_lshlrev_b32_e32 v40, 3, v6
	s_load_dwordx2 s[18:19], s[18:19], 0x0
	v_lshl_add_u64 v[2:3], v[2:3], 0, v[40:41]
	s_waitcnt lgkmcnt(0)
	v_lshl_add_u64 v[46:47], s[12:13], 0, v[2:3]
	v_mul_lo_u32 v2, s21, v0
	v_mul_lo_u32 v3, s20, v1
	v_mad_u64_u32 v[0:1], s[12:13], s20, v0, 0
	v_add3_u32 v1, v1, v3, v2
	s_lshl_b64 s[12:13], s[22:23], 3
	v_lshl_add_u64 v[0:1], v[0:1], 3, s[12:13]
	v_mov_b32_e32 v5, v41
	v_lshl_add_u64 v[0:1], v[0:1], 0, v[4:5]
	v_lshlrev_b32_e32 v49, 3, v36
	v_lshl_add_u64 v[52:53], s[18:19], 0, v[0:1]
	s_mov_b64 s[12:13], 0
	v_mov_b64_e32 v[54:55], s[8:9]
	v_mov_b32_e32 v40, v41
	v_mov_b32_e32 v44, v41
	;; [unrolled: 1-line block ×31, first 2 shown]
.LBB235_2:                              ; =>This Inner Loop Header: Depth=1
	flat_load_dwordx2 v[0:1], v[46:47]
	s_add_u32 s12, s12, 4
	s_addc_u32 s13, s13, 0
	v_cmp_lt_i64_e32 vcc, s[12:13], v[54:55]
	v_lshl_add_u64 v[46:47], v[46:47], 0, 32
	s_and_b64 vcc, exec, vcc
	s_waitcnt vmcnt(0) lgkmcnt(0)
	ds_write_b64 v43, v[0:1]
	flat_load_dwordx2 v[0:1], v[52:53]
	v_lshl_add_u64 v[52:53], v[52:53], 0, 32
	s_waitcnt vmcnt(0) lgkmcnt(0)
	ds_write_b64 v45, v[0:1]
	s_waitcnt lgkmcnt(0)
	s_barrier
	ds_read_b128 v[0:3], v51
	ds_read_b128 v[32:35], v51 offset:16
	ds_read2_b64 v[8:11], v49 offset1:16
	ds_read2_b64 v[12:15], v49 offset0:32 offset1:48
	s_waitcnt lgkmcnt(1)
	v_mul_f32_e32 v4, v1, v9
	v_fma_f32 v4, v0, v8, -v4
	v_mul_f32_e32 v5, v0, v9
	v_add_f32_e32 v20, v102, v4
	v_mul_f32_e32 v4, v1, v11
	v_fmac_f32_e32 v5, v1, v8
	v_fma_f32 v4, v0, v10, -v4
	v_add_f32_e32 v21, v104, v5
	v_mul_f32_e32 v5, v0, v11
	v_add_f32_e32 v22, v98, v4
	s_waitcnt lgkmcnt(0)
	v_mul_f32_e32 v4, v1, v13
	v_fmac_f32_e32 v5, v1, v10
	v_fma_f32 v4, v0, v12, -v4
	v_add_f32_e32 v23, v100, v5
	v_mul_f32_e32 v5, v0, v13
	v_add_f32_e32 v57, v94, v4
	v_mul_f32_e32 v4, v1, v15
	v_fmac_f32_e32 v5, v1, v12
	v_fma_f32 v4, v0, v14, -v4
	v_mul_f32_e32 v0, v0, v15
	v_add_f32_e32 v61, v96, v5
	v_fmac_f32_e32 v0, v1, v14
	v_add_f32_e32 v1, v90, v4
	ds_read_b128 v[4:7], v51 offset:512
	ds_read_b128 v[104:107], v51 offset:1040
	v_add_f32_e32 v0, v92, v0
	s_waitcnt lgkmcnt(1)
	v_mul_f32_e32 v16, v5, v9
	v_fma_f32 v16, v4, v8, -v16
	v_mul_f32_e32 v17, v4, v9
	v_add_f32_e32 v63, v86, v16
	v_mul_f32_e32 v16, v5, v11
	v_fmac_f32_e32 v17, v5, v8
	v_fma_f32 v16, v4, v10, -v16
	v_add_f32_e32 v65, v88, v17
	v_mul_f32_e32 v17, v4, v11
	v_add_f32_e32 v67, v82, v16
	v_mul_f32_e32 v16, v5, v13
	v_fmac_f32_e32 v17, v5, v10
	v_fma_f32 v16, v4, v12, -v16
	v_add_f32_e32 v69, v84, v17
	v_mul_f32_e32 v17, v4, v13
	v_add_f32_e32 v71, v78, v16
	v_mul_f32_e32 v16, v5, v15
	v_fmac_f32_e32 v17, v5, v12
	v_fma_f32 v16, v4, v14, -v16
	v_mul_f32_e32 v4, v4, v15
	v_add_f32_e32 v73, v80, v17
	v_fmac_f32_e32 v4, v5, v14
	v_add_f32_e32 v5, v74, v16
	ds_read_b128 v[16:19], v51 offset:1024
	v_add_f32_e32 v4, v76, v4
	s_waitcnt lgkmcnt(0)
	v_mul_f32_e32 v24, v17, v9
	v_fma_f32 v24, v16, v8, -v24
	v_mul_f32_e32 v25, v16, v9
	v_add_f32_e32 v70, v70, v24
	v_mul_f32_e32 v24, v17, v11
	v_fmac_f32_e32 v25, v17, v8
	v_fma_f32 v24, v16, v10, -v24
	v_add_f32_e32 v72, v72, v25
	v_mul_f32_e32 v25, v16, v11
	v_add_f32_e32 v66, v66, v24
	v_mul_f32_e32 v24, v17, v13
	v_fmac_f32_e32 v25, v17, v10
	v_fma_f32 v24, v16, v12, -v24
	v_add_f32_e32 v68, v68, v25
	v_mul_f32_e32 v25, v16, v13
	v_add_f32_e32 v62, v62, v24
	v_mul_f32_e32 v24, v17, v15
	v_fmac_f32_e32 v25, v17, v12
	v_fma_f32 v24, v16, v14, -v24
	v_mul_f32_e32 v16, v16, v15
	v_add_f32_e32 v64, v64, v25
	v_fmac_f32_e32 v16, v17, v14
	v_add_f32_e32 v17, v56, v24
	ds_read2_b64 v[24:27], v49 offset0:64 offset1:80
	v_add_f32_e32 v16, v60, v16
	s_waitcnt lgkmcnt(0)
	v_mul_f32_e32 v28, v3, v25
	v_mul_f32_e32 v29, v2, v25
	v_fma_f32 v28, v2, v24, -v28
	v_fmac_f32_e32 v29, v3, v24
	v_add_f32_e32 v20, v20, v28
	v_add_f32_e32 v21, v21, v29
	v_mul_f32_e32 v28, v3, v27
	v_mul_f32_e32 v29, v2, v27
	v_fma_f32 v28, v2, v26, -v28
	v_fmac_f32_e32 v29, v3, v26
	v_add_f32_e32 v22, v22, v28
	v_add_f32_e32 v23, v23, v29
	ds_read2_b64 v[28:31], v49 offset0:96 offset1:112
	s_waitcnt lgkmcnt(0)
	v_mul_f32_e32 v56, v3, v29
	v_mul_f32_e32 v60, v2, v29
	v_fma_f32 v56, v2, v28, -v56
	v_fmac_f32_e32 v60, v3, v28
	v_add_f32_e32 v56, v57, v56
	v_add_f32_e32 v57, v61, v60
	v_mul_f32_e32 v60, v3, v31
	v_fma_f32 v60, v2, v30, -v60
	v_mul_f32_e32 v2, v2, v31
	v_fmac_f32_e32 v2, v3, v30
	v_add_f32_e32 v60, v1, v60
	v_add_f32_e32 v61, v0, v2
	v_mul_f32_e32 v0, v7, v25
	v_mul_f32_e32 v1, v6, v25
	v_fma_f32 v0, v6, v24, -v0
	v_fmac_f32_e32 v1, v7, v24
	v_add_f32_e32 v74, v63, v0
	v_add_f32_e32 v65, v65, v1
	v_mul_f32_e32 v0, v7, v27
	v_mul_f32_e32 v1, v6, v27
	v_fma_f32 v0, v6, v26, -v0
	;; [unrolled: 6-line block ×6, first 2 shown]
	v_fmac_f32_e32 v1, v19, v26
	ds_read2_b64 v[4:7], v49 offset0:128 offset1:144
	v_add_f32_e32 v66, v66, v0
	v_add_f32_e32 v68, v68, v1
	v_mul_f32_e32 v0, v19, v29
	v_mul_f32_e32 v1, v18, v29
	v_fma_f32 v0, v18, v28, -v0
	v_fmac_f32_e32 v1, v19, v28
	v_add_f32_e32 v77, v62, v0
	v_add_f32_e32 v64, v64, v1
	v_mul_f32_e32 v0, v19, v31
	v_mul_f32_e32 v1, v18, v31
	v_fma_f32 v0, v18, v30, -v0
	v_fmac_f32_e32 v1, v19, v30
	v_add_f32_e32 v17, v17, v0
	v_add_f32_e32 v16, v16, v1
	s_waitcnt lgkmcnt(0)
	v_mul_f32_e32 v0, v33, v5
	v_mul_f32_e32 v1, v32, v5
	v_fma_f32 v0, v32, v4, -v0
	v_fmac_f32_e32 v1, v33, v4
	v_add_f32_e32 v18, v20, v0
	v_add_f32_e32 v19, v21, v1
	v_mul_f32_e32 v0, v33, v7
	v_mul_f32_e32 v1, v32, v7
	v_fma_f32 v0, v32, v6, -v0
	v_fmac_f32_e32 v1, v33, v6
	v_add_f32_e32 v78, v22, v0
	v_add_f32_e32 v79, v23, v1
	ds_read2_b64 v[0:3], v49 offset0:160 offset1:176
	s_waitcnt lgkmcnt(0)
	v_mul_f32_e32 v20, v33, v1
	v_mul_f32_e32 v21, v32, v1
	v_fma_f32 v20, v32, v0, -v20
	v_fmac_f32_e32 v21, v33, v0
	v_add_f32_e32 v56, v56, v20
	v_add_f32_e32 v57, v57, v21
	v_mul_f32_e32 v20, v33, v3
	v_mul_f32_e32 v21, v32, v3
	v_fma_f32 v20, v32, v2, -v20
	v_fmac_f32_e32 v21, v33, v2
	v_add_f32_e32 v32, v60, v20
	v_add_f32_e32 v33, v61, v21
	ds_read_b128 v[60:63], v51 offset:528
	s_waitcnt lgkmcnt(0)
	v_mul_f32_e32 v20, v61, v5
	v_mul_f32_e32 v21, v60, v5
	v_fma_f32 v20, v60, v4, -v20
	v_fmac_f32_e32 v21, v61, v4
	v_add_f32_e32 v74, v74, v20
	v_add_f32_e32 v65, v65, v21
	v_mul_f32_e32 v20, v61, v7
	v_mul_f32_e32 v21, v60, v7
	v_fma_f32 v20, v60, v6, -v20
	v_fmac_f32_e32 v21, v61, v6
	v_add_f32_e32 v67, v67, v20
	v_add_f32_e32 v69, v69, v21
	;; [unrolled: 6-line block ×8, first 2 shown]
	ds_read2_b64 v[20:23], v49 offset0:192 offset1:208
	s_waitcnt lgkmcnt(0)
	v_mul_f32_e32 v16, v35, v21
	v_mul_f32_e32 v17, v34, v21
	v_fma_f32 v16, v34, v20, -v16
	v_fmac_f32_e32 v17, v35, v20
	v_add_f32_e32 v102, v18, v16
	v_add_f32_e32 v104, v19, v17
	v_mul_f32_e32 v16, v35, v23
	v_mul_f32_e32 v17, v34, v23
	v_fma_f32 v16, v34, v22, -v16
	v_fmac_f32_e32 v17, v35, v22
	v_add_f32_e32 v98, v78, v16
	v_add_f32_e32 v100, v79, v17
	ds_read2_b64 v[16:19], v49 offset0:224 offset1:240
	s_waitcnt lgkmcnt(0)
	v_mul_f32_e32 v76, v35, v17
	v_fma_f32 v76, v34, v16, -v76
	v_add_f32_e32 v94, v56, v76
	v_mul_f32_e32 v56, v35, v19
	v_mul_f32_e32 v78, v34, v17
	v_fma_f32 v56, v34, v18, -v56
	v_mul_f32_e32 v34, v34, v19
	v_fmac_f32_e32 v34, v35, v18
	v_add_f32_e32 v90, v32, v56
	v_add_f32_e32 v92, v33, v34
	v_mul_f32_e32 v32, v63, v21
	v_mul_f32_e32 v33, v62, v21
	v_fma_f32 v32, v62, v20, -v32
	v_fmac_f32_e32 v33, v63, v20
	v_add_f32_e32 v86, v74, v32
	v_add_f32_e32 v88, v65, v33
	v_mul_f32_e32 v32, v63, v23
	v_mul_f32_e32 v33, v62, v23
	v_fma_f32 v32, v62, v22, -v32
	v_fmac_f32_e32 v33, v63, v22
	v_add_f32_e32 v82, v67, v32
	v_add_f32_e32 v84, v69, v33
	v_mul_f32_e32 v32, v63, v17
	v_mul_f32_e32 v33, v62, v17
	v_fmac_f32_e32 v78, v35, v16
	v_fma_f32 v32, v62, v16, -v32
	v_fmac_f32_e32 v33, v63, v16
	v_add_f32_e32 v96, v57, v78
	v_add_f32_e32 v78, v71, v32
	;; [unrolled: 1-line block ×3, first 2 shown]
	v_mul_f32_e32 v32, v63, v19
	v_mul_f32_e32 v33, v62, v19
	v_fma_f32 v32, v62, v18, -v32
	v_fmac_f32_e32 v33, v63, v18
	v_add_f32_e32 v74, v60, v32
	v_add_f32_e32 v76, v61, v33
	v_mul_f32_e32 v32, v107, v21
	v_mul_f32_e32 v33, v106, v21
	v_fma_f32 v32, v106, v20, -v32
	v_fmac_f32_e32 v33, v107, v20
	v_add_f32_e32 v70, v70, v32
	v_add_f32_e32 v72, v72, v33
	;; [unrolled: 6-line block ×5, first 2 shown]
	ds_read_b128 v[32:35], v51 offset:1536
	s_waitcnt lgkmcnt(0)
	v_mul_f32_e32 v57, v33, v9
	v_mul_f32_e32 v9, v32, v9
	v_fmac_f32_e32 v9, v33, v8
	v_fma_f32 v57, v32, v8, -v57
	v_add_f32_e32 v50, v50, v9
	v_mul_f32_e32 v8, v33, v11
	v_mul_f32_e32 v9, v32, v11
	v_fma_f32 v8, v32, v10, -v8
	v_fmac_f32_e32 v9, v33, v10
	v_add_f32_e32 v42, v42, v8
	v_add_f32_e32 v44, v44, v9
	v_mul_f32_e32 v8, v33, v13
	v_mul_f32_e32 v9, v32, v13
	v_fma_f32 v8, v32, v12, -v8
	v_fmac_f32_e32 v9, v33, v12
	v_add_f32_e32 v12, v40, v8
	v_add_f32_e32 v13, v41, v9
	v_pk_mul_f32 v[8:9], v[32:33], v[14:15] op_sel:[1,1] op_sel_hi:[0,1]
	v_pk_fma_f32 v[10:11], v[32:33], v[14:15], v[8:9] neg_lo:[0,0,1] neg_hi:[0,0,1]
	v_pk_fma_f32 v[8:9], v[32:33], v[14:15], v[8:9] op_sel_hi:[1,0,1]
	v_add_f32_e32 v48, v48, v57
	v_mov_b32_e32 v11, v9
	v_pk_add_f32 v[8:9], v[58:59], v[10:11]
	v_mul_f32_e32 v10, v35, v25
	v_mul_f32_e32 v11, v34, v25
	v_fma_f32 v10, v34, v24, -v10
	v_fmac_f32_e32 v11, v35, v24
	v_add_f32_e32 v32, v48, v10
	v_add_f32_e32 v33, v50, v11
	v_mul_f32_e32 v10, v35, v27
	v_mul_f32_e32 v11, v34, v27
	v_fma_f32 v10, v34, v26, -v10
	v_fmac_f32_e32 v11, v35, v26
	v_add_f32_e32 v24, v42, v10
	v_add_f32_e32 v25, v44, v11
	;; [unrolled: 6-line block ×3, first 2 shown]
	v_pk_mul_f32 v[10:11], v[34:35], v[30:31] op_sel:[1,1] op_sel_hi:[0,1]
	v_pk_fma_f32 v[12:13], v[34:35], v[30:31], v[10:11] neg_lo:[0,0,1] neg_hi:[0,0,1]
	v_pk_fma_f32 v[10:11], v[34:35], v[30:31], v[10:11] op_sel_hi:[1,0,1]
	s_nop 0
	v_mov_b32_e32 v13, v11
	v_pk_add_f32 v[12:13], v[8:9], v[12:13]
	ds_read_b128 v[8:11], v51 offset:1552
	s_waitcnt lgkmcnt(0)
	s_barrier
	v_mul_f32_e32 v26, v9, v5
	v_mul_f32_e32 v5, v8, v5
	v_fma_f32 v26, v8, v4, -v26
	v_fmac_f32_e32 v5, v9, v4
	v_mul_f32_e32 v4, v9, v7
	v_add_f32_e32 v27, v33, v5
	v_fma_f32 v4, v8, v6, -v4
	v_mul_f32_e32 v5, v8, v7
	v_fmac_f32_e32 v5, v9, v6
	v_add_f32_e32 v6, v24, v4
	v_mul_f32_e32 v4, v9, v1
	v_mul_f32_e32 v1, v8, v1
	v_fmac_f32_e32 v1, v9, v0
	v_fma_f32 v4, v8, v0, -v4
	v_add_f32_e32 v15, v15, v1
	v_pk_mul_f32 v[0:1], v[8:9], v[2:3] op_sel:[1,1] op_sel_hi:[0,1]
	v_add_f32_e32 v7, v25, v5
	v_add_f32_e32 v14, v14, v4
	v_pk_fma_f32 v[4:5], v[8:9], v[2:3], v[0:1] neg_lo:[0,0,1] neg_hi:[0,0,1]
	v_pk_fma_f32 v[0:1], v[8:9], v[2:3], v[0:1] op_sel_hi:[1,0,1]
	v_mul_f32_e32 v2, v11, v21
	v_mul_f32_e32 v3, v10, v21
	v_add_f32_e32 v26, v32, v26
	v_fma_f32 v2, v10, v20, -v2
	v_fmac_f32_e32 v3, v11, v20
	v_add_f32_e32 v48, v26, v2
	v_add_f32_e32 v50, v27, v3
	v_mul_f32_e32 v2, v11, v23
	v_mul_f32_e32 v3, v10, v23
	v_fma_f32 v2, v10, v22, -v2
	v_fmac_f32_e32 v3, v11, v22
	v_add_f32_e32 v42, v6, v2
	v_add_f32_e32 v44, v7, v3
	v_mul_f32_e32 v2, v11, v17
	v_mul_f32_e32 v3, v10, v17
	v_fma_f32 v2, v10, v16, -v2
	v_fmac_f32_e32 v3, v11, v16
	v_mov_b32_e32 v5, v1
	v_add_f32_e32 v40, v14, v2
	v_add_f32_e32 v41, v15, v3
	v_pk_mul_f32 v[2:3], v[10:11], v[18:19] op_sel:[1,1] op_sel_hi:[0,1]
	v_pk_add_f32 v[0:1], v[12:13], v[4:5]
	v_pk_fma_f32 v[4:5], v[10:11], v[18:19], v[2:3] neg_lo:[0,0,1] neg_hi:[0,0,1]
	v_pk_fma_f32 v[2:3], v[10:11], v[18:19], v[2:3] op_sel_hi:[1,0,1]
	s_nop 0
	v_mov_b32_e32 v5, v3
	v_pk_add_f32 v[58:59], v[0:1], v[4:5]
	s_cbranch_vccnz .LBB235_2
.LBB235_3:
	s_lshl_b64 s[8:9], s[38:39], 3
	s_waitcnt lgkmcnt(0)
	s_add_u32 s4, s4, s8
	s_addc_u32 s5, s5, s9
	s_or_b32 s8, s6, s7
	s_bitset0_b32 s8, 31
	v_lshl_add_u64 v[2:3], s[24:25], 0, v[38:39]
	s_cmp_lg_u32 s8, 0
	v_lshl_add_u64 v[0:1], s[2:3], 0, v[36:37]
	s_mov_b32 s2, s11
	s_mov_b32 s3, s10
	s_cbranch_scc1 .LBB235_5
; %bb.4:
	v_mul_lo_u32 v6, v3, s36
	v_mul_lo_u32 v7, v2, s37
	v_mad_u64_u32 v[4:5], s[8:9], v2, s36, 0
	v_add3_u32 v5, v5, v7, v6
	v_pk_mul_f32 v[6:7], v[104:105], s[2:3] op_sel_hi:[0,1]
	v_lshl_add_u64 v[4:5], v[4:5], 3, s[4:5]
	v_lshlrev_b64 v[8:9], 3, v[0:1]
	v_pk_fma_f32 v[12:13], v[102:103], s[2:3], v[6:7] op_sel:[0,1,0] op_sel_hi:[1,0,1] neg_lo:[0,0,1] neg_hi:[0,0,1]
	v_pk_fma_f32 v[6:7], v[102:103], s[2:3], v[6:7] op_sel:[0,1,0] op_sel_hi:[0,0,1]
	v_lshl_add_u64 v[10:11], v[4:5], 0, v[8:9]
	v_mov_b32_e32 v13, v7
	v_pk_mul_f32 v[6:7], v[100:101], s[2:3] op_sel_hi:[0,1]
	flat_store_dwordx2 v[10:11], v[12:13]
	v_pk_fma_f32 v[12:13], v[98:99], s[2:3], v[6:7] op_sel:[0,1,0] op_sel_hi:[1,0,1] neg_lo:[0,0,1] neg_hi:[0,0,1]
	v_pk_fma_f32 v[6:7], v[98:99], s[2:3], v[6:7] op_sel:[0,1,0] op_sel_hi:[0,0,1]
	v_mov_b32_e32 v13, v7
	v_pk_mul_f32 v[6:7], v[96:97], s[2:3] op_sel_hi:[0,1]
	flat_store_dwordx2 v[10:11], v[12:13] offset:128
	v_pk_fma_f32 v[12:13], v[94:95], s[2:3], v[6:7] op_sel:[0,1,0] op_sel_hi:[1,0,1] neg_lo:[0,0,1] neg_hi:[0,0,1]
	v_pk_fma_f32 v[6:7], v[94:95], s[2:3], v[6:7] op_sel:[0,1,0] op_sel_hi:[0,0,1]
	v_mov_b32_e32 v13, v7
	v_pk_mul_f32 v[6:7], v[92:93], s[2:3] op_sel_hi:[0,1]
	flat_store_dwordx2 v[10:11], v[12:13] offset:256
	v_pk_fma_f32 v[12:13], v[90:91], s[2:3], v[6:7] op_sel:[0,1,0] op_sel_hi:[1,0,1] neg_lo:[0,0,1] neg_hi:[0,0,1]
	v_pk_fma_f32 v[6:7], v[90:91], s[2:3], v[6:7] op_sel:[0,1,0] op_sel_hi:[0,0,1]
	v_mov_b32_e32 v13, v7
	s_lshl_b64 s[8:9], s[36:37], 7
	v_pk_mul_f32 v[6:7], v[88:89], s[2:3] op_sel_hi:[0,1]
	flat_store_dwordx2 v[10:11], v[12:13] offset:384
	v_lshl_add_u64 v[4:5], v[4:5], 0, s[8:9]
	v_pk_fma_f32 v[12:13], v[86:87], s[2:3], v[6:7] op_sel:[0,1,0] op_sel_hi:[1,0,1] neg_lo:[0,0,1] neg_hi:[0,0,1]
	v_pk_fma_f32 v[6:7], v[86:87], s[2:3], v[6:7] op_sel:[0,1,0] op_sel_hi:[0,0,1]
	v_lshl_add_u64 v[10:11], v[4:5], 0, v[8:9]
	v_mov_b32_e32 v13, v7
	v_pk_mul_f32 v[6:7], v[84:85], s[2:3] op_sel_hi:[0,1]
	flat_store_dwordx2 v[10:11], v[12:13]
	v_pk_fma_f32 v[12:13], v[82:83], s[2:3], v[6:7] op_sel:[0,1,0] op_sel_hi:[1,0,1] neg_lo:[0,0,1] neg_hi:[0,0,1]
	v_pk_fma_f32 v[6:7], v[82:83], s[2:3], v[6:7] op_sel:[0,1,0] op_sel_hi:[0,0,1]
	v_mov_b32_e32 v13, v7
	v_pk_mul_f32 v[6:7], v[80:81], s[2:3] op_sel_hi:[0,1]
	flat_store_dwordx2 v[10:11], v[12:13] offset:128
	v_pk_fma_f32 v[12:13], v[78:79], s[2:3], v[6:7] op_sel:[0,1,0] op_sel_hi:[1,0,1] neg_lo:[0,0,1] neg_hi:[0,0,1]
	v_pk_fma_f32 v[6:7], v[78:79], s[2:3], v[6:7] op_sel:[0,1,0] op_sel_hi:[0,0,1]
	v_mov_b32_e32 v13, v7
	v_pk_mul_f32 v[6:7], v[76:77], s[2:3] op_sel_hi:[0,1]
	flat_store_dwordx2 v[10:11], v[12:13] offset:256
	;; [unrolled: 5-line block ×3, first 2 shown]
	v_lshl_add_u64 v[4:5], v[4:5], 0, s[8:9]
	v_pk_fma_f32 v[12:13], v[70:71], s[2:3], v[6:7] op_sel:[0,1,0] op_sel_hi:[1,0,1] neg_lo:[0,0,1] neg_hi:[0,0,1]
	v_pk_fma_f32 v[6:7], v[70:71], s[2:3], v[6:7] op_sel:[0,1,0] op_sel_hi:[0,0,1]
	v_lshl_add_u64 v[10:11], v[4:5], 0, v[8:9]
	v_mov_b32_e32 v13, v7
	v_pk_mul_f32 v[6:7], v[68:69], s[2:3] op_sel_hi:[0,1]
	flat_store_dwordx2 v[10:11], v[12:13]
	v_pk_fma_f32 v[12:13], v[66:67], s[2:3], v[6:7] op_sel:[0,1,0] op_sel_hi:[1,0,1] neg_lo:[0,0,1] neg_hi:[0,0,1]
	v_pk_fma_f32 v[6:7], v[66:67], s[2:3], v[6:7] op_sel:[0,1,0] op_sel_hi:[0,0,1]
	v_mov_b32_e32 v13, v7
	v_pk_mul_f32 v[6:7], v[64:65], s[2:3] op_sel_hi:[0,1]
	flat_store_dwordx2 v[10:11], v[12:13] offset:128
	v_pk_fma_f32 v[12:13], v[62:63], s[2:3], v[6:7] op_sel:[0,1,0] op_sel_hi:[1,0,1] neg_lo:[0,0,1] neg_hi:[0,0,1]
	v_pk_fma_f32 v[6:7], v[62:63], s[2:3], v[6:7] op_sel:[0,1,0] op_sel_hi:[0,0,1]
	v_mov_b32_e32 v13, v7
	v_pk_mul_f32 v[6:7], v[60:61], s[2:3] op_sel_hi:[0,1]
	flat_store_dwordx2 v[10:11], v[12:13] offset:256
	v_pk_fma_f32 v[12:13], v[56:57], s[2:3], v[6:7] op_sel:[0,1,0] op_sel_hi:[1,0,1] neg_lo:[0,0,1] neg_hi:[0,0,1]
	v_pk_fma_f32 v[6:7], v[56:57], s[2:3], v[6:7] op_sel:[0,1,0] op_sel_hi:[0,0,1]
	v_mov_b32_e32 v13, v7
	v_lshl_add_u64 v[4:5], v[4:5], 0, s[8:9]
	v_pk_mul_f32 v[6:7], v[50:51], s[2:3] op_sel_hi:[0,1]
	v_lshl_add_u64 v[8:9], v[4:5], 0, v[8:9]
	v_pk_fma_f32 v[4:5], v[48:49], s[2:3], v[6:7] op_sel:[0,1,0] op_sel_hi:[1,0,1] neg_lo:[0,0,1] neg_hi:[0,0,1]
	v_pk_fma_f32 v[6:7], v[48:49], s[2:3], v[6:7] op_sel:[0,1,0] op_sel_hi:[0,0,1]
	v_mov_b32_e32 v5, v7
	flat_store_dwordx2 v[10:11], v[12:13] offset:384
	flat_store_dwordx2 v[8:9], v[4:5]
	v_pk_mul_f32 v[4:5], v[44:45], s[2:3] op_sel_hi:[0,1]
	v_pk_fma_f32 v[6:7], v[42:43], s[2:3], v[4:5] op_sel:[0,1,0] op_sel_hi:[1,0,1] neg_lo:[0,0,1] neg_hi:[0,0,1]
	v_pk_fma_f32 v[4:5], v[42:43], s[2:3], v[4:5] op_sel:[0,1,0] op_sel_hi:[0,0,1]
	v_mov_b32_e32 v4, v41
	v_mov_b32_e32 v7, v5
	v_pk_mul_f32 v[4:5], v[4:5], s[2:3] op_sel_hi:[0,1]
	flat_store_dwordx2 v[8:9], v[6:7] offset:128
	v_pk_fma_f32 v[6:7], v[40:41], s[2:3], v[4:5] op_sel:[0,1,0] op_sel_hi:[1,0,1] neg_lo:[0,0,1] neg_hi:[0,0,1]
	v_pk_fma_f32 v[4:5], v[40:41], s[2:3], v[4:5] op_sel:[0,1,0] op_sel_hi:[0,0,1]
	v_mov_b32_e32 v7, v5
	v_mul_f32_e32 v4, s3, v58
	flat_store_dwordx2 v[8:9], v[6:7] offset:256
	v_fma_f32 v7, -v59, s2, v4
	v_pk_mul_f32 v[4:5], v[58:59], s[2:3]
	s_mov_b64 s[8:9], 0x180
	v_add_f32_e32 v6, v4, v5
	v_lshl_add_u64 v[4:5], v[8:9], 0, s[8:9]
	flat_store_dword v[8:9], v7 offset:384
	s_cbranch_execz .LBB235_6
	s_branch .LBB235_7
.LBB235_5:
                                        ; implicit-def: $vgpr6
                                        ; implicit-def: $vgpr4_vgpr5
.LBB235_6:
	s_lshl_b64 s[8:9], s[28:29], 3
	s_add_u32 s0, s0, s8
	s_addc_u32 s1, s1, s9
	v_mul_lo_u32 v6, v3, s26
	v_mul_lo_u32 v7, v2, s27
	v_mad_u64_u32 v[4:5], s[8:9], v2, s26, 0
	v_add3_u32 v5, v5, v7, v6
	v_lshl_add_u64 v[4:5], v[4:5], 3, s[0:1]
	v_lshlrev_b64 v[0:1], 3, v[0:1]
	v_lshl_add_u64 v[6:7], v[4:5], 0, v[0:1]
	flat_load_dwordx2 v[8:9], v[6:7]
	v_mul_lo_u32 v12, v3, s36
	v_mul_lo_u32 v13, v2, s37
	v_mad_u64_u32 v[2:3], s[0:1], v2, s36, 0
	s_mov_b32 s0, s7
	v_pk_mul_f32 v[10:11], v[104:105], s[2:3] op_sel_hi:[0,1]
	v_add3_u32 v3, v3, v13, v12
	v_pk_fma_f32 v[12:13], v[102:103], s[2:3], v[10:11] op_sel:[0,1,0] op_sel_hi:[1,0,1] neg_lo:[0,0,1] neg_hi:[0,0,1]
	v_pk_fma_f32 v[10:11], v[102:103], s[2:3], v[10:11] op_sel:[0,1,0] op_sel_hi:[0,0,1]
	v_lshl_add_u64 v[2:3], v[2:3], 3, s[4:5]
	v_mov_b32_e32 v13, v11
	v_lshl_add_u64 v[10:11], v[2:3], 0, v[0:1]
	s_lshl_b64 s[4:5], s[26:27], 7
	v_lshl_add_u64 v[4:5], v[4:5], 0, s[4:5]
	s_lshl_b64 s[8:9], s[36:37], 7
	v_lshl_add_u64 v[2:3], v[2:3], 0, s[8:9]
	s_mov_b32 s11, s6
	s_waitcnt vmcnt(0) lgkmcnt(0)
	v_pk_mul_f32 v[14:15], v[8:9], s[0:1] op_sel_hi:[1,0]
	s_nop 0
	v_pk_fma_f32 v[16:17], v[8:9], s[6:7], v[14:15] op_sel:[0,0,1] op_sel_hi:[1,1,0] neg_lo:[0,0,1] neg_hi:[0,0,1]
	v_pk_fma_f32 v[8:9], v[8:9], s[6:7], v[14:15] op_sel:[0,0,1] op_sel_hi:[1,0,0]
	s_nop 0
	v_mov_b32_e32 v17, v9
	v_pk_add_f32 v[8:9], v[12:13], v[16:17]
	flat_store_dwordx2 v[10:11], v[8:9]
	flat_load_dwordx2 v[8:9], v[6:7] offset:128
	v_pk_mul_f32 v[12:13], v[100:101], s[2:3] op_sel_hi:[0,1]
	v_pk_fma_f32 v[14:15], v[98:99], s[2:3], v[12:13] op_sel:[0,1,0] op_sel_hi:[1,0,1] neg_lo:[0,0,1] neg_hi:[0,0,1]
	v_pk_fma_f32 v[12:13], v[98:99], s[2:3], v[12:13] op_sel:[0,1,0] op_sel_hi:[0,0,1]
	v_mov_b32_e32 v15, v13
	s_waitcnt vmcnt(0) lgkmcnt(0)
	v_pk_mul_f32 v[12:13], v[8:9], s[0:1] op_sel_hi:[1,0]
	s_nop 0
	v_pk_fma_f32 v[16:17], v[8:9], s[6:7], v[12:13] op_sel:[0,0,1] op_sel_hi:[1,1,0] neg_lo:[0,0,1] neg_hi:[0,0,1]
	v_pk_fma_f32 v[8:9], v[8:9], s[6:7], v[12:13] op_sel:[0,0,1] op_sel_hi:[1,0,0]
	v_pk_mul_f32 v[12:13], v[96:97], s[2:3] op_sel_hi:[0,1]
	v_mov_b32_e32 v17, v9
	v_pk_add_f32 v[8:9], v[14:15], v[16:17]
	flat_store_dwordx2 v[10:11], v[8:9] offset:128
	flat_load_dwordx2 v[8:9], v[6:7] offset:256
	v_pk_fma_f32 v[14:15], v[94:95], s[2:3], v[12:13] op_sel:[0,1,0] op_sel_hi:[1,0,1] neg_lo:[0,0,1] neg_hi:[0,0,1]
	v_pk_fma_f32 v[12:13], v[94:95], s[2:3], v[12:13] op_sel:[0,1,0] op_sel_hi:[0,0,1]
	v_mov_b32_e32 v15, v13
	s_waitcnt vmcnt(0) lgkmcnt(0)
	v_pk_mul_f32 v[12:13], v[8:9], s[0:1] op_sel_hi:[1,0]
	s_nop 0
	v_pk_fma_f32 v[16:17], v[8:9], s[6:7], v[12:13] op_sel:[0,0,1] op_sel_hi:[1,1,0] neg_lo:[0,0,1] neg_hi:[0,0,1]
	v_pk_fma_f32 v[8:9], v[8:9], s[6:7], v[12:13] op_sel:[0,0,1] op_sel_hi:[1,0,0]
	s_nop 0
	v_mov_b32_e32 v17, v9
	v_pk_add_f32 v[8:9], v[14:15], v[16:17]
	flat_store_dwordx2 v[10:11], v[8:9] offset:256
	flat_load_dwordx2 v[6:7], v[6:7] offset:384
	v_pk_mul_f32 v[8:9], v[92:93], s[2:3] op_sel_hi:[0,1]
	v_pk_fma_f32 v[12:13], v[90:91], s[2:3], v[8:9] op_sel:[0,1,0] op_sel_hi:[1,0,1] neg_lo:[0,0,1] neg_hi:[0,0,1]
	v_pk_fma_f32 v[8:9], v[90:91], s[2:3], v[8:9] op_sel:[0,1,0] op_sel_hi:[0,0,1]
	v_mov_b32_e32 v13, v9
	v_lshl_add_u64 v[8:9], v[4:5], 0, v[0:1]
	v_lshl_add_u64 v[4:5], v[4:5], 0, s[4:5]
	s_waitcnt vmcnt(0) lgkmcnt(0)
	v_pk_mul_f32 v[14:15], v[6:7], s[0:1] op_sel_hi:[1,0]
	s_nop 0
	v_pk_fma_f32 v[16:17], v[6:7], s[6:7], v[14:15] op_sel:[0,0,1] op_sel_hi:[1,1,0] neg_lo:[0,0,1] neg_hi:[0,0,1]
	v_pk_fma_f32 v[6:7], v[6:7], s[6:7], v[14:15] op_sel:[0,0,1] op_sel_hi:[1,0,0]
	s_nop 0
	v_mov_b32_e32 v17, v7
	v_pk_add_f32 v[6:7], v[12:13], v[16:17]
	flat_store_dwordx2 v[10:11], v[6:7] offset:384
	flat_load_dwordx2 v[6:7], v[8:9]
	v_pk_mul_f32 v[10:11], v[88:89], s[2:3] op_sel_hi:[0,1]
	v_pk_fma_f32 v[12:13], v[86:87], s[2:3], v[10:11] op_sel:[0,1,0] op_sel_hi:[1,0,1] neg_lo:[0,0,1] neg_hi:[0,0,1]
	v_pk_fma_f32 v[10:11], v[86:87], s[2:3], v[10:11] op_sel:[0,1,0] op_sel_hi:[0,0,1]
	v_mov_b32_e32 v13, v11
	v_lshl_add_u64 v[10:11], v[2:3], 0, v[0:1]
	v_lshl_add_u64 v[2:3], v[2:3], 0, s[8:9]
	s_waitcnt vmcnt(0) lgkmcnt(0)
	v_pk_mul_f32 v[14:15], v[6:7], s[0:1] op_sel_hi:[1,0]
	s_nop 0
	v_pk_fma_f32 v[16:17], v[6:7], s[6:7], v[14:15] op_sel:[0,0,1] op_sel_hi:[1,1,0] neg_lo:[0,0,1] neg_hi:[0,0,1]
	v_pk_fma_f32 v[6:7], v[6:7], s[6:7], v[14:15] op_sel:[0,0,1] op_sel_hi:[1,0,0]
	s_nop 0
	v_mov_b32_e32 v17, v7
	v_pk_add_f32 v[6:7], v[12:13], v[16:17]
	flat_store_dwordx2 v[10:11], v[6:7]
	flat_load_dwordx2 v[6:7], v[8:9] offset:128
	v_pk_mul_f32 v[12:13], v[84:85], s[2:3] op_sel_hi:[0,1]
	v_pk_fma_f32 v[14:15], v[82:83], s[2:3], v[12:13] op_sel:[0,1,0] op_sel_hi:[1,0,1] neg_lo:[0,0,1] neg_hi:[0,0,1]
	v_pk_fma_f32 v[12:13], v[82:83], s[2:3], v[12:13] op_sel:[0,1,0] op_sel_hi:[0,0,1]
	v_mov_b32_e32 v15, v13
	s_waitcnt vmcnt(0) lgkmcnt(0)
	v_pk_mul_f32 v[12:13], v[6:7], s[0:1] op_sel_hi:[1,0]
	s_nop 0
	v_pk_fma_f32 v[16:17], v[6:7], s[6:7], v[12:13] op_sel:[0,0,1] op_sel_hi:[1,1,0] neg_lo:[0,0,1] neg_hi:[0,0,1]
	v_pk_fma_f32 v[6:7], v[6:7], s[6:7], v[12:13] op_sel:[0,0,1] op_sel_hi:[1,0,0]
	v_pk_mul_f32 v[12:13], v[80:81], s[2:3] op_sel_hi:[0,1]
	v_mov_b32_e32 v17, v7
	v_pk_add_f32 v[6:7], v[14:15], v[16:17]
	flat_store_dwordx2 v[10:11], v[6:7] offset:128
	flat_load_dwordx2 v[6:7], v[8:9] offset:256
	v_pk_fma_f32 v[14:15], v[78:79], s[2:3], v[12:13] op_sel:[0,1,0] op_sel_hi:[1,0,1] neg_lo:[0,0,1] neg_hi:[0,0,1]
	v_pk_fma_f32 v[12:13], v[78:79], s[2:3], v[12:13] op_sel:[0,1,0] op_sel_hi:[0,0,1]
	v_mov_b32_e32 v15, v13
	s_waitcnt vmcnt(0) lgkmcnt(0)
	v_pk_mul_f32 v[12:13], v[6:7], s[0:1] op_sel_hi:[1,0]
	s_nop 0
	v_pk_fma_f32 v[16:17], v[6:7], s[6:7], v[12:13] op_sel:[0,0,1] op_sel_hi:[1,1,0] neg_lo:[0,0,1] neg_hi:[0,0,1]
	v_pk_fma_f32 v[6:7], v[6:7], s[6:7], v[12:13] op_sel:[0,0,1] op_sel_hi:[1,0,0]
	s_nop 0
	v_mov_b32_e32 v17, v7
	v_pk_add_f32 v[6:7], v[14:15], v[16:17]
	flat_store_dwordx2 v[10:11], v[6:7] offset:256
	flat_load_dwordx2 v[6:7], v[8:9] offset:384
	v_pk_mul_f32 v[8:9], v[76:77], s[2:3] op_sel_hi:[0,1]
	v_pk_fma_f32 v[12:13], v[74:75], s[2:3], v[8:9] op_sel:[0,1,0] op_sel_hi:[1,0,1] neg_lo:[0,0,1] neg_hi:[0,0,1]
	v_pk_fma_f32 v[8:9], v[74:75], s[2:3], v[8:9] op_sel:[0,1,0] op_sel_hi:[0,0,1]
	v_mov_b32_e32 v13, v9
	v_lshl_add_u64 v[8:9], v[4:5], 0, v[0:1]
	v_lshl_add_u64 v[4:5], v[4:5], 0, s[4:5]
	v_lshl_add_u64 v[4:5], v[4:5], 0, v[0:1]
	s_waitcnt vmcnt(0) lgkmcnt(0)
	v_pk_mul_f32 v[14:15], v[6:7], s[0:1] op_sel_hi:[1,0]
	s_nop 0
	v_pk_fma_f32 v[16:17], v[6:7], s[6:7], v[14:15] op_sel:[0,0,1] op_sel_hi:[1,1,0] neg_lo:[0,0,1] neg_hi:[0,0,1]
	v_pk_fma_f32 v[6:7], v[6:7], s[6:7], v[14:15] op_sel:[0,0,1] op_sel_hi:[1,0,0]
	s_nop 0
	v_mov_b32_e32 v17, v7
	v_pk_add_f32 v[6:7], v[12:13], v[16:17]
	flat_store_dwordx2 v[10:11], v[6:7] offset:384
	flat_load_dwordx2 v[6:7], v[8:9]
	v_pk_mul_f32 v[10:11], v[72:73], s[2:3] op_sel_hi:[0,1]
	v_pk_fma_f32 v[12:13], v[70:71], s[2:3], v[10:11] op_sel:[0,1,0] op_sel_hi:[1,0,1] neg_lo:[0,0,1] neg_hi:[0,0,1]
	v_pk_fma_f32 v[10:11], v[70:71], s[2:3], v[10:11] op_sel:[0,1,0] op_sel_hi:[0,0,1]
	v_mov_b32_e32 v13, v11
	v_lshl_add_u64 v[10:11], v[2:3], 0, v[0:1]
	v_lshl_add_u64 v[2:3], v[2:3], 0, s[8:9]
	;; [unrolled: 1-line block ×3, first 2 shown]
	s_waitcnt vmcnt(0) lgkmcnt(0)
	v_pk_mul_f32 v[14:15], v[6:7], s[0:1] op_sel_hi:[1,0]
	s_nop 0
	v_pk_fma_f32 v[16:17], v[6:7], s[6:7], v[14:15] op_sel:[0,0,1] op_sel_hi:[1,1,0] neg_lo:[0,0,1] neg_hi:[0,0,1]
	v_pk_fma_f32 v[6:7], v[6:7], s[6:7], v[14:15] op_sel:[0,0,1] op_sel_hi:[1,0,0]
	s_nop 0
	v_mov_b32_e32 v17, v7
	v_pk_add_f32 v[6:7], v[12:13], v[16:17]
	flat_store_dwordx2 v[10:11], v[6:7]
	flat_load_dwordx2 v[6:7], v[8:9] offset:128
	v_pk_mul_f32 v[12:13], v[68:69], s[2:3] op_sel_hi:[0,1]
	v_pk_fma_f32 v[14:15], v[66:67], s[2:3], v[12:13] op_sel:[0,1,0] op_sel_hi:[1,0,1] neg_lo:[0,0,1] neg_hi:[0,0,1]
	v_pk_fma_f32 v[12:13], v[66:67], s[2:3], v[12:13] op_sel:[0,1,0] op_sel_hi:[0,0,1]
	v_mov_b32_e32 v15, v13
	s_waitcnt vmcnt(0) lgkmcnt(0)
	v_pk_mul_f32 v[12:13], v[6:7], s[0:1] op_sel_hi:[1,0]
	s_nop 0
	v_pk_fma_f32 v[16:17], v[6:7], s[6:7], v[12:13] op_sel:[0,0,1] op_sel_hi:[1,1,0] neg_lo:[0,0,1] neg_hi:[0,0,1]
	v_pk_fma_f32 v[6:7], v[6:7], s[6:7], v[12:13] op_sel:[0,0,1] op_sel_hi:[1,0,0]
	v_pk_mul_f32 v[12:13], v[64:65], s[2:3] op_sel_hi:[0,1]
	v_mov_b32_e32 v17, v7
	v_pk_add_f32 v[6:7], v[14:15], v[16:17]
	flat_store_dwordx2 v[10:11], v[6:7] offset:128
	flat_load_dwordx2 v[6:7], v[8:9] offset:256
	v_pk_fma_f32 v[14:15], v[62:63], s[2:3], v[12:13] op_sel:[0,1,0] op_sel_hi:[1,0,1] neg_lo:[0,0,1] neg_hi:[0,0,1]
	v_pk_fma_f32 v[12:13], v[62:63], s[2:3], v[12:13] op_sel:[0,1,0] op_sel_hi:[0,0,1]
	v_mov_b32_e32 v15, v13
	s_waitcnt vmcnt(0) lgkmcnt(0)
	v_pk_mul_f32 v[12:13], v[6:7], s[0:1] op_sel_hi:[1,0]
	s_nop 0
	v_pk_fma_f32 v[16:17], v[6:7], s[6:7], v[12:13] op_sel:[0,0,1] op_sel_hi:[1,1,0] neg_lo:[0,0,1] neg_hi:[0,0,1]
	v_pk_fma_f32 v[6:7], v[6:7], s[6:7], v[12:13] op_sel:[0,0,1] op_sel_hi:[1,0,0]
	s_nop 0
	v_mov_b32_e32 v17, v7
	v_pk_add_f32 v[6:7], v[14:15], v[16:17]
	flat_store_dwordx2 v[10:11], v[6:7] offset:256
	flat_load_dwordx2 v[6:7], v[8:9] offset:384
	v_pk_mul_f32 v[8:9], v[60:61], s[2:3] op_sel_hi:[0,1]
	v_pk_fma_f32 v[12:13], v[56:57], s[2:3], v[8:9] op_sel:[0,1,0] op_sel_hi:[1,0,1] neg_lo:[0,0,1] neg_hi:[0,0,1]
	v_pk_fma_f32 v[8:9], v[56:57], s[2:3], v[8:9] op_sel:[0,1,0] op_sel_hi:[0,0,1]
	v_mov_b32_e32 v13, v9
	s_waitcnt vmcnt(0) lgkmcnt(0)
	v_pk_mul_f32 v[8:9], v[6:7], s[0:1] op_sel_hi:[1,0]
	s_nop 0
	v_pk_fma_f32 v[14:15], v[6:7], s[6:7], v[8:9] op_sel:[0,0,1] op_sel_hi:[1,1,0] neg_lo:[0,0,1] neg_hi:[0,0,1]
	v_pk_fma_f32 v[6:7], v[6:7], s[6:7], v[8:9] op_sel:[0,0,1] op_sel_hi:[1,0,0]
	v_pk_mul_f32 v[8:9], v[50:51], s[2:3] op_sel_hi:[0,1]
	v_mov_b32_e32 v15, v7
	v_pk_add_f32 v[6:7], v[12:13], v[14:15]
	flat_store_dwordx2 v[10:11], v[6:7] offset:384
	flat_load_dwordx2 v[6:7], v[4:5]
	v_pk_fma_f32 v[10:11], v[48:49], s[2:3], v[8:9] op_sel:[0,1,0] op_sel_hi:[1,0,1] neg_lo:[0,0,1] neg_hi:[0,0,1]
	v_pk_fma_f32 v[8:9], v[48:49], s[2:3], v[8:9] op_sel:[0,1,0] op_sel_hi:[0,0,1]
	v_mov_b32_e32 v11, v9
	s_waitcnt vmcnt(0) lgkmcnt(0)
	v_pk_mul_f32 v[2:3], v[6:7], s[0:1] op_sel_hi:[1,0]
	s_nop 0
	v_pk_fma_f32 v[8:9], v[6:7], s[6:7], v[2:3] op_sel:[0,0,1] op_sel_hi:[1,1,0] neg_lo:[0,0,1] neg_hi:[0,0,1]
	v_pk_fma_f32 v[2:3], v[6:7], s[6:7], v[2:3] op_sel:[0,0,1] op_sel_hi:[1,0,0]
	v_pk_mul_f32 v[6:7], v[44:45], s[2:3] op_sel_hi:[0,1]
	v_mov_b32_e32 v9, v3
	v_pk_add_f32 v[2:3], v[10:11], v[8:9]
	flat_store_dwordx2 v[0:1], v[2:3]
	flat_load_dwordx2 v[2:3], v[4:5] offset:128
	v_pk_fma_f32 v[8:9], v[42:43], s[2:3], v[6:7] op_sel:[0,1,0] op_sel_hi:[1,0,1] neg_lo:[0,0,1] neg_hi:[0,0,1]
	v_pk_fma_f32 v[6:7], v[42:43], s[2:3], v[6:7] op_sel:[0,1,0] op_sel_hi:[0,0,1]
	v_mov_b32_e32 v9, v7
	s_waitcnt vmcnt(0) lgkmcnt(0)
	v_pk_mul_f32 v[6:7], v[2:3], s[0:1] op_sel_hi:[1,0]
	s_nop 0
	v_pk_fma_f32 v[10:11], v[2:3], s[6:7], v[6:7] op_sel:[0,0,1] op_sel_hi:[1,1,0] neg_lo:[0,0,1] neg_hi:[0,0,1]
	v_pk_fma_f32 v[2:3], v[2:3], s[6:7], v[6:7] op_sel:[0,0,1] op_sel_hi:[1,0,0]
	v_mov_b32_e32 v6, v41
	v_mov_b32_e32 v11, v3
	v_pk_add_f32 v[2:3], v[8:9], v[10:11]
	flat_store_dwordx2 v[0:1], v[2:3] offset:128
	flat_load_dwordx2 v[2:3], v[4:5] offset:256
	v_pk_mul_f32 v[6:7], v[6:7], s[2:3] op_sel_hi:[0,1]
	v_pk_fma_f32 v[8:9], v[40:41], s[2:3], v[6:7] op_sel:[0,1,0] op_sel_hi:[1,0,1] neg_lo:[0,0,1] neg_hi:[0,0,1]
	v_pk_fma_f32 v[6:7], v[40:41], s[2:3], v[6:7] op_sel:[0,1,0] op_sel_hi:[0,0,1]
	v_mov_b32_e32 v9, v7
	s_waitcnt vmcnt(0) lgkmcnt(0)
	v_pk_mul_f32 v[6:7], v[2:3], s[0:1] op_sel_hi:[1,0]
	s_nop 0
	v_pk_fma_f32 v[10:11], v[2:3], s[6:7], v[6:7] op_sel:[0,0,1] op_sel_hi:[1,1,0] neg_lo:[0,0,1] neg_hi:[0,0,1]
	v_pk_fma_f32 v[2:3], v[2:3], s[6:7], v[6:7] op_sel:[0,0,1] op_sel_hi:[1,0,0]
	v_mov_b32_e32 v6, v58
	v_mov_b32_e32 v11, v3
	v_pk_add_f32 v[2:3], v[8:9], v[10:11]
	flat_store_dwordx2 v[0:1], v[2:3] offset:256
	flat_load_dwordx2 v[2:3], v[4:5] offset:384
	v_mul_f32_e32 v4, s3, v58
	s_mov_b32 s3, s7
	s_mov_b64 s[0:1], 0x180
	v_fma_f32 v8, -v59, s2, v4
	v_lshl_add_u64 v[4:5], v[0:1], 0, s[0:1]
	s_waitcnt vmcnt(0) lgkmcnt(0)
	v_mul_f32_e32 v9, s7, v3
	v_mov_b32_e32 v7, v2
	v_fma_f32 v9, v2, s6, -v9
	v_mov_b32_e32 v2, v59
	v_pk_mul_f32 v[2:3], v[2:3], s[10:11]
	v_add_f32_e32 v8, v8, v9
	v_pk_fma_f32 v[2:3], v[6:7], s[2:3], v[2:3]
	flat_store_dword v[0:1], v8 offset:384
	v_add_f32_e32 v6, v2, v3
.LBB235_7:
	flat_store_dword v[4:5], v6 offset:4
	s_endpgm
	.section	.rodata,"a",@progbits
	.p2align	6, 0x0
	.amdhsa_kernel _ZN12_GLOBAL__N_127rocblas_gemm_batched_kernelI19rocblas_complex_numIfELi16ELi16ELi64ELi64ELi4ELi64ELi4ELi4ELi64ELc84ELc78EKPKS2_S5_KPS2_EEvlllT_PT11_llSA_llS8_PT12_llPT13_lli
		.amdhsa_group_segment_fixed_size 4096
		.amdhsa_private_segment_fixed_size 0
		.amdhsa_kernarg_size 140
		.amdhsa_user_sgpr_count 2
		.amdhsa_user_sgpr_dispatch_ptr 0
		.amdhsa_user_sgpr_queue_ptr 0
		.amdhsa_user_sgpr_kernarg_segment_ptr 1
		.amdhsa_user_sgpr_dispatch_id 0
		.amdhsa_user_sgpr_kernarg_preload_length 0
		.amdhsa_user_sgpr_kernarg_preload_offset 0
		.amdhsa_user_sgpr_private_segment_size 0
		.amdhsa_uses_dynamic_stack 0
		.amdhsa_enable_private_segment 0
		.amdhsa_system_sgpr_workgroup_id_x 1
		.amdhsa_system_sgpr_workgroup_id_y 1
		.amdhsa_system_sgpr_workgroup_id_z 1
		.amdhsa_system_sgpr_workgroup_info 0
		.amdhsa_system_vgpr_workitem_id 1
		.amdhsa_next_free_vgpr 108
		.amdhsa_next_free_sgpr 42
		.amdhsa_accum_offset 108
		.amdhsa_reserve_vcc 1
		.amdhsa_float_round_mode_32 0
		.amdhsa_float_round_mode_16_64 0
		.amdhsa_float_denorm_mode_32 3
		.amdhsa_float_denorm_mode_16_64 3
		.amdhsa_dx10_clamp 1
		.amdhsa_ieee_mode 1
		.amdhsa_fp16_overflow 0
		.amdhsa_tg_split 0
		.amdhsa_exception_fp_ieee_invalid_op 0
		.amdhsa_exception_fp_denorm_src 0
		.amdhsa_exception_fp_ieee_div_zero 0
		.amdhsa_exception_fp_ieee_overflow 0
		.amdhsa_exception_fp_ieee_underflow 0
		.amdhsa_exception_fp_ieee_inexact 0
		.amdhsa_exception_int_div_zero 0
	.end_amdhsa_kernel
	.section	.text._ZN12_GLOBAL__N_127rocblas_gemm_batched_kernelI19rocblas_complex_numIfELi16ELi16ELi64ELi64ELi4ELi64ELi4ELi4ELi64ELc84ELc78EKPKS2_S5_KPS2_EEvlllT_PT11_llSA_llS8_PT12_llPT13_lli,"axG",@progbits,_ZN12_GLOBAL__N_127rocblas_gemm_batched_kernelI19rocblas_complex_numIfELi16ELi16ELi64ELi64ELi4ELi64ELi4ELi4ELi64ELc84ELc78EKPKS2_S5_KPS2_EEvlllT_PT11_llSA_llS8_PT12_llPT13_lli,comdat
.Lfunc_end235:
	.size	_ZN12_GLOBAL__N_127rocblas_gemm_batched_kernelI19rocblas_complex_numIfELi16ELi16ELi64ELi64ELi4ELi64ELi4ELi4ELi64ELc84ELc78EKPKS2_S5_KPS2_EEvlllT_PT11_llSA_llS8_PT12_llPT13_lli, .Lfunc_end235-_ZN12_GLOBAL__N_127rocblas_gemm_batched_kernelI19rocblas_complex_numIfELi16ELi16ELi64ELi64ELi4ELi64ELi4ELi4ELi64ELc84ELc78EKPKS2_S5_KPS2_EEvlllT_PT11_llSA_llS8_PT12_llPT13_lli
                                        ; -- End function
	.set _ZN12_GLOBAL__N_127rocblas_gemm_batched_kernelI19rocblas_complex_numIfELi16ELi16ELi64ELi64ELi4ELi64ELi4ELi4ELi64ELc84ELc78EKPKS2_S5_KPS2_EEvlllT_PT11_llSA_llS8_PT12_llPT13_lli.num_vgpr, 108
	.set _ZN12_GLOBAL__N_127rocblas_gemm_batched_kernelI19rocblas_complex_numIfELi16ELi16ELi64ELi64ELi4ELi64ELi4ELi4ELi64ELc84ELc78EKPKS2_S5_KPS2_EEvlllT_PT11_llSA_llS8_PT12_llPT13_lli.num_agpr, 0
	.set _ZN12_GLOBAL__N_127rocblas_gemm_batched_kernelI19rocblas_complex_numIfELi16ELi16ELi64ELi64ELi4ELi64ELi4ELi4ELi64ELc84ELc78EKPKS2_S5_KPS2_EEvlllT_PT11_llSA_llS8_PT12_llPT13_lli.numbered_sgpr, 42
	.set _ZN12_GLOBAL__N_127rocblas_gemm_batched_kernelI19rocblas_complex_numIfELi16ELi16ELi64ELi64ELi4ELi64ELi4ELi4ELi64ELc84ELc78EKPKS2_S5_KPS2_EEvlllT_PT11_llSA_llS8_PT12_llPT13_lli.num_named_barrier, 0
	.set _ZN12_GLOBAL__N_127rocblas_gemm_batched_kernelI19rocblas_complex_numIfELi16ELi16ELi64ELi64ELi4ELi64ELi4ELi4ELi64ELc84ELc78EKPKS2_S5_KPS2_EEvlllT_PT11_llSA_llS8_PT12_llPT13_lli.private_seg_size, 0
	.set _ZN12_GLOBAL__N_127rocblas_gemm_batched_kernelI19rocblas_complex_numIfELi16ELi16ELi64ELi64ELi4ELi64ELi4ELi4ELi64ELc84ELc78EKPKS2_S5_KPS2_EEvlllT_PT11_llSA_llS8_PT12_llPT13_lli.uses_vcc, 1
	.set _ZN12_GLOBAL__N_127rocblas_gemm_batched_kernelI19rocblas_complex_numIfELi16ELi16ELi64ELi64ELi4ELi64ELi4ELi4ELi64ELc84ELc78EKPKS2_S5_KPS2_EEvlllT_PT11_llSA_llS8_PT12_llPT13_lli.uses_flat_scratch, 0
	.set _ZN12_GLOBAL__N_127rocblas_gemm_batched_kernelI19rocblas_complex_numIfELi16ELi16ELi64ELi64ELi4ELi64ELi4ELi4ELi64ELc84ELc78EKPKS2_S5_KPS2_EEvlllT_PT11_llSA_llS8_PT12_llPT13_lli.has_dyn_sized_stack, 0
	.set _ZN12_GLOBAL__N_127rocblas_gemm_batched_kernelI19rocblas_complex_numIfELi16ELi16ELi64ELi64ELi4ELi64ELi4ELi4ELi64ELc84ELc78EKPKS2_S5_KPS2_EEvlllT_PT11_llSA_llS8_PT12_llPT13_lli.has_recursion, 0
	.set _ZN12_GLOBAL__N_127rocblas_gemm_batched_kernelI19rocblas_complex_numIfELi16ELi16ELi64ELi64ELi4ELi64ELi4ELi4ELi64ELc84ELc78EKPKS2_S5_KPS2_EEvlllT_PT11_llSA_llS8_PT12_llPT13_lli.has_indirect_call, 0
	.section	.AMDGPU.csdata,"",@progbits
; Kernel info:
; codeLenInByte = 5220
; TotalNumSgprs: 48
; NumVgprs: 108
; NumAgprs: 0
; TotalNumVgprs: 108
; ScratchSize: 0
; MemoryBound: 0
; FloatMode: 240
; IeeeMode: 1
; LDSByteSize: 4096 bytes/workgroup (compile time only)
; SGPRBlocks: 5
; VGPRBlocks: 13
; NumSGPRsForWavesPerEU: 48
; NumVGPRsForWavesPerEU: 108
; AccumOffset: 108
; Occupancy: 4
; WaveLimiterHint : 1
; COMPUTE_PGM_RSRC2:SCRATCH_EN: 0
; COMPUTE_PGM_RSRC2:USER_SGPR: 2
; COMPUTE_PGM_RSRC2:TRAP_HANDLER: 0
; COMPUTE_PGM_RSRC2:TGID_X_EN: 1
; COMPUTE_PGM_RSRC2:TGID_Y_EN: 1
; COMPUTE_PGM_RSRC2:TGID_Z_EN: 1
; COMPUTE_PGM_RSRC2:TIDIG_COMP_CNT: 1
; COMPUTE_PGM_RSRC3_GFX90A:ACCUM_OFFSET: 26
; COMPUTE_PGM_RSRC3_GFX90A:TG_SPLIT: 0
	.section	.text._ZN12_GLOBAL__N_127rocblas_gemm_batched_kernelI19rocblas_complex_numIfELi16ELi16ELi64ELi64ELi4ELi64ELi4ELi4ELi64ELc78ELc84EKPKS2_S5_KPS2_EEvlllT_PT11_llSA_llS8_PT12_llPT13_lli,"axG",@progbits,_ZN12_GLOBAL__N_127rocblas_gemm_batched_kernelI19rocblas_complex_numIfELi16ELi16ELi64ELi64ELi4ELi64ELi4ELi4ELi64ELc78ELc84EKPKS2_S5_KPS2_EEvlllT_PT11_llSA_llS8_PT12_llPT13_lli,comdat
	.globl	_ZN12_GLOBAL__N_127rocblas_gemm_batched_kernelI19rocblas_complex_numIfELi16ELi16ELi64ELi64ELi4ELi64ELi4ELi4ELi64ELc78ELc84EKPKS2_S5_KPS2_EEvlllT_PT11_llSA_llS8_PT12_llPT13_lli ; -- Begin function _ZN12_GLOBAL__N_127rocblas_gemm_batched_kernelI19rocblas_complex_numIfELi16ELi16ELi64ELi64ELi4ELi64ELi4ELi4ELi64ELc78ELc84EKPKS2_S5_KPS2_EEvlllT_PT11_llSA_llS8_PT12_llPT13_lli
	.p2align	8
	.type	_ZN12_GLOBAL__N_127rocblas_gemm_batched_kernelI19rocblas_complex_numIfELi16ELi16ELi64ELi64ELi4ELi64ELi4ELi4ELi64ELc78ELc84EKPKS2_S5_KPS2_EEvlllT_PT11_llSA_llS8_PT12_llPT13_lli,@function
_ZN12_GLOBAL__N_127rocblas_gemm_batched_kernelI19rocblas_complex_numIfELi16ELi16ELi64ELi64ELi4ELi64ELi4ELi4ELi64ELc78ELc84EKPKS2_S5_KPS2_EEvlllT_PT11_llSA_llS8_PT12_llPT13_lli: ; @_ZN12_GLOBAL__N_127rocblas_gemm_batched_kernelI19rocblas_complex_numIfELi16ELi16ELi64ELi64ELi4ELi64ELi4ELi4ELi64ELc78ELc84EKPKS2_S5_KPS2_EEvlllT_PT11_llSA_llS8_PT12_llPT13_lli
; %bb.0:
	s_load_dwordx16 s[8:23], s[0:1], 0x10
	s_load_dwordx4 s[36:39], s[0:1], 0x78
	s_load_dwordx8 s[24:31], s[0:1], 0x58
	s_load_dwordx2 s[6:7], s[0:1], 0x50
	s_mov_b32 s5, 0
	s_lshl_b64 s[34:35], s[4:5], 3
	s_mov_b32 s40, s3
	s_waitcnt lgkmcnt(0)
	s_add_u32 s0, s24, s34
	s_addc_u32 s1, s25, s35
	s_add_u32 s4, s30, s34
	s_addc_u32 s5, s31, s35
	s_load_dwordx2 s[0:1], s[0:1], 0x0
	v_mov_b32_e32 v39, 0
	s_load_dwordx2 s[4:5], s[4:5], 0x0
	s_ashr_i32 s3, s2, 31
	s_ashr_i32 s41, s40, 31
	v_cmp_lt_i64_e64 s[30:31], s[8:9], 1
	v_bfe_u32 v38, v0, 10, 10
	v_and_b32_e32 v36, 0x3ff, v0
	v_mov_b32_e32 v37, v39
	s_lshl_b64 s[2:3], s[2:3], 6
	s_lshl_b64 s[24:25], s[40:41], 6
	s_and_b64 vcc, exec, s[30:31]
	v_mov_b32_e32 v59, v39
	v_mov_b32_e32 v58, v39
	;; [unrolled: 1-line block ×32, first 2 shown]
	s_cbranch_vccnz .LBB236_3
; %bb.1:
	v_lshl_add_u32 v4, v38, 4, v36
	v_lshrrev_b32_e32 v40, 2, v4
	v_mov_b32_e32 v41, 0
	v_lshl_add_u64 v[0:1], v[40:41], 0, s[24:25]
	v_and_b32_e32 v5, 3, v36
	v_mad_u64_u32 v[0:1], s[30:31], s20, v5, v[0:1]
	v_mov_b32_e32 v2, v1
	v_mad_u64_u32 v[2:3], s[30:31], s21, v5, v[2:3]
	v_mov_b32_e32 v1, v2
	v_and_b32_e32 v2, 63, v4
	v_lshrrev_b32_e32 v7, 6, v4
	v_lshlrev_b32_e32 v4, 3, v2
	s_add_u32 s12, s12, s34
	v_lshl_or_b32 v43, v7, 9, v4
	v_lshlrev_b32_e32 v4, 3, v5
	s_addc_u32 s13, s13, s35
	v_lshl_or_b32 v4, v40, 5, v4
	s_load_dwordx2 s[12:13], s[12:13], 0x0
	v_add_u32_e32 v45, 0x800, v4
	v_mov_b32_e32 v4, 0x800
	s_add_u32 s18, s18, s34
	v_lshl_add_u32 v51, v38, 5, v4
	v_mov_b64_e32 v[4:5], s[2:3]
	s_addc_u32 s19, s19, s35
	v_mad_u64_u32 v[4:5], s[30:31], s14, v7, v[4:5]
	s_load_dwordx2 s[18:19], s[18:19], 0x0
	v_mov_b32_e32 v6, v5
	s_lshl_b64 s[16:17], s[16:17], 3
	v_mad_u64_u32 v[6:7], s[30:31], s15, v7, v[6:7]
	v_mov_b32_e32 v3, v41
	v_mov_b32_e32 v5, v6
	s_waitcnt lgkmcnt(0)
	s_add_u32 s12, s12, s16
	v_lshl_add_u64 v[2:3], v[4:5], 0, v[2:3]
	s_addc_u32 s13, s13, s17
	v_lshl_add_u64 v[48:49], v[2:3], 3, s[12:13]
	s_lshl_b64 s[12:13], s[14:15], 5
	s_lshl_b64 s[14:15], s[22:23], 3
	s_add_u32 s14, s18, s14
	s_addc_u32 s15, s19, s15
	v_lshlrev_b32_e32 v47, 3, v36
	v_lshl_add_u64 v[52:53], v[0:1], 3, s[14:15]
	s_lshl_b64 s[14:15], s[20:21], 5
	s_mov_b64 s[16:17], 0
	v_mov_b64_e32 v[54:55], s[8:9]
	v_mov_b32_e32 v40, v41
	v_mov_b32_e32 v44, v41
	;; [unrolled: 1-line block ×31, first 2 shown]
.LBB236_2:                              ; =>This Inner Loop Header: Depth=1
	flat_load_dwordx2 v[0:1], v[48:49]
	s_add_u32 s16, s16, 4
	s_addc_u32 s17, s17, 0
	v_cmp_lt_i64_e32 vcc, s[16:17], v[54:55]
	v_lshl_add_u64 v[48:49], v[48:49], 0, s[12:13]
	s_and_b64 vcc, exec, vcc
	s_waitcnt vmcnt(0) lgkmcnt(0)
	ds_write_b64 v43, v[0:1]
	flat_load_dwordx2 v[0:1], v[52:53]
	v_lshl_add_u64 v[52:53], v[52:53], 0, s[14:15]
	s_waitcnt vmcnt(0) lgkmcnt(0)
	ds_write_b64 v45, v[0:1]
	s_waitcnt lgkmcnt(0)
	s_barrier
	ds_read_b128 v[0:3], v51
	ds_read_b128 v[32:35], v51 offset:16
	ds_read2_b64 v[8:11], v47 offset1:16
	ds_read2_b64 v[12:15], v47 offset0:32 offset1:48
	s_waitcnt lgkmcnt(1)
	v_mul_f32_e32 v4, v1, v9
	v_fma_f32 v4, v0, v8, -v4
	v_mul_f32_e32 v5, v0, v9
	v_add_f32_e32 v20, v102, v4
	v_mul_f32_e32 v4, v1, v11
	v_fmac_f32_e32 v5, v1, v8
	v_fma_f32 v4, v0, v10, -v4
	v_add_f32_e32 v21, v104, v5
	v_mul_f32_e32 v5, v0, v11
	v_add_f32_e32 v22, v98, v4
	s_waitcnt lgkmcnt(0)
	v_mul_f32_e32 v4, v1, v13
	v_fmac_f32_e32 v5, v1, v10
	v_fma_f32 v4, v0, v12, -v4
	v_add_f32_e32 v23, v100, v5
	v_mul_f32_e32 v5, v0, v13
	v_add_f32_e32 v57, v94, v4
	v_mul_f32_e32 v4, v1, v15
	v_fmac_f32_e32 v5, v1, v12
	v_fma_f32 v4, v0, v14, -v4
	v_mul_f32_e32 v0, v0, v15
	v_add_f32_e32 v61, v96, v5
	v_fmac_f32_e32 v0, v1, v14
	v_add_f32_e32 v1, v90, v4
	ds_read_b128 v[4:7], v51 offset:512
	ds_read_b128 v[104:107], v51 offset:1040
	v_add_f32_e32 v0, v92, v0
	s_waitcnt lgkmcnt(1)
	v_mul_f32_e32 v16, v5, v9
	v_fma_f32 v16, v4, v8, -v16
	v_mul_f32_e32 v17, v4, v9
	v_add_f32_e32 v63, v86, v16
	v_mul_f32_e32 v16, v5, v11
	v_fmac_f32_e32 v17, v5, v8
	v_fma_f32 v16, v4, v10, -v16
	v_add_f32_e32 v65, v88, v17
	v_mul_f32_e32 v17, v4, v11
	v_add_f32_e32 v67, v82, v16
	v_mul_f32_e32 v16, v5, v13
	v_fmac_f32_e32 v17, v5, v10
	v_fma_f32 v16, v4, v12, -v16
	v_add_f32_e32 v69, v84, v17
	v_mul_f32_e32 v17, v4, v13
	v_add_f32_e32 v71, v78, v16
	v_mul_f32_e32 v16, v5, v15
	v_fmac_f32_e32 v17, v5, v12
	v_fma_f32 v16, v4, v14, -v16
	v_mul_f32_e32 v4, v4, v15
	v_add_f32_e32 v73, v80, v17
	v_fmac_f32_e32 v4, v5, v14
	v_add_f32_e32 v5, v74, v16
	ds_read_b128 v[16:19], v51 offset:1024
	v_add_f32_e32 v4, v76, v4
	s_waitcnt lgkmcnt(0)
	v_mul_f32_e32 v24, v17, v9
	v_fma_f32 v24, v16, v8, -v24
	v_mul_f32_e32 v25, v16, v9
	v_add_f32_e32 v70, v70, v24
	v_mul_f32_e32 v24, v17, v11
	v_fmac_f32_e32 v25, v17, v8
	v_fma_f32 v24, v16, v10, -v24
	v_add_f32_e32 v72, v72, v25
	v_mul_f32_e32 v25, v16, v11
	v_add_f32_e32 v66, v66, v24
	v_mul_f32_e32 v24, v17, v13
	v_fmac_f32_e32 v25, v17, v10
	v_fma_f32 v24, v16, v12, -v24
	v_add_f32_e32 v68, v68, v25
	v_mul_f32_e32 v25, v16, v13
	v_add_f32_e32 v62, v62, v24
	v_mul_f32_e32 v24, v17, v15
	v_fmac_f32_e32 v25, v17, v12
	v_fma_f32 v24, v16, v14, -v24
	v_mul_f32_e32 v16, v16, v15
	v_add_f32_e32 v64, v64, v25
	v_fmac_f32_e32 v16, v17, v14
	v_add_f32_e32 v17, v56, v24
	ds_read2_b64 v[24:27], v47 offset0:64 offset1:80
	v_add_f32_e32 v16, v60, v16
	s_waitcnt lgkmcnt(0)
	v_mul_f32_e32 v28, v3, v25
	v_mul_f32_e32 v29, v2, v25
	v_fma_f32 v28, v2, v24, -v28
	v_fmac_f32_e32 v29, v3, v24
	v_add_f32_e32 v20, v20, v28
	v_add_f32_e32 v21, v21, v29
	v_mul_f32_e32 v28, v3, v27
	v_mul_f32_e32 v29, v2, v27
	v_fma_f32 v28, v2, v26, -v28
	v_fmac_f32_e32 v29, v3, v26
	v_add_f32_e32 v22, v22, v28
	v_add_f32_e32 v23, v23, v29
	ds_read2_b64 v[28:31], v47 offset0:96 offset1:112
	s_waitcnt lgkmcnt(0)
	v_mul_f32_e32 v56, v3, v29
	v_mul_f32_e32 v60, v2, v29
	v_fma_f32 v56, v2, v28, -v56
	v_fmac_f32_e32 v60, v3, v28
	v_add_f32_e32 v56, v57, v56
	v_add_f32_e32 v57, v61, v60
	v_mul_f32_e32 v60, v3, v31
	v_fma_f32 v60, v2, v30, -v60
	v_mul_f32_e32 v2, v2, v31
	v_fmac_f32_e32 v2, v3, v30
	v_add_f32_e32 v60, v1, v60
	v_add_f32_e32 v61, v0, v2
	v_mul_f32_e32 v0, v7, v25
	v_mul_f32_e32 v1, v6, v25
	v_fma_f32 v0, v6, v24, -v0
	v_fmac_f32_e32 v1, v7, v24
	v_add_f32_e32 v74, v63, v0
	v_add_f32_e32 v65, v65, v1
	v_mul_f32_e32 v0, v7, v27
	v_mul_f32_e32 v1, v6, v27
	v_fma_f32 v0, v6, v26, -v0
	;; [unrolled: 6-line block ×6, first 2 shown]
	v_fmac_f32_e32 v1, v19, v26
	ds_read2_b64 v[4:7], v47 offset0:128 offset1:144
	v_add_f32_e32 v66, v66, v0
	v_add_f32_e32 v68, v68, v1
	v_mul_f32_e32 v0, v19, v29
	v_mul_f32_e32 v1, v18, v29
	v_fma_f32 v0, v18, v28, -v0
	v_fmac_f32_e32 v1, v19, v28
	v_add_f32_e32 v77, v62, v0
	v_add_f32_e32 v64, v64, v1
	v_mul_f32_e32 v0, v19, v31
	v_mul_f32_e32 v1, v18, v31
	v_fma_f32 v0, v18, v30, -v0
	v_fmac_f32_e32 v1, v19, v30
	v_add_f32_e32 v17, v17, v0
	v_add_f32_e32 v16, v16, v1
	s_waitcnt lgkmcnt(0)
	v_mul_f32_e32 v0, v33, v5
	v_mul_f32_e32 v1, v32, v5
	v_fma_f32 v0, v32, v4, -v0
	v_fmac_f32_e32 v1, v33, v4
	v_add_f32_e32 v18, v20, v0
	v_add_f32_e32 v19, v21, v1
	v_mul_f32_e32 v0, v33, v7
	v_mul_f32_e32 v1, v32, v7
	v_fma_f32 v0, v32, v6, -v0
	v_fmac_f32_e32 v1, v33, v6
	v_add_f32_e32 v78, v22, v0
	v_add_f32_e32 v79, v23, v1
	ds_read2_b64 v[0:3], v47 offset0:160 offset1:176
	s_waitcnt lgkmcnt(0)
	v_mul_f32_e32 v20, v33, v1
	v_mul_f32_e32 v21, v32, v1
	v_fma_f32 v20, v32, v0, -v20
	v_fmac_f32_e32 v21, v33, v0
	v_add_f32_e32 v56, v56, v20
	v_add_f32_e32 v57, v57, v21
	v_mul_f32_e32 v20, v33, v3
	v_mul_f32_e32 v21, v32, v3
	v_fma_f32 v20, v32, v2, -v20
	v_fmac_f32_e32 v21, v33, v2
	v_add_f32_e32 v32, v60, v20
	v_add_f32_e32 v33, v61, v21
	ds_read_b128 v[60:63], v51 offset:528
	s_waitcnt lgkmcnt(0)
	v_mul_f32_e32 v20, v61, v5
	v_mul_f32_e32 v21, v60, v5
	v_fma_f32 v20, v60, v4, -v20
	v_fmac_f32_e32 v21, v61, v4
	v_add_f32_e32 v74, v74, v20
	v_add_f32_e32 v65, v65, v21
	v_mul_f32_e32 v20, v61, v7
	v_mul_f32_e32 v21, v60, v7
	v_fma_f32 v20, v60, v6, -v20
	v_fmac_f32_e32 v21, v61, v6
	v_add_f32_e32 v67, v67, v20
	v_add_f32_e32 v69, v69, v21
	;; [unrolled: 6-line block ×8, first 2 shown]
	ds_read2_b64 v[20:23], v47 offset0:192 offset1:208
	s_waitcnt lgkmcnt(0)
	v_mul_f32_e32 v16, v35, v21
	v_mul_f32_e32 v17, v34, v21
	v_fma_f32 v16, v34, v20, -v16
	v_fmac_f32_e32 v17, v35, v20
	v_add_f32_e32 v102, v18, v16
	v_add_f32_e32 v104, v19, v17
	v_mul_f32_e32 v16, v35, v23
	v_mul_f32_e32 v17, v34, v23
	v_fma_f32 v16, v34, v22, -v16
	v_fmac_f32_e32 v17, v35, v22
	v_add_f32_e32 v98, v78, v16
	v_add_f32_e32 v100, v79, v17
	ds_read2_b64 v[16:19], v47 offset0:224 offset1:240
	s_waitcnt lgkmcnt(0)
	v_mul_f32_e32 v76, v35, v17
	v_fma_f32 v76, v34, v16, -v76
	v_add_f32_e32 v94, v56, v76
	v_mul_f32_e32 v56, v35, v19
	v_mul_f32_e32 v78, v34, v17
	v_fma_f32 v56, v34, v18, -v56
	v_mul_f32_e32 v34, v34, v19
	v_fmac_f32_e32 v34, v35, v18
	v_add_f32_e32 v90, v32, v56
	v_add_f32_e32 v92, v33, v34
	v_mul_f32_e32 v32, v63, v21
	v_mul_f32_e32 v33, v62, v21
	v_fma_f32 v32, v62, v20, -v32
	v_fmac_f32_e32 v33, v63, v20
	v_add_f32_e32 v86, v74, v32
	v_add_f32_e32 v88, v65, v33
	v_mul_f32_e32 v32, v63, v23
	v_mul_f32_e32 v33, v62, v23
	v_fma_f32 v32, v62, v22, -v32
	v_fmac_f32_e32 v33, v63, v22
	v_add_f32_e32 v82, v67, v32
	v_add_f32_e32 v84, v69, v33
	v_mul_f32_e32 v32, v63, v17
	v_mul_f32_e32 v33, v62, v17
	v_fmac_f32_e32 v78, v35, v16
	v_fma_f32 v32, v62, v16, -v32
	v_fmac_f32_e32 v33, v63, v16
	v_add_f32_e32 v96, v57, v78
	v_add_f32_e32 v78, v71, v32
	;; [unrolled: 1-line block ×3, first 2 shown]
	v_mul_f32_e32 v32, v63, v19
	v_mul_f32_e32 v33, v62, v19
	v_fma_f32 v32, v62, v18, -v32
	v_fmac_f32_e32 v33, v63, v18
	v_add_f32_e32 v74, v60, v32
	v_add_f32_e32 v76, v61, v33
	v_mul_f32_e32 v32, v107, v21
	v_mul_f32_e32 v33, v106, v21
	v_fma_f32 v32, v106, v20, -v32
	v_fmac_f32_e32 v33, v107, v20
	v_add_f32_e32 v70, v70, v32
	v_add_f32_e32 v72, v72, v33
	;; [unrolled: 6-line block ×5, first 2 shown]
	ds_read_b128 v[32:35], v51 offset:1536
	s_waitcnt lgkmcnt(0)
	v_mul_f32_e32 v57, v33, v9
	v_mul_f32_e32 v9, v32, v9
	v_fmac_f32_e32 v9, v33, v8
	v_fma_f32 v57, v32, v8, -v57
	v_add_f32_e32 v50, v50, v9
	v_mul_f32_e32 v8, v33, v11
	v_mul_f32_e32 v9, v32, v11
	v_fma_f32 v8, v32, v10, -v8
	v_fmac_f32_e32 v9, v33, v10
	v_add_f32_e32 v42, v42, v8
	v_add_f32_e32 v44, v44, v9
	v_mul_f32_e32 v8, v33, v13
	v_mul_f32_e32 v9, v32, v13
	v_fma_f32 v8, v32, v12, -v8
	v_fmac_f32_e32 v9, v33, v12
	v_add_f32_e32 v12, v40, v8
	v_add_f32_e32 v13, v41, v9
	v_pk_mul_f32 v[8:9], v[32:33], v[14:15] op_sel:[1,1] op_sel_hi:[0,1]
	v_pk_fma_f32 v[10:11], v[32:33], v[14:15], v[8:9] neg_lo:[0,0,1] neg_hi:[0,0,1]
	v_pk_fma_f32 v[8:9], v[32:33], v[14:15], v[8:9] op_sel_hi:[1,0,1]
	v_add_f32_e32 v46, v46, v57
	v_mov_b32_e32 v11, v9
	v_pk_add_f32 v[8:9], v[58:59], v[10:11]
	v_mul_f32_e32 v10, v35, v25
	v_mul_f32_e32 v11, v34, v25
	v_fma_f32 v10, v34, v24, -v10
	v_fmac_f32_e32 v11, v35, v24
	v_add_f32_e32 v32, v46, v10
	v_add_f32_e32 v33, v50, v11
	v_mul_f32_e32 v10, v35, v27
	v_mul_f32_e32 v11, v34, v27
	v_fma_f32 v10, v34, v26, -v10
	v_fmac_f32_e32 v11, v35, v26
	v_add_f32_e32 v24, v42, v10
	v_add_f32_e32 v25, v44, v11
	;; [unrolled: 6-line block ×3, first 2 shown]
	v_pk_mul_f32 v[10:11], v[34:35], v[30:31] op_sel:[1,1] op_sel_hi:[0,1]
	v_pk_fma_f32 v[12:13], v[34:35], v[30:31], v[10:11] neg_lo:[0,0,1] neg_hi:[0,0,1]
	v_pk_fma_f32 v[10:11], v[34:35], v[30:31], v[10:11] op_sel_hi:[1,0,1]
	s_nop 0
	v_mov_b32_e32 v13, v11
	v_pk_add_f32 v[12:13], v[8:9], v[12:13]
	ds_read_b128 v[8:11], v51 offset:1552
	s_waitcnt lgkmcnt(0)
	s_barrier
	v_mul_f32_e32 v26, v9, v5
	v_mul_f32_e32 v5, v8, v5
	v_fma_f32 v26, v8, v4, -v26
	v_fmac_f32_e32 v5, v9, v4
	v_mul_f32_e32 v4, v9, v7
	v_add_f32_e32 v27, v33, v5
	v_fma_f32 v4, v8, v6, -v4
	v_mul_f32_e32 v5, v8, v7
	v_fmac_f32_e32 v5, v9, v6
	v_add_f32_e32 v6, v24, v4
	v_mul_f32_e32 v4, v9, v1
	v_mul_f32_e32 v1, v8, v1
	v_fmac_f32_e32 v1, v9, v0
	v_fma_f32 v4, v8, v0, -v4
	v_add_f32_e32 v15, v15, v1
	v_pk_mul_f32 v[0:1], v[8:9], v[2:3] op_sel:[1,1] op_sel_hi:[0,1]
	v_add_f32_e32 v7, v25, v5
	v_add_f32_e32 v14, v14, v4
	v_pk_fma_f32 v[4:5], v[8:9], v[2:3], v[0:1] neg_lo:[0,0,1] neg_hi:[0,0,1]
	v_pk_fma_f32 v[0:1], v[8:9], v[2:3], v[0:1] op_sel_hi:[1,0,1]
	v_mul_f32_e32 v2, v11, v21
	v_mul_f32_e32 v3, v10, v21
	v_add_f32_e32 v26, v32, v26
	v_fma_f32 v2, v10, v20, -v2
	v_fmac_f32_e32 v3, v11, v20
	v_add_f32_e32 v46, v26, v2
	v_add_f32_e32 v50, v27, v3
	v_mul_f32_e32 v2, v11, v23
	v_mul_f32_e32 v3, v10, v23
	v_fma_f32 v2, v10, v22, -v2
	v_fmac_f32_e32 v3, v11, v22
	v_add_f32_e32 v42, v6, v2
	v_add_f32_e32 v44, v7, v3
	v_mul_f32_e32 v2, v11, v17
	v_mul_f32_e32 v3, v10, v17
	v_fma_f32 v2, v10, v16, -v2
	v_fmac_f32_e32 v3, v11, v16
	v_mov_b32_e32 v5, v1
	v_add_f32_e32 v40, v14, v2
	v_add_f32_e32 v41, v15, v3
	v_pk_mul_f32 v[2:3], v[10:11], v[18:19] op_sel:[1,1] op_sel_hi:[0,1]
	v_pk_add_f32 v[0:1], v[12:13], v[4:5]
	v_pk_fma_f32 v[4:5], v[10:11], v[18:19], v[2:3] neg_lo:[0,0,1] neg_hi:[0,0,1]
	v_pk_fma_f32 v[2:3], v[10:11], v[18:19], v[2:3] op_sel_hi:[1,0,1]
	s_nop 0
	v_mov_b32_e32 v5, v3
	v_pk_add_f32 v[58:59], v[0:1], v[4:5]
	s_cbranch_vccnz .LBB236_2
.LBB236_3:
	s_lshl_b64 s[8:9], s[38:39], 3
	s_waitcnt lgkmcnt(0)
	s_add_u32 s4, s4, s8
	s_addc_u32 s5, s5, s9
	s_or_b32 s8, s6, s7
	s_bitset0_b32 s8, 31
	v_lshl_add_u64 v[2:3], s[24:25], 0, v[38:39]
	s_cmp_lg_u32 s8, 0
	v_lshl_add_u64 v[0:1], s[2:3], 0, v[36:37]
	s_mov_b32 s2, s11
	s_mov_b32 s3, s10
	s_cbranch_scc1 .LBB236_5
; %bb.4:
	v_mul_lo_u32 v6, v3, s36
	v_mul_lo_u32 v7, v2, s37
	v_mad_u64_u32 v[4:5], s[8:9], v2, s36, 0
	v_add3_u32 v5, v5, v7, v6
	v_pk_mul_f32 v[6:7], v[104:105], s[2:3] op_sel_hi:[0,1]
	v_lshl_add_u64 v[4:5], v[4:5], 3, s[4:5]
	v_lshlrev_b64 v[8:9], 3, v[0:1]
	v_pk_fma_f32 v[12:13], v[102:103], s[2:3], v[6:7] op_sel:[0,1,0] op_sel_hi:[1,0,1] neg_lo:[0,0,1] neg_hi:[0,0,1]
	v_pk_fma_f32 v[6:7], v[102:103], s[2:3], v[6:7] op_sel:[0,1,0] op_sel_hi:[0,0,1]
	v_lshl_add_u64 v[10:11], v[4:5], 0, v[8:9]
	v_mov_b32_e32 v13, v7
	v_pk_mul_f32 v[6:7], v[100:101], s[2:3] op_sel_hi:[0,1]
	flat_store_dwordx2 v[10:11], v[12:13]
	v_pk_fma_f32 v[12:13], v[98:99], s[2:3], v[6:7] op_sel:[0,1,0] op_sel_hi:[1,0,1] neg_lo:[0,0,1] neg_hi:[0,0,1]
	v_pk_fma_f32 v[6:7], v[98:99], s[2:3], v[6:7] op_sel:[0,1,0] op_sel_hi:[0,0,1]
	v_mov_b32_e32 v13, v7
	v_pk_mul_f32 v[6:7], v[96:97], s[2:3] op_sel_hi:[0,1]
	flat_store_dwordx2 v[10:11], v[12:13] offset:128
	v_pk_fma_f32 v[12:13], v[94:95], s[2:3], v[6:7] op_sel:[0,1,0] op_sel_hi:[1,0,1] neg_lo:[0,0,1] neg_hi:[0,0,1]
	v_pk_fma_f32 v[6:7], v[94:95], s[2:3], v[6:7] op_sel:[0,1,0] op_sel_hi:[0,0,1]
	v_mov_b32_e32 v13, v7
	v_pk_mul_f32 v[6:7], v[92:93], s[2:3] op_sel_hi:[0,1]
	flat_store_dwordx2 v[10:11], v[12:13] offset:256
	v_pk_fma_f32 v[12:13], v[90:91], s[2:3], v[6:7] op_sel:[0,1,0] op_sel_hi:[1,0,1] neg_lo:[0,0,1] neg_hi:[0,0,1]
	v_pk_fma_f32 v[6:7], v[90:91], s[2:3], v[6:7] op_sel:[0,1,0] op_sel_hi:[0,0,1]
	v_mov_b32_e32 v13, v7
	s_lshl_b64 s[8:9], s[36:37], 7
	v_pk_mul_f32 v[6:7], v[88:89], s[2:3] op_sel_hi:[0,1]
	flat_store_dwordx2 v[10:11], v[12:13] offset:384
	v_lshl_add_u64 v[4:5], v[4:5], 0, s[8:9]
	v_pk_fma_f32 v[12:13], v[86:87], s[2:3], v[6:7] op_sel:[0,1,0] op_sel_hi:[1,0,1] neg_lo:[0,0,1] neg_hi:[0,0,1]
	v_pk_fma_f32 v[6:7], v[86:87], s[2:3], v[6:7] op_sel:[0,1,0] op_sel_hi:[0,0,1]
	v_lshl_add_u64 v[10:11], v[4:5], 0, v[8:9]
	v_mov_b32_e32 v13, v7
	v_pk_mul_f32 v[6:7], v[84:85], s[2:3] op_sel_hi:[0,1]
	flat_store_dwordx2 v[10:11], v[12:13]
	v_pk_fma_f32 v[12:13], v[82:83], s[2:3], v[6:7] op_sel:[0,1,0] op_sel_hi:[1,0,1] neg_lo:[0,0,1] neg_hi:[0,0,1]
	v_pk_fma_f32 v[6:7], v[82:83], s[2:3], v[6:7] op_sel:[0,1,0] op_sel_hi:[0,0,1]
	v_mov_b32_e32 v13, v7
	v_pk_mul_f32 v[6:7], v[80:81], s[2:3] op_sel_hi:[0,1]
	flat_store_dwordx2 v[10:11], v[12:13] offset:128
	v_pk_fma_f32 v[12:13], v[78:79], s[2:3], v[6:7] op_sel:[0,1,0] op_sel_hi:[1,0,1] neg_lo:[0,0,1] neg_hi:[0,0,1]
	v_pk_fma_f32 v[6:7], v[78:79], s[2:3], v[6:7] op_sel:[0,1,0] op_sel_hi:[0,0,1]
	v_mov_b32_e32 v13, v7
	v_pk_mul_f32 v[6:7], v[76:77], s[2:3] op_sel_hi:[0,1]
	flat_store_dwordx2 v[10:11], v[12:13] offset:256
	;; [unrolled: 5-line block ×3, first 2 shown]
	v_lshl_add_u64 v[4:5], v[4:5], 0, s[8:9]
	v_pk_fma_f32 v[12:13], v[70:71], s[2:3], v[6:7] op_sel:[0,1,0] op_sel_hi:[1,0,1] neg_lo:[0,0,1] neg_hi:[0,0,1]
	v_pk_fma_f32 v[6:7], v[70:71], s[2:3], v[6:7] op_sel:[0,1,0] op_sel_hi:[0,0,1]
	v_lshl_add_u64 v[10:11], v[4:5], 0, v[8:9]
	v_mov_b32_e32 v13, v7
	v_pk_mul_f32 v[6:7], v[68:69], s[2:3] op_sel_hi:[0,1]
	flat_store_dwordx2 v[10:11], v[12:13]
	v_pk_fma_f32 v[12:13], v[66:67], s[2:3], v[6:7] op_sel:[0,1,0] op_sel_hi:[1,0,1] neg_lo:[0,0,1] neg_hi:[0,0,1]
	v_pk_fma_f32 v[6:7], v[66:67], s[2:3], v[6:7] op_sel:[0,1,0] op_sel_hi:[0,0,1]
	v_mov_b32_e32 v13, v7
	v_pk_mul_f32 v[6:7], v[64:65], s[2:3] op_sel_hi:[0,1]
	flat_store_dwordx2 v[10:11], v[12:13] offset:128
	v_pk_fma_f32 v[12:13], v[62:63], s[2:3], v[6:7] op_sel:[0,1,0] op_sel_hi:[1,0,1] neg_lo:[0,0,1] neg_hi:[0,0,1]
	v_pk_fma_f32 v[6:7], v[62:63], s[2:3], v[6:7] op_sel:[0,1,0] op_sel_hi:[0,0,1]
	v_mov_b32_e32 v13, v7
	v_pk_mul_f32 v[6:7], v[60:61], s[2:3] op_sel_hi:[0,1]
	flat_store_dwordx2 v[10:11], v[12:13] offset:256
	v_pk_fma_f32 v[12:13], v[56:57], s[2:3], v[6:7] op_sel:[0,1,0] op_sel_hi:[1,0,1] neg_lo:[0,0,1] neg_hi:[0,0,1]
	v_pk_fma_f32 v[6:7], v[56:57], s[2:3], v[6:7] op_sel:[0,1,0] op_sel_hi:[0,0,1]
	v_mov_b32_e32 v13, v7
	v_lshl_add_u64 v[4:5], v[4:5], 0, s[8:9]
	v_pk_mul_f32 v[6:7], v[50:51], s[2:3] op_sel_hi:[0,1]
	v_lshl_add_u64 v[8:9], v[4:5], 0, v[8:9]
	v_pk_fma_f32 v[4:5], v[46:47], s[2:3], v[6:7] op_sel:[0,1,0] op_sel_hi:[1,0,1] neg_lo:[0,0,1] neg_hi:[0,0,1]
	v_pk_fma_f32 v[6:7], v[46:47], s[2:3], v[6:7] op_sel:[0,1,0] op_sel_hi:[0,0,1]
	v_mov_b32_e32 v5, v7
	flat_store_dwordx2 v[10:11], v[12:13] offset:384
	flat_store_dwordx2 v[8:9], v[4:5]
	v_pk_mul_f32 v[4:5], v[44:45], s[2:3] op_sel_hi:[0,1]
	v_pk_fma_f32 v[6:7], v[42:43], s[2:3], v[4:5] op_sel:[0,1,0] op_sel_hi:[1,0,1] neg_lo:[0,0,1] neg_hi:[0,0,1]
	v_pk_fma_f32 v[4:5], v[42:43], s[2:3], v[4:5] op_sel:[0,1,0] op_sel_hi:[0,0,1]
	v_mov_b32_e32 v4, v41
	v_mov_b32_e32 v7, v5
	v_pk_mul_f32 v[4:5], v[4:5], s[2:3] op_sel_hi:[0,1]
	flat_store_dwordx2 v[8:9], v[6:7] offset:128
	v_pk_fma_f32 v[6:7], v[40:41], s[2:3], v[4:5] op_sel:[0,1,0] op_sel_hi:[1,0,1] neg_lo:[0,0,1] neg_hi:[0,0,1]
	v_pk_fma_f32 v[4:5], v[40:41], s[2:3], v[4:5] op_sel:[0,1,0] op_sel_hi:[0,0,1]
	v_mov_b32_e32 v7, v5
	v_mul_f32_e32 v4, s3, v58
	flat_store_dwordx2 v[8:9], v[6:7] offset:256
	v_fma_f32 v7, -v59, s2, v4
	v_pk_mul_f32 v[4:5], v[58:59], s[2:3]
	s_mov_b64 s[8:9], 0x180
	v_add_f32_e32 v6, v4, v5
	v_lshl_add_u64 v[4:5], v[8:9], 0, s[8:9]
	flat_store_dword v[8:9], v7 offset:384
	s_cbranch_execz .LBB236_6
	s_branch .LBB236_7
.LBB236_5:
                                        ; implicit-def: $vgpr6
                                        ; implicit-def: $vgpr4_vgpr5
.LBB236_6:
	s_lshl_b64 s[8:9], s[28:29], 3
	s_add_u32 s0, s0, s8
	s_addc_u32 s1, s1, s9
	v_mul_lo_u32 v6, v3, s26
	v_mul_lo_u32 v7, v2, s27
	v_mad_u64_u32 v[4:5], s[8:9], v2, s26, 0
	v_add3_u32 v5, v5, v7, v6
	v_lshl_add_u64 v[4:5], v[4:5], 3, s[0:1]
	v_lshlrev_b64 v[0:1], 3, v[0:1]
	v_lshl_add_u64 v[6:7], v[4:5], 0, v[0:1]
	flat_load_dwordx2 v[8:9], v[6:7]
	v_mul_lo_u32 v12, v3, s36
	v_mul_lo_u32 v13, v2, s37
	v_mad_u64_u32 v[2:3], s[0:1], v2, s36, 0
	s_mov_b32 s0, s7
	v_pk_mul_f32 v[10:11], v[104:105], s[2:3] op_sel_hi:[0,1]
	v_add3_u32 v3, v3, v13, v12
	v_pk_fma_f32 v[12:13], v[102:103], s[2:3], v[10:11] op_sel:[0,1,0] op_sel_hi:[1,0,1] neg_lo:[0,0,1] neg_hi:[0,0,1]
	v_pk_fma_f32 v[10:11], v[102:103], s[2:3], v[10:11] op_sel:[0,1,0] op_sel_hi:[0,0,1]
	v_lshl_add_u64 v[2:3], v[2:3], 3, s[4:5]
	v_mov_b32_e32 v13, v11
	v_lshl_add_u64 v[10:11], v[2:3], 0, v[0:1]
	s_lshl_b64 s[4:5], s[26:27], 7
	v_lshl_add_u64 v[4:5], v[4:5], 0, s[4:5]
	s_lshl_b64 s[8:9], s[36:37], 7
	v_lshl_add_u64 v[2:3], v[2:3], 0, s[8:9]
	s_mov_b32 s11, s6
	s_waitcnt vmcnt(0) lgkmcnt(0)
	v_pk_mul_f32 v[14:15], v[8:9], s[0:1] op_sel_hi:[1,0]
	s_nop 0
	v_pk_fma_f32 v[16:17], v[8:9], s[6:7], v[14:15] op_sel:[0,0,1] op_sel_hi:[1,1,0] neg_lo:[0,0,1] neg_hi:[0,0,1]
	v_pk_fma_f32 v[8:9], v[8:9], s[6:7], v[14:15] op_sel:[0,0,1] op_sel_hi:[1,0,0]
	s_nop 0
	v_mov_b32_e32 v17, v9
	v_pk_add_f32 v[8:9], v[12:13], v[16:17]
	flat_store_dwordx2 v[10:11], v[8:9]
	flat_load_dwordx2 v[8:9], v[6:7] offset:128
	v_pk_mul_f32 v[12:13], v[100:101], s[2:3] op_sel_hi:[0,1]
	v_pk_fma_f32 v[14:15], v[98:99], s[2:3], v[12:13] op_sel:[0,1,0] op_sel_hi:[1,0,1] neg_lo:[0,0,1] neg_hi:[0,0,1]
	v_pk_fma_f32 v[12:13], v[98:99], s[2:3], v[12:13] op_sel:[0,1,0] op_sel_hi:[0,0,1]
	v_mov_b32_e32 v15, v13
	s_waitcnt vmcnt(0) lgkmcnt(0)
	v_pk_mul_f32 v[12:13], v[8:9], s[0:1] op_sel_hi:[1,0]
	s_nop 0
	v_pk_fma_f32 v[16:17], v[8:9], s[6:7], v[12:13] op_sel:[0,0,1] op_sel_hi:[1,1,0] neg_lo:[0,0,1] neg_hi:[0,0,1]
	v_pk_fma_f32 v[8:9], v[8:9], s[6:7], v[12:13] op_sel:[0,0,1] op_sel_hi:[1,0,0]
	v_pk_mul_f32 v[12:13], v[96:97], s[2:3] op_sel_hi:[0,1]
	v_mov_b32_e32 v17, v9
	v_pk_add_f32 v[8:9], v[14:15], v[16:17]
	flat_store_dwordx2 v[10:11], v[8:9] offset:128
	flat_load_dwordx2 v[8:9], v[6:7] offset:256
	v_pk_fma_f32 v[14:15], v[94:95], s[2:3], v[12:13] op_sel:[0,1,0] op_sel_hi:[1,0,1] neg_lo:[0,0,1] neg_hi:[0,0,1]
	v_pk_fma_f32 v[12:13], v[94:95], s[2:3], v[12:13] op_sel:[0,1,0] op_sel_hi:[0,0,1]
	v_mov_b32_e32 v15, v13
	s_waitcnt vmcnt(0) lgkmcnt(0)
	v_pk_mul_f32 v[12:13], v[8:9], s[0:1] op_sel_hi:[1,0]
	s_nop 0
	v_pk_fma_f32 v[16:17], v[8:9], s[6:7], v[12:13] op_sel:[0,0,1] op_sel_hi:[1,1,0] neg_lo:[0,0,1] neg_hi:[0,0,1]
	v_pk_fma_f32 v[8:9], v[8:9], s[6:7], v[12:13] op_sel:[0,0,1] op_sel_hi:[1,0,0]
	s_nop 0
	v_mov_b32_e32 v17, v9
	v_pk_add_f32 v[8:9], v[14:15], v[16:17]
	flat_store_dwordx2 v[10:11], v[8:9] offset:256
	flat_load_dwordx2 v[6:7], v[6:7] offset:384
	v_pk_mul_f32 v[8:9], v[92:93], s[2:3] op_sel_hi:[0,1]
	v_pk_fma_f32 v[12:13], v[90:91], s[2:3], v[8:9] op_sel:[0,1,0] op_sel_hi:[1,0,1] neg_lo:[0,0,1] neg_hi:[0,0,1]
	v_pk_fma_f32 v[8:9], v[90:91], s[2:3], v[8:9] op_sel:[0,1,0] op_sel_hi:[0,0,1]
	v_mov_b32_e32 v13, v9
	v_lshl_add_u64 v[8:9], v[4:5], 0, v[0:1]
	v_lshl_add_u64 v[4:5], v[4:5], 0, s[4:5]
	s_waitcnt vmcnt(0) lgkmcnt(0)
	v_pk_mul_f32 v[14:15], v[6:7], s[0:1] op_sel_hi:[1,0]
	s_nop 0
	v_pk_fma_f32 v[16:17], v[6:7], s[6:7], v[14:15] op_sel:[0,0,1] op_sel_hi:[1,1,0] neg_lo:[0,0,1] neg_hi:[0,0,1]
	v_pk_fma_f32 v[6:7], v[6:7], s[6:7], v[14:15] op_sel:[0,0,1] op_sel_hi:[1,0,0]
	s_nop 0
	v_mov_b32_e32 v17, v7
	v_pk_add_f32 v[6:7], v[12:13], v[16:17]
	flat_store_dwordx2 v[10:11], v[6:7] offset:384
	flat_load_dwordx2 v[6:7], v[8:9]
	v_pk_mul_f32 v[10:11], v[88:89], s[2:3] op_sel_hi:[0,1]
	v_pk_fma_f32 v[12:13], v[86:87], s[2:3], v[10:11] op_sel:[0,1,0] op_sel_hi:[1,0,1] neg_lo:[0,0,1] neg_hi:[0,0,1]
	v_pk_fma_f32 v[10:11], v[86:87], s[2:3], v[10:11] op_sel:[0,1,0] op_sel_hi:[0,0,1]
	v_mov_b32_e32 v13, v11
	v_lshl_add_u64 v[10:11], v[2:3], 0, v[0:1]
	v_lshl_add_u64 v[2:3], v[2:3], 0, s[8:9]
	s_waitcnt vmcnt(0) lgkmcnt(0)
	v_pk_mul_f32 v[14:15], v[6:7], s[0:1] op_sel_hi:[1,0]
	s_nop 0
	v_pk_fma_f32 v[16:17], v[6:7], s[6:7], v[14:15] op_sel:[0,0,1] op_sel_hi:[1,1,0] neg_lo:[0,0,1] neg_hi:[0,0,1]
	v_pk_fma_f32 v[6:7], v[6:7], s[6:7], v[14:15] op_sel:[0,0,1] op_sel_hi:[1,0,0]
	s_nop 0
	v_mov_b32_e32 v17, v7
	v_pk_add_f32 v[6:7], v[12:13], v[16:17]
	flat_store_dwordx2 v[10:11], v[6:7]
	flat_load_dwordx2 v[6:7], v[8:9] offset:128
	v_pk_mul_f32 v[12:13], v[84:85], s[2:3] op_sel_hi:[0,1]
	v_pk_fma_f32 v[14:15], v[82:83], s[2:3], v[12:13] op_sel:[0,1,0] op_sel_hi:[1,0,1] neg_lo:[0,0,1] neg_hi:[0,0,1]
	v_pk_fma_f32 v[12:13], v[82:83], s[2:3], v[12:13] op_sel:[0,1,0] op_sel_hi:[0,0,1]
	v_mov_b32_e32 v15, v13
	s_waitcnt vmcnt(0) lgkmcnt(0)
	v_pk_mul_f32 v[12:13], v[6:7], s[0:1] op_sel_hi:[1,0]
	s_nop 0
	v_pk_fma_f32 v[16:17], v[6:7], s[6:7], v[12:13] op_sel:[0,0,1] op_sel_hi:[1,1,0] neg_lo:[0,0,1] neg_hi:[0,0,1]
	v_pk_fma_f32 v[6:7], v[6:7], s[6:7], v[12:13] op_sel:[0,0,1] op_sel_hi:[1,0,0]
	v_pk_mul_f32 v[12:13], v[80:81], s[2:3] op_sel_hi:[0,1]
	v_mov_b32_e32 v17, v7
	v_pk_add_f32 v[6:7], v[14:15], v[16:17]
	flat_store_dwordx2 v[10:11], v[6:7] offset:128
	flat_load_dwordx2 v[6:7], v[8:9] offset:256
	v_pk_fma_f32 v[14:15], v[78:79], s[2:3], v[12:13] op_sel:[0,1,0] op_sel_hi:[1,0,1] neg_lo:[0,0,1] neg_hi:[0,0,1]
	v_pk_fma_f32 v[12:13], v[78:79], s[2:3], v[12:13] op_sel:[0,1,0] op_sel_hi:[0,0,1]
	v_mov_b32_e32 v15, v13
	s_waitcnt vmcnt(0) lgkmcnt(0)
	v_pk_mul_f32 v[12:13], v[6:7], s[0:1] op_sel_hi:[1,0]
	s_nop 0
	v_pk_fma_f32 v[16:17], v[6:7], s[6:7], v[12:13] op_sel:[0,0,1] op_sel_hi:[1,1,0] neg_lo:[0,0,1] neg_hi:[0,0,1]
	v_pk_fma_f32 v[6:7], v[6:7], s[6:7], v[12:13] op_sel:[0,0,1] op_sel_hi:[1,0,0]
	s_nop 0
	v_mov_b32_e32 v17, v7
	v_pk_add_f32 v[6:7], v[14:15], v[16:17]
	flat_store_dwordx2 v[10:11], v[6:7] offset:256
	flat_load_dwordx2 v[6:7], v[8:9] offset:384
	v_pk_mul_f32 v[8:9], v[76:77], s[2:3] op_sel_hi:[0,1]
	v_pk_fma_f32 v[12:13], v[74:75], s[2:3], v[8:9] op_sel:[0,1,0] op_sel_hi:[1,0,1] neg_lo:[0,0,1] neg_hi:[0,0,1]
	v_pk_fma_f32 v[8:9], v[74:75], s[2:3], v[8:9] op_sel:[0,1,0] op_sel_hi:[0,0,1]
	v_mov_b32_e32 v13, v9
	v_lshl_add_u64 v[8:9], v[4:5], 0, v[0:1]
	v_lshl_add_u64 v[4:5], v[4:5], 0, s[4:5]
	;; [unrolled: 1-line block ×3, first 2 shown]
	s_waitcnt vmcnt(0) lgkmcnt(0)
	v_pk_mul_f32 v[14:15], v[6:7], s[0:1] op_sel_hi:[1,0]
	s_nop 0
	v_pk_fma_f32 v[16:17], v[6:7], s[6:7], v[14:15] op_sel:[0,0,1] op_sel_hi:[1,1,0] neg_lo:[0,0,1] neg_hi:[0,0,1]
	v_pk_fma_f32 v[6:7], v[6:7], s[6:7], v[14:15] op_sel:[0,0,1] op_sel_hi:[1,0,0]
	s_nop 0
	v_mov_b32_e32 v17, v7
	v_pk_add_f32 v[6:7], v[12:13], v[16:17]
	flat_store_dwordx2 v[10:11], v[6:7] offset:384
	flat_load_dwordx2 v[6:7], v[8:9]
	v_pk_mul_f32 v[10:11], v[72:73], s[2:3] op_sel_hi:[0,1]
	v_pk_fma_f32 v[12:13], v[70:71], s[2:3], v[10:11] op_sel:[0,1,0] op_sel_hi:[1,0,1] neg_lo:[0,0,1] neg_hi:[0,0,1]
	v_pk_fma_f32 v[10:11], v[70:71], s[2:3], v[10:11] op_sel:[0,1,0] op_sel_hi:[0,0,1]
	v_mov_b32_e32 v13, v11
	v_lshl_add_u64 v[10:11], v[2:3], 0, v[0:1]
	v_lshl_add_u64 v[2:3], v[2:3], 0, s[8:9]
	v_lshl_add_u64 v[0:1], v[2:3], 0, v[0:1]
	s_waitcnt vmcnt(0) lgkmcnt(0)
	v_pk_mul_f32 v[14:15], v[6:7], s[0:1] op_sel_hi:[1,0]
	s_nop 0
	v_pk_fma_f32 v[16:17], v[6:7], s[6:7], v[14:15] op_sel:[0,0,1] op_sel_hi:[1,1,0] neg_lo:[0,0,1] neg_hi:[0,0,1]
	v_pk_fma_f32 v[6:7], v[6:7], s[6:7], v[14:15] op_sel:[0,0,1] op_sel_hi:[1,0,0]
	s_nop 0
	v_mov_b32_e32 v17, v7
	v_pk_add_f32 v[6:7], v[12:13], v[16:17]
	flat_store_dwordx2 v[10:11], v[6:7]
	flat_load_dwordx2 v[6:7], v[8:9] offset:128
	v_pk_mul_f32 v[12:13], v[68:69], s[2:3] op_sel_hi:[0,1]
	v_pk_fma_f32 v[14:15], v[66:67], s[2:3], v[12:13] op_sel:[0,1,0] op_sel_hi:[1,0,1] neg_lo:[0,0,1] neg_hi:[0,0,1]
	v_pk_fma_f32 v[12:13], v[66:67], s[2:3], v[12:13] op_sel:[0,1,0] op_sel_hi:[0,0,1]
	v_mov_b32_e32 v15, v13
	s_waitcnt vmcnt(0) lgkmcnt(0)
	v_pk_mul_f32 v[12:13], v[6:7], s[0:1] op_sel_hi:[1,0]
	s_nop 0
	v_pk_fma_f32 v[16:17], v[6:7], s[6:7], v[12:13] op_sel:[0,0,1] op_sel_hi:[1,1,0] neg_lo:[0,0,1] neg_hi:[0,0,1]
	v_pk_fma_f32 v[6:7], v[6:7], s[6:7], v[12:13] op_sel:[0,0,1] op_sel_hi:[1,0,0]
	v_pk_mul_f32 v[12:13], v[64:65], s[2:3] op_sel_hi:[0,1]
	v_mov_b32_e32 v17, v7
	v_pk_add_f32 v[6:7], v[14:15], v[16:17]
	flat_store_dwordx2 v[10:11], v[6:7] offset:128
	flat_load_dwordx2 v[6:7], v[8:9] offset:256
	v_pk_fma_f32 v[14:15], v[62:63], s[2:3], v[12:13] op_sel:[0,1,0] op_sel_hi:[1,0,1] neg_lo:[0,0,1] neg_hi:[0,0,1]
	v_pk_fma_f32 v[12:13], v[62:63], s[2:3], v[12:13] op_sel:[0,1,0] op_sel_hi:[0,0,1]
	v_mov_b32_e32 v15, v13
	s_waitcnt vmcnt(0) lgkmcnt(0)
	v_pk_mul_f32 v[12:13], v[6:7], s[0:1] op_sel_hi:[1,0]
	s_nop 0
	v_pk_fma_f32 v[16:17], v[6:7], s[6:7], v[12:13] op_sel:[0,0,1] op_sel_hi:[1,1,0] neg_lo:[0,0,1] neg_hi:[0,0,1]
	v_pk_fma_f32 v[6:7], v[6:7], s[6:7], v[12:13] op_sel:[0,0,1] op_sel_hi:[1,0,0]
	s_nop 0
	v_mov_b32_e32 v17, v7
	v_pk_add_f32 v[6:7], v[14:15], v[16:17]
	flat_store_dwordx2 v[10:11], v[6:7] offset:256
	flat_load_dwordx2 v[6:7], v[8:9] offset:384
	v_pk_mul_f32 v[8:9], v[60:61], s[2:3] op_sel_hi:[0,1]
	v_pk_fma_f32 v[12:13], v[56:57], s[2:3], v[8:9] op_sel:[0,1,0] op_sel_hi:[1,0,1] neg_lo:[0,0,1] neg_hi:[0,0,1]
	v_pk_fma_f32 v[8:9], v[56:57], s[2:3], v[8:9] op_sel:[0,1,0] op_sel_hi:[0,0,1]
	v_mov_b32_e32 v13, v9
	s_waitcnt vmcnt(0) lgkmcnt(0)
	v_pk_mul_f32 v[8:9], v[6:7], s[0:1] op_sel_hi:[1,0]
	s_nop 0
	v_pk_fma_f32 v[14:15], v[6:7], s[6:7], v[8:9] op_sel:[0,0,1] op_sel_hi:[1,1,0] neg_lo:[0,0,1] neg_hi:[0,0,1]
	v_pk_fma_f32 v[6:7], v[6:7], s[6:7], v[8:9] op_sel:[0,0,1] op_sel_hi:[1,0,0]
	v_pk_mul_f32 v[8:9], v[50:51], s[2:3] op_sel_hi:[0,1]
	v_mov_b32_e32 v15, v7
	v_pk_add_f32 v[6:7], v[12:13], v[14:15]
	flat_store_dwordx2 v[10:11], v[6:7] offset:384
	flat_load_dwordx2 v[6:7], v[4:5]
	v_pk_fma_f32 v[10:11], v[46:47], s[2:3], v[8:9] op_sel:[0,1,0] op_sel_hi:[1,0,1] neg_lo:[0,0,1] neg_hi:[0,0,1]
	v_pk_fma_f32 v[8:9], v[46:47], s[2:3], v[8:9] op_sel:[0,1,0] op_sel_hi:[0,0,1]
	v_mov_b32_e32 v11, v9
	s_waitcnt vmcnt(0) lgkmcnt(0)
	v_pk_mul_f32 v[2:3], v[6:7], s[0:1] op_sel_hi:[1,0]
	s_nop 0
	v_pk_fma_f32 v[8:9], v[6:7], s[6:7], v[2:3] op_sel:[0,0,1] op_sel_hi:[1,1,0] neg_lo:[0,0,1] neg_hi:[0,0,1]
	v_pk_fma_f32 v[2:3], v[6:7], s[6:7], v[2:3] op_sel:[0,0,1] op_sel_hi:[1,0,0]
	v_pk_mul_f32 v[6:7], v[44:45], s[2:3] op_sel_hi:[0,1]
	v_mov_b32_e32 v9, v3
	v_pk_add_f32 v[2:3], v[10:11], v[8:9]
	flat_store_dwordx2 v[0:1], v[2:3]
	flat_load_dwordx2 v[2:3], v[4:5] offset:128
	v_pk_fma_f32 v[8:9], v[42:43], s[2:3], v[6:7] op_sel:[0,1,0] op_sel_hi:[1,0,1] neg_lo:[0,0,1] neg_hi:[0,0,1]
	v_pk_fma_f32 v[6:7], v[42:43], s[2:3], v[6:7] op_sel:[0,1,0] op_sel_hi:[0,0,1]
	v_mov_b32_e32 v9, v7
	s_waitcnt vmcnt(0) lgkmcnt(0)
	v_pk_mul_f32 v[6:7], v[2:3], s[0:1] op_sel_hi:[1,0]
	s_nop 0
	v_pk_fma_f32 v[10:11], v[2:3], s[6:7], v[6:7] op_sel:[0,0,1] op_sel_hi:[1,1,0] neg_lo:[0,0,1] neg_hi:[0,0,1]
	v_pk_fma_f32 v[2:3], v[2:3], s[6:7], v[6:7] op_sel:[0,0,1] op_sel_hi:[1,0,0]
	v_mov_b32_e32 v6, v41
	v_mov_b32_e32 v11, v3
	v_pk_add_f32 v[2:3], v[8:9], v[10:11]
	flat_store_dwordx2 v[0:1], v[2:3] offset:128
	flat_load_dwordx2 v[2:3], v[4:5] offset:256
	v_pk_mul_f32 v[6:7], v[6:7], s[2:3] op_sel_hi:[0,1]
	v_pk_fma_f32 v[8:9], v[40:41], s[2:3], v[6:7] op_sel:[0,1,0] op_sel_hi:[1,0,1] neg_lo:[0,0,1] neg_hi:[0,0,1]
	v_pk_fma_f32 v[6:7], v[40:41], s[2:3], v[6:7] op_sel:[0,1,0] op_sel_hi:[0,0,1]
	v_mov_b32_e32 v9, v7
	s_waitcnt vmcnt(0) lgkmcnt(0)
	v_pk_mul_f32 v[6:7], v[2:3], s[0:1] op_sel_hi:[1,0]
	s_nop 0
	v_pk_fma_f32 v[10:11], v[2:3], s[6:7], v[6:7] op_sel:[0,0,1] op_sel_hi:[1,1,0] neg_lo:[0,0,1] neg_hi:[0,0,1]
	v_pk_fma_f32 v[2:3], v[2:3], s[6:7], v[6:7] op_sel:[0,0,1] op_sel_hi:[1,0,0]
	v_mov_b32_e32 v6, v58
	v_mov_b32_e32 v11, v3
	v_pk_add_f32 v[2:3], v[8:9], v[10:11]
	flat_store_dwordx2 v[0:1], v[2:3] offset:256
	flat_load_dwordx2 v[2:3], v[4:5] offset:384
	v_mul_f32_e32 v4, s3, v58
	s_mov_b32 s3, s7
	s_mov_b64 s[0:1], 0x180
	v_fma_f32 v8, -v59, s2, v4
	v_lshl_add_u64 v[4:5], v[0:1], 0, s[0:1]
	s_waitcnt vmcnt(0) lgkmcnt(0)
	v_mul_f32_e32 v9, s7, v3
	v_mov_b32_e32 v7, v2
	v_fma_f32 v9, v2, s6, -v9
	v_mov_b32_e32 v2, v59
	v_pk_mul_f32 v[2:3], v[2:3], s[10:11]
	v_add_f32_e32 v8, v8, v9
	v_pk_fma_f32 v[2:3], v[6:7], s[2:3], v[2:3]
	flat_store_dword v[0:1], v8 offset:384
	v_add_f32_e32 v6, v2, v3
.LBB236_7:
	flat_store_dword v[4:5], v6 offset:4
	s_endpgm
	.section	.rodata,"a",@progbits
	.p2align	6, 0x0
	.amdhsa_kernel _ZN12_GLOBAL__N_127rocblas_gemm_batched_kernelI19rocblas_complex_numIfELi16ELi16ELi64ELi64ELi4ELi64ELi4ELi4ELi64ELc78ELc84EKPKS2_S5_KPS2_EEvlllT_PT11_llSA_llS8_PT12_llPT13_lli
		.amdhsa_group_segment_fixed_size 4096
		.amdhsa_private_segment_fixed_size 0
		.amdhsa_kernarg_size 140
		.amdhsa_user_sgpr_count 2
		.amdhsa_user_sgpr_dispatch_ptr 0
		.amdhsa_user_sgpr_queue_ptr 0
		.amdhsa_user_sgpr_kernarg_segment_ptr 1
		.amdhsa_user_sgpr_dispatch_id 0
		.amdhsa_user_sgpr_kernarg_preload_length 0
		.amdhsa_user_sgpr_kernarg_preload_offset 0
		.amdhsa_user_sgpr_private_segment_size 0
		.amdhsa_uses_dynamic_stack 0
		.amdhsa_enable_private_segment 0
		.amdhsa_system_sgpr_workgroup_id_x 1
		.amdhsa_system_sgpr_workgroup_id_y 1
		.amdhsa_system_sgpr_workgroup_id_z 1
		.amdhsa_system_sgpr_workgroup_info 0
		.amdhsa_system_vgpr_workitem_id 1
		.amdhsa_next_free_vgpr 108
		.amdhsa_next_free_sgpr 42
		.amdhsa_accum_offset 108
		.amdhsa_reserve_vcc 1
		.amdhsa_float_round_mode_32 0
		.amdhsa_float_round_mode_16_64 0
		.amdhsa_float_denorm_mode_32 3
		.amdhsa_float_denorm_mode_16_64 3
		.amdhsa_dx10_clamp 1
		.amdhsa_ieee_mode 1
		.amdhsa_fp16_overflow 0
		.amdhsa_tg_split 0
		.amdhsa_exception_fp_ieee_invalid_op 0
		.amdhsa_exception_fp_denorm_src 0
		.amdhsa_exception_fp_ieee_div_zero 0
		.amdhsa_exception_fp_ieee_overflow 0
		.amdhsa_exception_fp_ieee_underflow 0
		.amdhsa_exception_fp_ieee_inexact 0
		.amdhsa_exception_int_div_zero 0
	.end_amdhsa_kernel
	.section	.text._ZN12_GLOBAL__N_127rocblas_gemm_batched_kernelI19rocblas_complex_numIfELi16ELi16ELi64ELi64ELi4ELi64ELi4ELi4ELi64ELc78ELc84EKPKS2_S5_KPS2_EEvlllT_PT11_llSA_llS8_PT12_llPT13_lli,"axG",@progbits,_ZN12_GLOBAL__N_127rocblas_gemm_batched_kernelI19rocblas_complex_numIfELi16ELi16ELi64ELi64ELi4ELi64ELi4ELi4ELi64ELc78ELc84EKPKS2_S5_KPS2_EEvlllT_PT11_llSA_llS8_PT12_llPT13_lli,comdat
.Lfunc_end236:
	.size	_ZN12_GLOBAL__N_127rocblas_gemm_batched_kernelI19rocblas_complex_numIfELi16ELi16ELi64ELi64ELi4ELi64ELi4ELi4ELi64ELc78ELc84EKPKS2_S5_KPS2_EEvlllT_PT11_llSA_llS8_PT12_llPT13_lli, .Lfunc_end236-_ZN12_GLOBAL__N_127rocblas_gemm_batched_kernelI19rocblas_complex_numIfELi16ELi16ELi64ELi64ELi4ELi64ELi4ELi4ELi64ELc78ELc84EKPKS2_S5_KPS2_EEvlllT_PT11_llSA_llS8_PT12_llPT13_lli
                                        ; -- End function
	.set _ZN12_GLOBAL__N_127rocblas_gemm_batched_kernelI19rocblas_complex_numIfELi16ELi16ELi64ELi64ELi4ELi64ELi4ELi4ELi64ELc78ELc84EKPKS2_S5_KPS2_EEvlllT_PT11_llSA_llS8_PT12_llPT13_lli.num_vgpr, 108
	.set _ZN12_GLOBAL__N_127rocblas_gemm_batched_kernelI19rocblas_complex_numIfELi16ELi16ELi64ELi64ELi4ELi64ELi4ELi4ELi64ELc78ELc84EKPKS2_S5_KPS2_EEvlllT_PT11_llSA_llS8_PT12_llPT13_lli.num_agpr, 0
	.set _ZN12_GLOBAL__N_127rocblas_gemm_batched_kernelI19rocblas_complex_numIfELi16ELi16ELi64ELi64ELi4ELi64ELi4ELi4ELi64ELc78ELc84EKPKS2_S5_KPS2_EEvlllT_PT11_llSA_llS8_PT12_llPT13_lli.numbered_sgpr, 42
	.set _ZN12_GLOBAL__N_127rocblas_gemm_batched_kernelI19rocblas_complex_numIfELi16ELi16ELi64ELi64ELi4ELi64ELi4ELi4ELi64ELc78ELc84EKPKS2_S5_KPS2_EEvlllT_PT11_llSA_llS8_PT12_llPT13_lli.num_named_barrier, 0
	.set _ZN12_GLOBAL__N_127rocblas_gemm_batched_kernelI19rocblas_complex_numIfELi16ELi16ELi64ELi64ELi4ELi64ELi4ELi4ELi64ELc78ELc84EKPKS2_S5_KPS2_EEvlllT_PT11_llSA_llS8_PT12_llPT13_lli.private_seg_size, 0
	.set _ZN12_GLOBAL__N_127rocblas_gemm_batched_kernelI19rocblas_complex_numIfELi16ELi16ELi64ELi64ELi4ELi64ELi4ELi4ELi64ELc78ELc84EKPKS2_S5_KPS2_EEvlllT_PT11_llSA_llS8_PT12_llPT13_lli.uses_vcc, 1
	.set _ZN12_GLOBAL__N_127rocblas_gemm_batched_kernelI19rocblas_complex_numIfELi16ELi16ELi64ELi64ELi4ELi64ELi4ELi4ELi64ELc78ELc84EKPKS2_S5_KPS2_EEvlllT_PT11_llSA_llS8_PT12_llPT13_lli.uses_flat_scratch, 0
	.set _ZN12_GLOBAL__N_127rocblas_gemm_batched_kernelI19rocblas_complex_numIfELi16ELi16ELi64ELi64ELi4ELi64ELi4ELi4ELi64ELc78ELc84EKPKS2_S5_KPS2_EEvlllT_PT11_llSA_llS8_PT12_llPT13_lli.has_dyn_sized_stack, 0
	.set _ZN12_GLOBAL__N_127rocblas_gemm_batched_kernelI19rocblas_complex_numIfELi16ELi16ELi64ELi64ELi4ELi64ELi4ELi4ELi64ELc78ELc84EKPKS2_S5_KPS2_EEvlllT_PT11_llSA_llS8_PT12_llPT13_lli.has_recursion, 0
	.set _ZN12_GLOBAL__N_127rocblas_gemm_batched_kernelI19rocblas_complex_numIfELi16ELi16ELi64ELi64ELi4ELi64ELi4ELi4ELi64ELc78ELc84EKPKS2_S5_KPS2_EEvlllT_PT11_llSA_llS8_PT12_llPT13_lli.has_indirect_call, 0
	.section	.AMDGPU.csdata,"",@progbits
; Kernel info:
; codeLenInByte = 5192
; TotalNumSgprs: 48
; NumVgprs: 108
; NumAgprs: 0
; TotalNumVgprs: 108
; ScratchSize: 0
; MemoryBound: 0
; FloatMode: 240
; IeeeMode: 1
; LDSByteSize: 4096 bytes/workgroup (compile time only)
; SGPRBlocks: 5
; VGPRBlocks: 13
; NumSGPRsForWavesPerEU: 48
; NumVGPRsForWavesPerEU: 108
; AccumOffset: 108
; Occupancy: 4
; WaveLimiterHint : 1
; COMPUTE_PGM_RSRC2:SCRATCH_EN: 0
; COMPUTE_PGM_RSRC2:USER_SGPR: 2
; COMPUTE_PGM_RSRC2:TRAP_HANDLER: 0
; COMPUTE_PGM_RSRC2:TGID_X_EN: 1
; COMPUTE_PGM_RSRC2:TGID_Y_EN: 1
; COMPUTE_PGM_RSRC2:TGID_Z_EN: 1
; COMPUTE_PGM_RSRC2:TIDIG_COMP_CNT: 1
; COMPUTE_PGM_RSRC3_GFX90A:ACCUM_OFFSET: 26
; COMPUTE_PGM_RSRC3_GFX90A:TG_SPLIT: 0
	.section	.text._ZN12_GLOBAL__N_127rocblas_gemm_batched_kernelI19rocblas_complex_numIfELi16ELi16ELi64ELi64ELi4ELi64ELi4ELi4ELi64ELc84ELc84EKPKS2_S5_KPS2_EEvlllT_PT11_llSA_llS8_PT12_llPT13_lli,"axG",@progbits,_ZN12_GLOBAL__N_127rocblas_gemm_batched_kernelI19rocblas_complex_numIfELi16ELi16ELi64ELi64ELi4ELi64ELi4ELi4ELi64ELc84ELc84EKPKS2_S5_KPS2_EEvlllT_PT11_llSA_llS8_PT12_llPT13_lli,comdat
	.globl	_ZN12_GLOBAL__N_127rocblas_gemm_batched_kernelI19rocblas_complex_numIfELi16ELi16ELi64ELi64ELi4ELi64ELi4ELi4ELi64ELc84ELc84EKPKS2_S5_KPS2_EEvlllT_PT11_llSA_llS8_PT12_llPT13_lli ; -- Begin function _ZN12_GLOBAL__N_127rocblas_gemm_batched_kernelI19rocblas_complex_numIfELi16ELi16ELi64ELi64ELi4ELi64ELi4ELi4ELi64ELc84ELc84EKPKS2_S5_KPS2_EEvlllT_PT11_llSA_llS8_PT12_llPT13_lli
	.p2align	8
	.type	_ZN12_GLOBAL__N_127rocblas_gemm_batched_kernelI19rocblas_complex_numIfELi16ELi16ELi64ELi64ELi4ELi64ELi4ELi4ELi64ELc84ELc84EKPKS2_S5_KPS2_EEvlllT_PT11_llSA_llS8_PT12_llPT13_lli,@function
_ZN12_GLOBAL__N_127rocblas_gemm_batched_kernelI19rocblas_complex_numIfELi16ELi16ELi64ELi64ELi4ELi64ELi4ELi4ELi64ELc84ELc84EKPKS2_S5_KPS2_EEvlllT_PT11_llSA_llS8_PT12_llPT13_lli: ; @_ZN12_GLOBAL__N_127rocblas_gemm_batched_kernelI19rocblas_complex_numIfELi16ELi16ELi64ELi64ELi4ELi64ELi4ELi4ELi64ELc84ELc84EKPKS2_S5_KPS2_EEvlllT_PT11_llSA_llS8_PT12_llPT13_lli
; %bb.0:
	s_load_dwordx16 s[8:23], s[0:1], 0x10
	s_load_dwordx4 s[36:39], s[0:1], 0x78
	s_load_dwordx8 s[24:31], s[0:1], 0x58
	s_load_dwordx2 s[6:7], s[0:1], 0x50
	s_mov_b32 s5, 0
	s_lshl_b64 s[34:35], s[4:5], 3
	s_mov_b32 s40, s3
	s_waitcnt lgkmcnt(0)
	s_add_u32 s0, s24, s34
	s_addc_u32 s1, s25, s35
	s_add_u32 s4, s30, s34
	s_addc_u32 s5, s31, s35
	s_load_dwordx2 s[0:1], s[0:1], 0x0
	v_mov_b32_e32 v39, 0
	s_load_dwordx2 s[4:5], s[4:5], 0x0
	s_ashr_i32 s3, s2, 31
	s_ashr_i32 s41, s40, 31
	v_cmp_lt_i64_e64 s[30:31], s[8:9], 1
	v_bfe_u32 v38, v0, 10, 10
	v_and_b32_e32 v36, 0x3ff, v0
	v_mov_b32_e32 v37, v39
	s_lshl_b64 s[2:3], s[2:3], 6
	s_lshl_b64 s[24:25], s[40:41], 6
	s_and_b64 vcc, exec, s[30:31]
	v_mov_b32_e32 v59, v39
	v_mov_b32_e32 v58, v39
	;; [unrolled: 1-line block ×32, first 2 shown]
	s_cbranch_vccnz .LBB237_3
; %bb.1:
	v_lshl_add_u32 v4, v38, 4, v36
	v_lshrrev_b32_e32 v40, 2, v4
	v_mov_b32_e32 v41, 0
	v_lshl_add_u64 v[0:1], v[40:41], 0, s[24:25]
	v_and_b32_e32 v5, 3, v36
	v_mad_u64_u32 v[0:1], s[30:31], s20, v5, v[0:1]
	s_add_u32 s12, s12, s34
	v_mov_b32_e32 v2, v1
	s_addc_u32 s13, s13, s35
	v_mad_u64_u32 v[2:3], s[30:31], s21, v5, v[2:3]
	v_lshlrev_b32_e32 v5, 3, v5
	s_add_u32 s18, s18, s34
	v_mov_b32_e32 v1, v2
	v_and_b32_e32 v2, 63, v4
	v_mov_b32_e32 v3, v41
	v_lshl_or_b32 v5, v40, 5, v5
	s_load_dwordx2 s[12:13], s[12:13], 0x0
	s_addc_u32 s19, s19, s35
	v_lshrrev_b32_e32 v4, 6, v4
	v_lshlrev_b32_e32 v6, 3, v2
	v_add_u32_e32 v45, 0x800, v5
	v_mov_b32_e32 v5, 0x800
	v_lshl_add_u64 v[2:3], s[2:3], 0, v[2:3]
	s_load_dwordx2 s[18:19], s[18:19], 0x0
	v_lshl_or_b32 v43, v4, 9, v6
	v_lshl_add_u32 v49, v38, 5, v5
	v_mul_lo_u32 v5, s15, v2
	v_mul_lo_u32 v6, s14, v3
	v_mad_u64_u32 v[2:3], s[14:15], s14, v2, 0
	v_add3_u32 v3, v3, v6, v5
	s_lshl_b64 s[14:15], s[16:17], 3
	v_lshl_add_u64 v[2:3], v[2:3], 3, s[14:15]
	v_lshlrev_b32_e32 v40, 3, v4
	v_lshl_add_u64 v[2:3], v[2:3], 0, v[40:41]
	s_waitcnt lgkmcnt(0)
	v_lshl_add_u64 v[50:51], s[12:13], 0, v[2:3]
	s_lshl_b64 s[12:13], s[22:23], 3
	s_add_u32 s12, s18, s12
	s_addc_u32 s13, s19, s13
	v_lshlrev_b32_e32 v47, 3, v36
	v_lshl_add_u64 v[52:53], v[0:1], 3, s[12:13]
	s_lshl_b64 s[12:13], s[20:21], 5
	s_mov_b64 s[14:15], 0
	v_mov_b64_e32 v[54:55], s[8:9]
	v_mov_b32_e32 v40, v41
	v_mov_b32_e32 v44, v41
	;; [unrolled: 1-line block ×31, first 2 shown]
.LBB237_2:                              ; =>This Inner Loop Header: Depth=1
	flat_load_dwordx2 v[0:1], v[50:51]
	s_add_u32 s14, s14, 4
	s_addc_u32 s15, s15, 0
	v_cmp_lt_i64_e32 vcc, s[14:15], v[54:55]
	v_lshl_add_u64 v[50:51], v[50:51], 0, 32
	s_and_b64 vcc, exec, vcc
	s_waitcnt vmcnt(0) lgkmcnt(0)
	ds_write_b64 v43, v[0:1]
	flat_load_dwordx2 v[0:1], v[52:53]
	v_lshl_add_u64 v[52:53], v[52:53], 0, s[12:13]
	s_waitcnt vmcnt(0) lgkmcnt(0)
	ds_write_b64 v45, v[0:1]
	s_waitcnt lgkmcnt(0)
	s_barrier
	ds_read_b128 v[0:3], v49
	ds_read_b128 v[32:35], v49 offset:16
	ds_read2_b64 v[8:11], v47 offset1:16
	ds_read2_b64 v[12:15], v47 offset0:32 offset1:48
	s_waitcnt lgkmcnt(1)
	v_mul_f32_e32 v4, v1, v9
	v_fma_f32 v4, v0, v8, -v4
	v_mul_f32_e32 v5, v0, v9
	v_add_f32_e32 v20, v102, v4
	v_mul_f32_e32 v4, v1, v11
	v_fmac_f32_e32 v5, v1, v8
	v_fma_f32 v4, v0, v10, -v4
	v_add_f32_e32 v21, v104, v5
	v_mul_f32_e32 v5, v0, v11
	v_add_f32_e32 v22, v98, v4
	s_waitcnt lgkmcnt(0)
	v_mul_f32_e32 v4, v1, v13
	v_fmac_f32_e32 v5, v1, v10
	v_fma_f32 v4, v0, v12, -v4
	v_add_f32_e32 v23, v100, v5
	v_mul_f32_e32 v5, v0, v13
	v_add_f32_e32 v57, v94, v4
	v_mul_f32_e32 v4, v1, v15
	v_fmac_f32_e32 v5, v1, v12
	v_fma_f32 v4, v0, v14, -v4
	v_mul_f32_e32 v0, v0, v15
	v_add_f32_e32 v61, v96, v5
	v_fmac_f32_e32 v0, v1, v14
	v_add_f32_e32 v1, v90, v4
	ds_read_b128 v[4:7], v49 offset:512
	ds_read_b128 v[104:107], v49 offset:1040
	v_add_f32_e32 v0, v92, v0
	s_waitcnt lgkmcnt(1)
	v_mul_f32_e32 v16, v5, v9
	v_fma_f32 v16, v4, v8, -v16
	v_mul_f32_e32 v17, v4, v9
	v_add_f32_e32 v63, v86, v16
	v_mul_f32_e32 v16, v5, v11
	v_fmac_f32_e32 v17, v5, v8
	v_fma_f32 v16, v4, v10, -v16
	v_add_f32_e32 v65, v88, v17
	v_mul_f32_e32 v17, v4, v11
	v_add_f32_e32 v67, v82, v16
	v_mul_f32_e32 v16, v5, v13
	v_fmac_f32_e32 v17, v5, v10
	v_fma_f32 v16, v4, v12, -v16
	v_add_f32_e32 v69, v84, v17
	v_mul_f32_e32 v17, v4, v13
	v_add_f32_e32 v71, v78, v16
	v_mul_f32_e32 v16, v5, v15
	v_fmac_f32_e32 v17, v5, v12
	v_fma_f32 v16, v4, v14, -v16
	v_mul_f32_e32 v4, v4, v15
	v_add_f32_e32 v73, v80, v17
	v_fmac_f32_e32 v4, v5, v14
	v_add_f32_e32 v5, v74, v16
	ds_read_b128 v[16:19], v49 offset:1024
	v_add_f32_e32 v4, v76, v4
	s_waitcnt lgkmcnt(0)
	v_mul_f32_e32 v24, v17, v9
	v_fma_f32 v24, v16, v8, -v24
	v_mul_f32_e32 v25, v16, v9
	v_add_f32_e32 v70, v70, v24
	v_mul_f32_e32 v24, v17, v11
	v_fmac_f32_e32 v25, v17, v8
	v_fma_f32 v24, v16, v10, -v24
	v_add_f32_e32 v72, v72, v25
	v_mul_f32_e32 v25, v16, v11
	v_add_f32_e32 v66, v66, v24
	v_mul_f32_e32 v24, v17, v13
	v_fmac_f32_e32 v25, v17, v10
	v_fma_f32 v24, v16, v12, -v24
	v_add_f32_e32 v68, v68, v25
	v_mul_f32_e32 v25, v16, v13
	v_add_f32_e32 v62, v62, v24
	v_mul_f32_e32 v24, v17, v15
	v_fmac_f32_e32 v25, v17, v12
	v_fma_f32 v24, v16, v14, -v24
	v_mul_f32_e32 v16, v16, v15
	v_add_f32_e32 v64, v64, v25
	v_fmac_f32_e32 v16, v17, v14
	v_add_f32_e32 v17, v56, v24
	ds_read2_b64 v[24:27], v47 offset0:64 offset1:80
	v_add_f32_e32 v16, v60, v16
	s_waitcnt lgkmcnt(0)
	v_mul_f32_e32 v28, v3, v25
	v_mul_f32_e32 v29, v2, v25
	v_fma_f32 v28, v2, v24, -v28
	v_fmac_f32_e32 v29, v3, v24
	v_add_f32_e32 v20, v20, v28
	v_add_f32_e32 v21, v21, v29
	v_mul_f32_e32 v28, v3, v27
	v_mul_f32_e32 v29, v2, v27
	v_fma_f32 v28, v2, v26, -v28
	v_fmac_f32_e32 v29, v3, v26
	v_add_f32_e32 v22, v22, v28
	v_add_f32_e32 v23, v23, v29
	ds_read2_b64 v[28:31], v47 offset0:96 offset1:112
	s_waitcnt lgkmcnt(0)
	v_mul_f32_e32 v56, v3, v29
	v_mul_f32_e32 v60, v2, v29
	v_fma_f32 v56, v2, v28, -v56
	v_fmac_f32_e32 v60, v3, v28
	v_add_f32_e32 v56, v57, v56
	v_add_f32_e32 v57, v61, v60
	v_mul_f32_e32 v60, v3, v31
	v_fma_f32 v60, v2, v30, -v60
	v_mul_f32_e32 v2, v2, v31
	v_fmac_f32_e32 v2, v3, v30
	v_add_f32_e32 v60, v1, v60
	v_add_f32_e32 v61, v0, v2
	v_mul_f32_e32 v0, v7, v25
	v_mul_f32_e32 v1, v6, v25
	v_fma_f32 v0, v6, v24, -v0
	v_fmac_f32_e32 v1, v7, v24
	v_add_f32_e32 v74, v63, v0
	v_add_f32_e32 v65, v65, v1
	v_mul_f32_e32 v0, v7, v27
	v_mul_f32_e32 v1, v6, v27
	v_fma_f32 v0, v6, v26, -v0
	;; [unrolled: 6-line block ×6, first 2 shown]
	v_fmac_f32_e32 v1, v19, v26
	ds_read2_b64 v[4:7], v47 offset0:128 offset1:144
	v_add_f32_e32 v66, v66, v0
	v_add_f32_e32 v68, v68, v1
	v_mul_f32_e32 v0, v19, v29
	v_mul_f32_e32 v1, v18, v29
	v_fma_f32 v0, v18, v28, -v0
	v_fmac_f32_e32 v1, v19, v28
	v_add_f32_e32 v77, v62, v0
	v_add_f32_e32 v64, v64, v1
	v_mul_f32_e32 v0, v19, v31
	v_mul_f32_e32 v1, v18, v31
	v_fma_f32 v0, v18, v30, -v0
	v_fmac_f32_e32 v1, v19, v30
	v_add_f32_e32 v17, v17, v0
	v_add_f32_e32 v16, v16, v1
	s_waitcnt lgkmcnt(0)
	v_mul_f32_e32 v0, v33, v5
	v_mul_f32_e32 v1, v32, v5
	v_fma_f32 v0, v32, v4, -v0
	v_fmac_f32_e32 v1, v33, v4
	v_add_f32_e32 v18, v20, v0
	v_add_f32_e32 v19, v21, v1
	v_mul_f32_e32 v0, v33, v7
	v_mul_f32_e32 v1, v32, v7
	v_fma_f32 v0, v32, v6, -v0
	v_fmac_f32_e32 v1, v33, v6
	v_add_f32_e32 v78, v22, v0
	v_add_f32_e32 v79, v23, v1
	ds_read2_b64 v[0:3], v47 offset0:160 offset1:176
	s_waitcnt lgkmcnt(0)
	v_mul_f32_e32 v20, v33, v1
	v_mul_f32_e32 v21, v32, v1
	v_fma_f32 v20, v32, v0, -v20
	v_fmac_f32_e32 v21, v33, v0
	v_add_f32_e32 v56, v56, v20
	v_add_f32_e32 v57, v57, v21
	v_mul_f32_e32 v20, v33, v3
	v_mul_f32_e32 v21, v32, v3
	v_fma_f32 v20, v32, v2, -v20
	v_fmac_f32_e32 v21, v33, v2
	v_add_f32_e32 v32, v60, v20
	v_add_f32_e32 v33, v61, v21
	ds_read_b128 v[60:63], v49 offset:528
	s_waitcnt lgkmcnt(0)
	v_mul_f32_e32 v20, v61, v5
	v_mul_f32_e32 v21, v60, v5
	v_fma_f32 v20, v60, v4, -v20
	v_fmac_f32_e32 v21, v61, v4
	v_add_f32_e32 v74, v74, v20
	v_add_f32_e32 v65, v65, v21
	v_mul_f32_e32 v20, v61, v7
	v_mul_f32_e32 v21, v60, v7
	v_fma_f32 v20, v60, v6, -v20
	v_fmac_f32_e32 v21, v61, v6
	v_add_f32_e32 v67, v67, v20
	v_add_f32_e32 v69, v69, v21
	;; [unrolled: 6-line block ×8, first 2 shown]
	ds_read2_b64 v[20:23], v47 offset0:192 offset1:208
	s_waitcnt lgkmcnt(0)
	v_mul_f32_e32 v16, v35, v21
	v_mul_f32_e32 v17, v34, v21
	v_fma_f32 v16, v34, v20, -v16
	v_fmac_f32_e32 v17, v35, v20
	v_add_f32_e32 v102, v18, v16
	v_add_f32_e32 v104, v19, v17
	v_mul_f32_e32 v16, v35, v23
	v_mul_f32_e32 v17, v34, v23
	v_fma_f32 v16, v34, v22, -v16
	v_fmac_f32_e32 v17, v35, v22
	v_add_f32_e32 v98, v78, v16
	v_add_f32_e32 v100, v79, v17
	ds_read2_b64 v[16:19], v47 offset0:224 offset1:240
	s_waitcnt lgkmcnt(0)
	v_mul_f32_e32 v76, v35, v17
	v_fma_f32 v76, v34, v16, -v76
	v_add_f32_e32 v94, v56, v76
	v_mul_f32_e32 v56, v35, v19
	v_mul_f32_e32 v78, v34, v17
	v_fma_f32 v56, v34, v18, -v56
	v_mul_f32_e32 v34, v34, v19
	v_fmac_f32_e32 v34, v35, v18
	v_add_f32_e32 v90, v32, v56
	v_add_f32_e32 v92, v33, v34
	v_mul_f32_e32 v32, v63, v21
	v_mul_f32_e32 v33, v62, v21
	v_fma_f32 v32, v62, v20, -v32
	v_fmac_f32_e32 v33, v63, v20
	v_add_f32_e32 v86, v74, v32
	v_add_f32_e32 v88, v65, v33
	v_mul_f32_e32 v32, v63, v23
	v_mul_f32_e32 v33, v62, v23
	v_fma_f32 v32, v62, v22, -v32
	v_fmac_f32_e32 v33, v63, v22
	v_add_f32_e32 v82, v67, v32
	v_add_f32_e32 v84, v69, v33
	v_mul_f32_e32 v32, v63, v17
	v_mul_f32_e32 v33, v62, v17
	v_fmac_f32_e32 v78, v35, v16
	v_fma_f32 v32, v62, v16, -v32
	v_fmac_f32_e32 v33, v63, v16
	v_add_f32_e32 v96, v57, v78
	v_add_f32_e32 v78, v71, v32
	;; [unrolled: 1-line block ×3, first 2 shown]
	v_mul_f32_e32 v32, v63, v19
	v_mul_f32_e32 v33, v62, v19
	v_fma_f32 v32, v62, v18, -v32
	v_fmac_f32_e32 v33, v63, v18
	v_add_f32_e32 v74, v60, v32
	v_add_f32_e32 v76, v61, v33
	v_mul_f32_e32 v32, v107, v21
	v_mul_f32_e32 v33, v106, v21
	v_fma_f32 v32, v106, v20, -v32
	v_fmac_f32_e32 v33, v107, v20
	v_add_f32_e32 v70, v70, v32
	v_add_f32_e32 v72, v72, v33
	;; [unrolled: 6-line block ×5, first 2 shown]
	ds_read_b128 v[32:35], v49 offset:1536
	s_waitcnt lgkmcnt(0)
	v_mul_f32_e32 v57, v33, v9
	v_mul_f32_e32 v9, v32, v9
	v_fmac_f32_e32 v9, v33, v8
	v_fma_f32 v57, v32, v8, -v57
	v_add_f32_e32 v48, v48, v9
	v_mul_f32_e32 v8, v33, v11
	v_mul_f32_e32 v9, v32, v11
	v_fma_f32 v8, v32, v10, -v8
	v_fmac_f32_e32 v9, v33, v10
	v_add_f32_e32 v42, v42, v8
	v_add_f32_e32 v44, v44, v9
	v_mul_f32_e32 v8, v33, v13
	v_mul_f32_e32 v9, v32, v13
	v_fma_f32 v8, v32, v12, -v8
	v_fmac_f32_e32 v9, v33, v12
	v_add_f32_e32 v12, v40, v8
	v_add_f32_e32 v13, v41, v9
	v_pk_mul_f32 v[8:9], v[32:33], v[14:15] op_sel:[1,1] op_sel_hi:[0,1]
	v_pk_fma_f32 v[10:11], v[32:33], v[14:15], v[8:9] neg_lo:[0,0,1] neg_hi:[0,0,1]
	v_pk_fma_f32 v[8:9], v[32:33], v[14:15], v[8:9] op_sel_hi:[1,0,1]
	v_add_f32_e32 v46, v46, v57
	v_mov_b32_e32 v11, v9
	v_pk_add_f32 v[8:9], v[58:59], v[10:11]
	v_mul_f32_e32 v10, v35, v25
	v_mul_f32_e32 v11, v34, v25
	v_fma_f32 v10, v34, v24, -v10
	v_fmac_f32_e32 v11, v35, v24
	v_add_f32_e32 v32, v46, v10
	v_add_f32_e32 v33, v48, v11
	v_mul_f32_e32 v10, v35, v27
	v_mul_f32_e32 v11, v34, v27
	v_fma_f32 v10, v34, v26, -v10
	v_fmac_f32_e32 v11, v35, v26
	v_add_f32_e32 v24, v42, v10
	v_add_f32_e32 v25, v44, v11
	;; [unrolled: 6-line block ×3, first 2 shown]
	v_pk_mul_f32 v[10:11], v[34:35], v[30:31] op_sel:[1,1] op_sel_hi:[0,1]
	v_pk_fma_f32 v[12:13], v[34:35], v[30:31], v[10:11] neg_lo:[0,0,1] neg_hi:[0,0,1]
	v_pk_fma_f32 v[10:11], v[34:35], v[30:31], v[10:11] op_sel_hi:[1,0,1]
	s_nop 0
	v_mov_b32_e32 v13, v11
	v_pk_add_f32 v[12:13], v[8:9], v[12:13]
	ds_read_b128 v[8:11], v49 offset:1552
	s_waitcnt lgkmcnt(0)
	s_barrier
	v_mul_f32_e32 v26, v9, v5
	v_mul_f32_e32 v5, v8, v5
	v_fma_f32 v26, v8, v4, -v26
	v_fmac_f32_e32 v5, v9, v4
	v_mul_f32_e32 v4, v9, v7
	v_add_f32_e32 v27, v33, v5
	v_fma_f32 v4, v8, v6, -v4
	v_mul_f32_e32 v5, v8, v7
	v_fmac_f32_e32 v5, v9, v6
	v_add_f32_e32 v6, v24, v4
	v_mul_f32_e32 v4, v9, v1
	v_mul_f32_e32 v1, v8, v1
	v_fmac_f32_e32 v1, v9, v0
	v_fma_f32 v4, v8, v0, -v4
	v_add_f32_e32 v15, v15, v1
	v_pk_mul_f32 v[0:1], v[8:9], v[2:3] op_sel:[1,1] op_sel_hi:[0,1]
	v_add_f32_e32 v7, v25, v5
	v_add_f32_e32 v14, v14, v4
	v_pk_fma_f32 v[4:5], v[8:9], v[2:3], v[0:1] neg_lo:[0,0,1] neg_hi:[0,0,1]
	v_pk_fma_f32 v[0:1], v[8:9], v[2:3], v[0:1] op_sel_hi:[1,0,1]
	v_mul_f32_e32 v2, v11, v21
	v_mul_f32_e32 v3, v10, v21
	v_add_f32_e32 v26, v32, v26
	v_fma_f32 v2, v10, v20, -v2
	v_fmac_f32_e32 v3, v11, v20
	v_add_f32_e32 v46, v26, v2
	v_add_f32_e32 v48, v27, v3
	v_mul_f32_e32 v2, v11, v23
	v_mul_f32_e32 v3, v10, v23
	v_fma_f32 v2, v10, v22, -v2
	v_fmac_f32_e32 v3, v11, v22
	v_add_f32_e32 v42, v6, v2
	v_add_f32_e32 v44, v7, v3
	v_mul_f32_e32 v2, v11, v17
	v_mul_f32_e32 v3, v10, v17
	v_fma_f32 v2, v10, v16, -v2
	v_fmac_f32_e32 v3, v11, v16
	v_mov_b32_e32 v5, v1
	v_add_f32_e32 v40, v14, v2
	v_add_f32_e32 v41, v15, v3
	v_pk_mul_f32 v[2:3], v[10:11], v[18:19] op_sel:[1,1] op_sel_hi:[0,1]
	v_pk_add_f32 v[0:1], v[12:13], v[4:5]
	v_pk_fma_f32 v[4:5], v[10:11], v[18:19], v[2:3] neg_lo:[0,0,1] neg_hi:[0,0,1]
	v_pk_fma_f32 v[2:3], v[10:11], v[18:19], v[2:3] op_sel_hi:[1,0,1]
	s_nop 0
	v_mov_b32_e32 v5, v3
	v_pk_add_f32 v[58:59], v[0:1], v[4:5]
	s_cbranch_vccnz .LBB237_2
.LBB237_3:
	s_lshl_b64 s[8:9], s[38:39], 3
	s_waitcnt lgkmcnt(0)
	s_add_u32 s4, s4, s8
	s_addc_u32 s5, s5, s9
	s_or_b32 s8, s6, s7
	s_bitset0_b32 s8, 31
	v_lshl_add_u64 v[2:3], s[24:25], 0, v[38:39]
	s_cmp_lg_u32 s8, 0
	v_lshl_add_u64 v[0:1], s[2:3], 0, v[36:37]
	s_mov_b32 s2, s11
	s_mov_b32 s3, s10
	s_cbranch_scc1 .LBB237_5
; %bb.4:
	v_mul_lo_u32 v6, v3, s36
	v_mul_lo_u32 v7, v2, s37
	v_mad_u64_u32 v[4:5], s[8:9], v2, s36, 0
	v_add3_u32 v5, v5, v7, v6
	v_pk_mul_f32 v[6:7], v[104:105], s[2:3] op_sel_hi:[0,1]
	v_lshl_add_u64 v[4:5], v[4:5], 3, s[4:5]
	v_lshlrev_b64 v[8:9], 3, v[0:1]
	v_pk_fma_f32 v[12:13], v[102:103], s[2:3], v[6:7] op_sel:[0,1,0] op_sel_hi:[1,0,1] neg_lo:[0,0,1] neg_hi:[0,0,1]
	v_pk_fma_f32 v[6:7], v[102:103], s[2:3], v[6:7] op_sel:[0,1,0] op_sel_hi:[0,0,1]
	v_lshl_add_u64 v[10:11], v[4:5], 0, v[8:9]
	v_mov_b32_e32 v13, v7
	v_pk_mul_f32 v[6:7], v[100:101], s[2:3] op_sel_hi:[0,1]
	flat_store_dwordx2 v[10:11], v[12:13]
	v_pk_fma_f32 v[12:13], v[98:99], s[2:3], v[6:7] op_sel:[0,1,0] op_sel_hi:[1,0,1] neg_lo:[0,0,1] neg_hi:[0,0,1]
	v_pk_fma_f32 v[6:7], v[98:99], s[2:3], v[6:7] op_sel:[0,1,0] op_sel_hi:[0,0,1]
	v_mov_b32_e32 v13, v7
	v_pk_mul_f32 v[6:7], v[96:97], s[2:3] op_sel_hi:[0,1]
	flat_store_dwordx2 v[10:11], v[12:13] offset:128
	v_pk_fma_f32 v[12:13], v[94:95], s[2:3], v[6:7] op_sel:[0,1,0] op_sel_hi:[1,0,1] neg_lo:[0,0,1] neg_hi:[0,0,1]
	v_pk_fma_f32 v[6:7], v[94:95], s[2:3], v[6:7] op_sel:[0,1,0] op_sel_hi:[0,0,1]
	v_mov_b32_e32 v13, v7
	v_pk_mul_f32 v[6:7], v[92:93], s[2:3] op_sel_hi:[0,1]
	flat_store_dwordx2 v[10:11], v[12:13] offset:256
	v_pk_fma_f32 v[12:13], v[90:91], s[2:3], v[6:7] op_sel:[0,1,0] op_sel_hi:[1,0,1] neg_lo:[0,0,1] neg_hi:[0,0,1]
	v_pk_fma_f32 v[6:7], v[90:91], s[2:3], v[6:7] op_sel:[0,1,0] op_sel_hi:[0,0,1]
	v_mov_b32_e32 v13, v7
	s_lshl_b64 s[8:9], s[36:37], 7
	v_pk_mul_f32 v[6:7], v[88:89], s[2:3] op_sel_hi:[0,1]
	flat_store_dwordx2 v[10:11], v[12:13] offset:384
	v_lshl_add_u64 v[4:5], v[4:5], 0, s[8:9]
	v_pk_fma_f32 v[12:13], v[86:87], s[2:3], v[6:7] op_sel:[0,1,0] op_sel_hi:[1,0,1] neg_lo:[0,0,1] neg_hi:[0,0,1]
	v_pk_fma_f32 v[6:7], v[86:87], s[2:3], v[6:7] op_sel:[0,1,0] op_sel_hi:[0,0,1]
	v_lshl_add_u64 v[10:11], v[4:5], 0, v[8:9]
	v_mov_b32_e32 v13, v7
	v_pk_mul_f32 v[6:7], v[84:85], s[2:3] op_sel_hi:[0,1]
	flat_store_dwordx2 v[10:11], v[12:13]
	v_pk_fma_f32 v[12:13], v[82:83], s[2:3], v[6:7] op_sel:[0,1,0] op_sel_hi:[1,0,1] neg_lo:[0,0,1] neg_hi:[0,0,1]
	v_pk_fma_f32 v[6:7], v[82:83], s[2:3], v[6:7] op_sel:[0,1,0] op_sel_hi:[0,0,1]
	v_mov_b32_e32 v13, v7
	v_pk_mul_f32 v[6:7], v[80:81], s[2:3] op_sel_hi:[0,1]
	flat_store_dwordx2 v[10:11], v[12:13] offset:128
	v_pk_fma_f32 v[12:13], v[78:79], s[2:3], v[6:7] op_sel:[0,1,0] op_sel_hi:[1,0,1] neg_lo:[0,0,1] neg_hi:[0,0,1]
	v_pk_fma_f32 v[6:7], v[78:79], s[2:3], v[6:7] op_sel:[0,1,0] op_sel_hi:[0,0,1]
	v_mov_b32_e32 v13, v7
	v_pk_mul_f32 v[6:7], v[76:77], s[2:3] op_sel_hi:[0,1]
	flat_store_dwordx2 v[10:11], v[12:13] offset:256
	;; [unrolled: 5-line block ×3, first 2 shown]
	v_lshl_add_u64 v[4:5], v[4:5], 0, s[8:9]
	v_pk_fma_f32 v[12:13], v[70:71], s[2:3], v[6:7] op_sel:[0,1,0] op_sel_hi:[1,0,1] neg_lo:[0,0,1] neg_hi:[0,0,1]
	v_pk_fma_f32 v[6:7], v[70:71], s[2:3], v[6:7] op_sel:[0,1,0] op_sel_hi:[0,0,1]
	v_lshl_add_u64 v[10:11], v[4:5], 0, v[8:9]
	v_mov_b32_e32 v13, v7
	v_pk_mul_f32 v[6:7], v[68:69], s[2:3] op_sel_hi:[0,1]
	flat_store_dwordx2 v[10:11], v[12:13]
	v_pk_fma_f32 v[12:13], v[66:67], s[2:3], v[6:7] op_sel:[0,1,0] op_sel_hi:[1,0,1] neg_lo:[0,0,1] neg_hi:[0,0,1]
	v_pk_fma_f32 v[6:7], v[66:67], s[2:3], v[6:7] op_sel:[0,1,0] op_sel_hi:[0,0,1]
	v_mov_b32_e32 v13, v7
	v_pk_mul_f32 v[6:7], v[64:65], s[2:3] op_sel_hi:[0,1]
	flat_store_dwordx2 v[10:11], v[12:13] offset:128
	v_pk_fma_f32 v[12:13], v[62:63], s[2:3], v[6:7] op_sel:[0,1,0] op_sel_hi:[1,0,1] neg_lo:[0,0,1] neg_hi:[0,0,1]
	v_pk_fma_f32 v[6:7], v[62:63], s[2:3], v[6:7] op_sel:[0,1,0] op_sel_hi:[0,0,1]
	v_mov_b32_e32 v13, v7
	v_pk_mul_f32 v[6:7], v[60:61], s[2:3] op_sel_hi:[0,1]
	flat_store_dwordx2 v[10:11], v[12:13] offset:256
	v_pk_fma_f32 v[12:13], v[56:57], s[2:3], v[6:7] op_sel:[0,1,0] op_sel_hi:[1,0,1] neg_lo:[0,0,1] neg_hi:[0,0,1]
	v_pk_fma_f32 v[6:7], v[56:57], s[2:3], v[6:7] op_sel:[0,1,0] op_sel_hi:[0,0,1]
	v_mov_b32_e32 v13, v7
	v_lshl_add_u64 v[4:5], v[4:5], 0, s[8:9]
	v_pk_mul_f32 v[6:7], v[48:49], s[2:3] op_sel_hi:[0,1]
	v_lshl_add_u64 v[8:9], v[4:5], 0, v[8:9]
	v_pk_fma_f32 v[4:5], v[46:47], s[2:3], v[6:7] op_sel:[0,1,0] op_sel_hi:[1,0,1] neg_lo:[0,0,1] neg_hi:[0,0,1]
	v_pk_fma_f32 v[6:7], v[46:47], s[2:3], v[6:7] op_sel:[0,1,0] op_sel_hi:[0,0,1]
	v_mov_b32_e32 v5, v7
	flat_store_dwordx2 v[10:11], v[12:13] offset:384
	flat_store_dwordx2 v[8:9], v[4:5]
	v_pk_mul_f32 v[4:5], v[44:45], s[2:3] op_sel_hi:[0,1]
	v_pk_fma_f32 v[6:7], v[42:43], s[2:3], v[4:5] op_sel:[0,1,0] op_sel_hi:[1,0,1] neg_lo:[0,0,1] neg_hi:[0,0,1]
	v_pk_fma_f32 v[4:5], v[42:43], s[2:3], v[4:5] op_sel:[0,1,0] op_sel_hi:[0,0,1]
	v_mov_b32_e32 v4, v41
	v_mov_b32_e32 v7, v5
	v_pk_mul_f32 v[4:5], v[4:5], s[2:3] op_sel_hi:[0,1]
	flat_store_dwordx2 v[8:9], v[6:7] offset:128
	v_pk_fma_f32 v[6:7], v[40:41], s[2:3], v[4:5] op_sel:[0,1,0] op_sel_hi:[1,0,1] neg_lo:[0,0,1] neg_hi:[0,0,1]
	v_pk_fma_f32 v[4:5], v[40:41], s[2:3], v[4:5] op_sel:[0,1,0] op_sel_hi:[0,0,1]
	v_mov_b32_e32 v7, v5
	v_mul_f32_e32 v4, s3, v58
	flat_store_dwordx2 v[8:9], v[6:7] offset:256
	v_fma_f32 v7, -v59, s2, v4
	v_pk_mul_f32 v[4:5], v[58:59], s[2:3]
	s_mov_b64 s[8:9], 0x180
	v_add_f32_e32 v6, v4, v5
	v_lshl_add_u64 v[4:5], v[8:9], 0, s[8:9]
	flat_store_dword v[8:9], v7 offset:384
	s_cbranch_execz .LBB237_6
	s_branch .LBB237_7
.LBB237_5:
                                        ; implicit-def: $vgpr6
                                        ; implicit-def: $vgpr4_vgpr5
.LBB237_6:
	s_lshl_b64 s[8:9], s[28:29], 3
	s_add_u32 s0, s0, s8
	s_addc_u32 s1, s1, s9
	v_mul_lo_u32 v6, v3, s26
	v_mul_lo_u32 v7, v2, s27
	v_mad_u64_u32 v[4:5], s[8:9], v2, s26, 0
	v_add3_u32 v5, v5, v7, v6
	v_lshl_add_u64 v[4:5], v[4:5], 3, s[0:1]
	v_lshlrev_b64 v[0:1], 3, v[0:1]
	v_lshl_add_u64 v[6:7], v[4:5], 0, v[0:1]
	flat_load_dwordx2 v[8:9], v[6:7]
	v_mul_lo_u32 v12, v3, s36
	v_mul_lo_u32 v13, v2, s37
	v_mad_u64_u32 v[2:3], s[0:1], v2, s36, 0
	s_mov_b32 s0, s7
	v_pk_mul_f32 v[10:11], v[104:105], s[2:3] op_sel_hi:[0,1]
	v_add3_u32 v3, v3, v13, v12
	v_pk_fma_f32 v[12:13], v[102:103], s[2:3], v[10:11] op_sel:[0,1,0] op_sel_hi:[1,0,1] neg_lo:[0,0,1] neg_hi:[0,0,1]
	v_pk_fma_f32 v[10:11], v[102:103], s[2:3], v[10:11] op_sel:[0,1,0] op_sel_hi:[0,0,1]
	v_lshl_add_u64 v[2:3], v[2:3], 3, s[4:5]
	v_mov_b32_e32 v13, v11
	v_lshl_add_u64 v[10:11], v[2:3], 0, v[0:1]
	s_lshl_b64 s[4:5], s[26:27], 7
	v_lshl_add_u64 v[4:5], v[4:5], 0, s[4:5]
	s_lshl_b64 s[8:9], s[36:37], 7
	v_lshl_add_u64 v[2:3], v[2:3], 0, s[8:9]
	s_mov_b32 s11, s6
	s_waitcnt vmcnt(0) lgkmcnt(0)
	v_pk_mul_f32 v[14:15], v[8:9], s[0:1] op_sel_hi:[1,0]
	s_nop 0
	v_pk_fma_f32 v[16:17], v[8:9], s[6:7], v[14:15] op_sel:[0,0,1] op_sel_hi:[1,1,0] neg_lo:[0,0,1] neg_hi:[0,0,1]
	v_pk_fma_f32 v[8:9], v[8:9], s[6:7], v[14:15] op_sel:[0,0,1] op_sel_hi:[1,0,0]
	s_nop 0
	v_mov_b32_e32 v17, v9
	v_pk_add_f32 v[8:9], v[12:13], v[16:17]
	flat_store_dwordx2 v[10:11], v[8:9]
	flat_load_dwordx2 v[8:9], v[6:7] offset:128
	v_pk_mul_f32 v[12:13], v[100:101], s[2:3] op_sel_hi:[0,1]
	v_pk_fma_f32 v[14:15], v[98:99], s[2:3], v[12:13] op_sel:[0,1,0] op_sel_hi:[1,0,1] neg_lo:[0,0,1] neg_hi:[0,0,1]
	v_pk_fma_f32 v[12:13], v[98:99], s[2:3], v[12:13] op_sel:[0,1,0] op_sel_hi:[0,0,1]
	v_mov_b32_e32 v15, v13
	s_waitcnt vmcnt(0) lgkmcnt(0)
	v_pk_mul_f32 v[12:13], v[8:9], s[0:1] op_sel_hi:[1,0]
	s_nop 0
	v_pk_fma_f32 v[16:17], v[8:9], s[6:7], v[12:13] op_sel:[0,0,1] op_sel_hi:[1,1,0] neg_lo:[0,0,1] neg_hi:[0,0,1]
	v_pk_fma_f32 v[8:9], v[8:9], s[6:7], v[12:13] op_sel:[0,0,1] op_sel_hi:[1,0,0]
	v_pk_mul_f32 v[12:13], v[96:97], s[2:3] op_sel_hi:[0,1]
	v_mov_b32_e32 v17, v9
	v_pk_add_f32 v[8:9], v[14:15], v[16:17]
	flat_store_dwordx2 v[10:11], v[8:9] offset:128
	flat_load_dwordx2 v[8:9], v[6:7] offset:256
	v_pk_fma_f32 v[14:15], v[94:95], s[2:3], v[12:13] op_sel:[0,1,0] op_sel_hi:[1,0,1] neg_lo:[0,0,1] neg_hi:[0,0,1]
	v_pk_fma_f32 v[12:13], v[94:95], s[2:3], v[12:13] op_sel:[0,1,0] op_sel_hi:[0,0,1]
	v_mov_b32_e32 v15, v13
	s_waitcnt vmcnt(0) lgkmcnt(0)
	v_pk_mul_f32 v[12:13], v[8:9], s[0:1] op_sel_hi:[1,0]
	s_nop 0
	v_pk_fma_f32 v[16:17], v[8:9], s[6:7], v[12:13] op_sel:[0,0,1] op_sel_hi:[1,1,0] neg_lo:[0,0,1] neg_hi:[0,0,1]
	v_pk_fma_f32 v[8:9], v[8:9], s[6:7], v[12:13] op_sel:[0,0,1] op_sel_hi:[1,0,0]
	s_nop 0
	v_mov_b32_e32 v17, v9
	v_pk_add_f32 v[8:9], v[14:15], v[16:17]
	flat_store_dwordx2 v[10:11], v[8:9] offset:256
	flat_load_dwordx2 v[6:7], v[6:7] offset:384
	v_pk_mul_f32 v[8:9], v[92:93], s[2:3] op_sel_hi:[0,1]
	v_pk_fma_f32 v[12:13], v[90:91], s[2:3], v[8:9] op_sel:[0,1,0] op_sel_hi:[1,0,1] neg_lo:[0,0,1] neg_hi:[0,0,1]
	v_pk_fma_f32 v[8:9], v[90:91], s[2:3], v[8:9] op_sel:[0,1,0] op_sel_hi:[0,0,1]
	v_mov_b32_e32 v13, v9
	v_lshl_add_u64 v[8:9], v[4:5], 0, v[0:1]
	v_lshl_add_u64 v[4:5], v[4:5], 0, s[4:5]
	s_waitcnt vmcnt(0) lgkmcnt(0)
	v_pk_mul_f32 v[14:15], v[6:7], s[0:1] op_sel_hi:[1,0]
	s_nop 0
	v_pk_fma_f32 v[16:17], v[6:7], s[6:7], v[14:15] op_sel:[0,0,1] op_sel_hi:[1,1,0] neg_lo:[0,0,1] neg_hi:[0,0,1]
	v_pk_fma_f32 v[6:7], v[6:7], s[6:7], v[14:15] op_sel:[0,0,1] op_sel_hi:[1,0,0]
	s_nop 0
	v_mov_b32_e32 v17, v7
	v_pk_add_f32 v[6:7], v[12:13], v[16:17]
	flat_store_dwordx2 v[10:11], v[6:7] offset:384
	flat_load_dwordx2 v[6:7], v[8:9]
	v_pk_mul_f32 v[10:11], v[88:89], s[2:3] op_sel_hi:[0,1]
	v_pk_fma_f32 v[12:13], v[86:87], s[2:3], v[10:11] op_sel:[0,1,0] op_sel_hi:[1,0,1] neg_lo:[0,0,1] neg_hi:[0,0,1]
	v_pk_fma_f32 v[10:11], v[86:87], s[2:3], v[10:11] op_sel:[0,1,0] op_sel_hi:[0,0,1]
	v_mov_b32_e32 v13, v11
	v_lshl_add_u64 v[10:11], v[2:3], 0, v[0:1]
	v_lshl_add_u64 v[2:3], v[2:3], 0, s[8:9]
	s_waitcnt vmcnt(0) lgkmcnt(0)
	v_pk_mul_f32 v[14:15], v[6:7], s[0:1] op_sel_hi:[1,0]
	s_nop 0
	v_pk_fma_f32 v[16:17], v[6:7], s[6:7], v[14:15] op_sel:[0,0,1] op_sel_hi:[1,1,0] neg_lo:[0,0,1] neg_hi:[0,0,1]
	v_pk_fma_f32 v[6:7], v[6:7], s[6:7], v[14:15] op_sel:[0,0,1] op_sel_hi:[1,0,0]
	s_nop 0
	v_mov_b32_e32 v17, v7
	v_pk_add_f32 v[6:7], v[12:13], v[16:17]
	flat_store_dwordx2 v[10:11], v[6:7]
	flat_load_dwordx2 v[6:7], v[8:9] offset:128
	v_pk_mul_f32 v[12:13], v[84:85], s[2:3] op_sel_hi:[0,1]
	v_pk_fma_f32 v[14:15], v[82:83], s[2:3], v[12:13] op_sel:[0,1,0] op_sel_hi:[1,0,1] neg_lo:[0,0,1] neg_hi:[0,0,1]
	v_pk_fma_f32 v[12:13], v[82:83], s[2:3], v[12:13] op_sel:[0,1,0] op_sel_hi:[0,0,1]
	v_mov_b32_e32 v15, v13
	s_waitcnt vmcnt(0) lgkmcnt(0)
	v_pk_mul_f32 v[12:13], v[6:7], s[0:1] op_sel_hi:[1,0]
	s_nop 0
	v_pk_fma_f32 v[16:17], v[6:7], s[6:7], v[12:13] op_sel:[0,0,1] op_sel_hi:[1,1,0] neg_lo:[0,0,1] neg_hi:[0,0,1]
	v_pk_fma_f32 v[6:7], v[6:7], s[6:7], v[12:13] op_sel:[0,0,1] op_sel_hi:[1,0,0]
	v_pk_mul_f32 v[12:13], v[80:81], s[2:3] op_sel_hi:[0,1]
	v_mov_b32_e32 v17, v7
	v_pk_add_f32 v[6:7], v[14:15], v[16:17]
	flat_store_dwordx2 v[10:11], v[6:7] offset:128
	flat_load_dwordx2 v[6:7], v[8:9] offset:256
	v_pk_fma_f32 v[14:15], v[78:79], s[2:3], v[12:13] op_sel:[0,1,0] op_sel_hi:[1,0,1] neg_lo:[0,0,1] neg_hi:[0,0,1]
	v_pk_fma_f32 v[12:13], v[78:79], s[2:3], v[12:13] op_sel:[0,1,0] op_sel_hi:[0,0,1]
	v_mov_b32_e32 v15, v13
	s_waitcnt vmcnt(0) lgkmcnt(0)
	v_pk_mul_f32 v[12:13], v[6:7], s[0:1] op_sel_hi:[1,0]
	s_nop 0
	v_pk_fma_f32 v[16:17], v[6:7], s[6:7], v[12:13] op_sel:[0,0,1] op_sel_hi:[1,1,0] neg_lo:[0,0,1] neg_hi:[0,0,1]
	v_pk_fma_f32 v[6:7], v[6:7], s[6:7], v[12:13] op_sel:[0,0,1] op_sel_hi:[1,0,0]
	s_nop 0
	v_mov_b32_e32 v17, v7
	v_pk_add_f32 v[6:7], v[14:15], v[16:17]
	flat_store_dwordx2 v[10:11], v[6:7] offset:256
	flat_load_dwordx2 v[6:7], v[8:9] offset:384
	v_pk_mul_f32 v[8:9], v[76:77], s[2:3] op_sel_hi:[0,1]
	v_pk_fma_f32 v[12:13], v[74:75], s[2:3], v[8:9] op_sel:[0,1,0] op_sel_hi:[1,0,1] neg_lo:[0,0,1] neg_hi:[0,0,1]
	v_pk_fma_f32 v[8:9], v[74:75], s[2:3], v[8:9] op_sel:[0,1,0] op_sel_hi:[0,0,1]
	v_mov_b32_e32 v13, v9
	v_lshl_add_u64 v[8:9], v[4:5], 0, v[0:1]
	v_lshl_add_u64 v[4:5], v[4:5], 0, s[4:5]
	;; [unrolled: 1-line block ×3, first 2 shown]
	s_waitcnt vmcnt(0) lgkmcnt(0)
	v_pk_mul_f32 v[14:15], v[6:7], s[0:1] op_sel_hi:[1,0]
	s_nop 0
	v_pk_fma_f32 v[16:17], v[6:7], s[6:7], v[14:15] op_sel:[0,0,1] op_sel_hi:[1,1,0] neg_lo:[0,0,1] neg_hi:[0,0,1]
	v_pk_fma_f32 v[6:7], v[6:7], s[6:7], v[14:15] op_sel:[0,0,1] op_sel_hi:[1,0,0]
	s_nop 0
	v_mov_b32_e32 v17, v7
	v_pk_add_f32 v[6:7], v[12:13], v[16:17]
	flat_store_dwordx2 v[10:11], v[6:7] offset:384
	flat_load_dwordx2 v[6:7], v[8:9]
	v_pk_mul_f32 v[10:11], v[72:73], s[2:3] op_sel_hi:[0,1]
	v_pk_fma_f32 v[12:13], v[70:71], s[2:3], v[10:11] op_sel:[0,1,0] op_sel_hi:[1,0,1] neg_lo:[0,0,1] neg_hi:[0,0,1]
	v_pk_fma_f32 v[10:11], v[70:71], s[2:3], v[10:11] op_sel:[0,1,0] op_sel_hi:[0,0,1]
	v_mov_b32_e32 v13, v11
	v_lshl_add_u64 v[10:11], v[2:3], 0, v[0:1]
	v_lshl_add_u64 v[2:3], v[2:3], 0, s[8:9]
	;; [unrolled: 1-line block ×3, first 2 shown]
	s_waitcnt vmcnt(0) lgkmcnt(0)
	v_pk_mul_f32 v[14:15], v[6:7], s[0:1] op_sel_hi:[1,0]
	s_nop 0
	v_pk_fma_f32 v[16:17], v[6:7], s[6:7], v[14:15] op_sel:[0,0,1] op_sel_hi:[1,1,0] neg_lo:[0,0,1] neg_hi:[0,0,1]
	v_pk_fma_f32 v[6:7], v[6:7], s[6:7], v[14:15] op_sel:[0,0,1] op_sel_hi:[1,0,0]
	s_nop 0
	v_mov_b32_e32 v17, v7
	v_pk_add_f32 v[6:7], v[12:13], v[16:17]
	flat_store_dwordx2 v[10:11], v[6:7]
	flat_load_dwordx2 v[6:7], v[8:9] offset:128
	v_pk_mul_f32 v[12:13], v[68:69], s[2:3] op_sel_hi:[0,1]
	v_pk_fma_f32 v[14:15], v[66:67], s[2:3], v[12:13] op_sel:[0,1,0] op_sel_hi:[1,0,1] neg_lo:[0,0,1] neg_hi:[0,0,1]
	v_pk_fma_f32 v[12:13], v[66:67], s[2:3], v[12:13] op_sel:[0,1,0] op_sel_hi:[0,0,1]
	v_mov_b32_e32 v15, v13
	s_waitcnt vmcnt(0) lgkmcnt(0)
	v_pk_mul_f32 v[12:13], v[6:7], s[0:1] op_sel_hi:[1,0]
	s_nop 0
	v_pk_fma_f32 v[16:17], v[6:7], s[6:7], v[12:13] op_sel:[0,0,1] op_sel_hi:[1,1,0] neg_lo:[0,0,1] neg_hi:[0,0,1]
	v_pk_fma_f32 v[6:7], v[6:7], s[6:7], v[12:13] op_sel:[0,0,1] op_sel_hi:[1,0,0]
	v_pk_mul_f32 v[12:13], v[64:65], s[2:3] op_sel_hi:[0,1]
	v_mov_b32_e32 v17, v7
	v_pk_add_f32 v[6:7], v[14:15], v[16:17]
	flat_store_dwordx2 v[10:11], v[6:7] offset:128
	flat_load_dwordx2 v[6:7], v[8:9] offset:256
	v_pk_fma_f32 v[14:15], v[62:63], s[2:3], v[12:13] op_sel:[0,1,0] op_sel_hi:[1,0,1] neg_lo:[0,0,1] neg_hi:[0,0,1]
	v_pk_fma_f32 v[12:13], v[62:63], s[2:3], v[12:13] op_sel:[0,1,0] op_sel_hi:[0,0,1]
	v_mov_b32_e32 v15, v13
	s_waitcnt vmcnt(0) lgkmcnt(0)
	v_pk_mul_f32 v[12:13], v[6:7], s[0:1] op_sel_hi:[1,0]
	s_nop 0
	v_pk_fma_f32 v[16:17], v[6:7], s[6:7], v[12:13] op_sel:[0,0,1] op_sel_hi:[1,1,0] neg_lo:[0,0,1] neg_hi:[0,0,1]
	v_pk_fma_f32 v[6:7], v[6:7], s[6:7], v[12:13] op_sel:[0,0,1] op_sel_hi:[1,0,0]
	s_nop 0
	v_mov_b32_e32 v17, v7
	v_pk_add_f32 v[6:7], v[14:15], v[16:17]
	flat_store_dwordx2 v[10:11], v[6:7] offset:256
	flat_load_dwordx2 v[6:7], v[8:9] offset:384
	v_pk_mul_f32 v[8:9], v[60:61], s[2:3] op_sel_hi:[0,1]
	v_pk_fma_f32 v[12:13], v[56:57], s[2:3], v[8:9] op_sel:[0,1,0] op_sel_hi:[1,0,1] neg_lo:[0,0,1] neg_hi:[0,0,1]
	v_pk_fma_f32 v[8:9], v[56:57], s[2:3], v[8:9] op_sel:[0,1,0] op_sel_hi:[0,0,1]
	v_mov_b32_e32 v13, v9
	s_waitcnt vmcnt(0) lgkmcnt(0)
	v_pk_mul_f32 v[8:9], v[6:7], s[0:1] op_sel_hi:[1,0]
	s_nop 0
	v_pk_fma_f32 v[14:15], v[6:7], s[6:7], v[8:9] op_sel:[0,0,1] op_sel_hi:[1,1,0] neg_lo:[0,0,1] neg_hi:[0,0,1]
	v_pk_fma_f32 v[6:7], v[6:7], s[6:7], v[8:9] op_sel:[0,0,1] op_sel_hi:[1,0,0]
	v_pk_mul_f32 v[8:9], v[48:49], s[2:3] op_sel_hi:[0,1]
	v_mov_b32_e32 v15, v7
	v_pk_add_f32 v[6:7], v[12:13], v[14:15]
	flat_store_dwordx2 v[10:11], v[6:7] offset:384
	flat_load_dwordx2 v[6:7], v[4:5]
	v_pk_fma_f32 v[10:11], v[46:47], s[2:3], v[8:9] op_sel:[0,1,0] op_sel_hi:[1,0,1] neg_lo:[0,0,1] neg_hi:[0,0,1]
	v_pk_fma_f32 v[8:9], v[46:47], s[2:3], v[8:9] op_sel:[0,1,0] op_sel_hi:[0,0,1]
	v_mov_b32_e32 v11, v9
	s_waitcnt vmcnt(0) lgkmcnt(0)
	v_pk_mul_f32 v[2:3], v[6:7], s[0:1] op_sel_hi:[1,0]
	s_nop 0
	v_pk_fma_f32 v[8:9], v[6:7], s[6:7], v[2:3] op_sel:[0,0,1] op_sel_hi:[1,1,0] neg_lo:[0,0,1] neg_hi:[0,0,1]
	v_pk_fma_f32 v[2:3], v[6:7], s[6:7], v[2:3] op_sel:[0,0,1] op_sel_hi:[1,0,0]
	v_pk_mul_f32 v[6:7], v[44:45], s[2:3] op_sel_hi:[0,1]
	v_mov_b32_e32 v9, v3
	v_pk_add_f32 v[2:3], v[10:11], v[8:9]
	flat_store_dwordx2 v[0:1], v[2:3]
	flat_load_dwordx2 v[2:3], v[4:5] offset:128
	v_pk_fma_f32 v[8:9], v[42:43], s[2:3], v[6:7] op_sel:[0,1,0] op_sel_hi:[1,0,1] neg_lo:[0,0,1] neg_hi:[0,0,1]
	v_pk_fma_f32 v[6:7], v[42:43], s[2:3], v[6:7] op_sel:[0,1,0] op_sel_hi:[0,0,1]
	v_mov_b32_e32 v9, v7
	s_waitcnt vmcnt(0) lgkmcnt(0)
	v_pk_mul_f32 v[6:7], v[2:3], s[0:1] op_sel_hi:[1,0]
	s_nop 0
	v_pk_fma_f32 v[10:11], v[2:3], s[6:7], v[6:7] op_sel:[0,0,1] op_sel_hi:[1,1,0] neg_lo:[0,0,1] neg_hi:[0,0,1]
	v_pk_fma_f32 v[2:3], v[2:3], s[6:7], v[6:7] op_sel:[0,0,1] op_sel_hi:[1,0,0]
	v_mov_b32_e32 v6, v41
	v_mov_b32_e32 v11, v3
	v_pk_add_f32 v[2:3], v[8:9], v[10:11]
	flat_store_dwordx2 v[0:1], v[2:3] offset:128
	flat_load_dwordx2 v[2:3], v[4:5] offset:256
	v_pk_mul_f32 v[6:7], v[6:7], s[2:3] op_sel_hi:[0,1]
	v_pk_fma_f32 v[8:9], v[40:41], s[2:3], v[6:7] op_sel:[0,1,0] op_sel_hi:[1,0,1] neg_lo:[0,0,1] neg_hi:[0,0,1]
	v_pk_fma_f32 v[6:7], v[40:41], s[2:3], v[6:7] op_sel:[0,1,0] op_sel_hi:[0,0,1]
	v_mov_b32_e32 v9, v7
	s_waitcnt vmcnt(0) lgkmcnt(0)
	v_pk_mul_f32 v[6:7], v[2:3], s[0:1] op_sel_hi:[1,0]
	s_nop 0
	v_pk_fma_f32 v[10:11], v[2:3], s[6:7], v[6:7] op_sel:[0,0,1] op_sel_hi:[1,1,0] neg_lo:[0,0,1] neg_hi:[0,0,1]
	v_pk_fma_f32 v[2:3], v[2:3], s[6:7], v[6:7] op_sel:[0,0,1] op_sel_hi:[1,0,0]
	v_mov_b32_e32 v6, v58
	v_mov_b32_e32 v11, v3
	v_pk_add_f32 v[2:3], v[8:9], v[10:11]
	flat_store_dwordx2 v[0:1], v[2:3] offset:256
	flat_load_dwordx2 v[2:3], v[4:5] offset:384
	v_mul_f32_e32 v4, s3, v58
	s_mov_b32 s3, s7
	s_mov_b64 s[0:1], 0x180
	v_fma_f32 v8, -v59, s2, v4
	v_lshl_add_u64 v[4:5], v[0:1], 0, s[0:1]
	s_waitcnt vmcnt(0) lgkmcnt(0)
	v_mul_f32_e32 v9, s7, v3
	v_mov_b32_e32 v7, v2
	v_fma_f32 v9, v2, s6, -v9
	v_mov_b32_e32 v2, v59
	v_pk_mul_f32 v[2:3], v[2:3], s[10:11]
	v_add_f32_e32 v8, v8, v9
	v_pk_fma_f32 v[2:3], v[6:7], s[2:3], v[2:3]
	flat_store_dword v[0:1], v8 offset:384
	v_add_f32_e32 v6, v2, v3
.LBB237_7:
	flat_store_dword v[4:5], v6 offset:4
	s_endpgm
	.section	.rodata,"a",@progbits
	.p2align	6, 0x0
	.amdhsa_kernel _ZN12_GLOBAL__N_127rocblas_gemm_batched_kernelI19rocblas_complex_numIfELi16ELi16ELi64ELi64ELi4ELi64ELi4ELi4ELi64ELc84ELc84EKPKS2_S5_KPS2_EEvlllT_PT11_llSA_llS8_PT12_llPT13_lli
		.amdhsa_group_segment_fixed_size 4096
		.amdhsa_private_segment_fixed_size 0
		.amdhsa_kernarg_size 140
		.amdhsa_user_sgpr_count 2
		.amdhsa_user_sgpr_dispatch_ptr 0
		.amdhsa_user_sgpr_queue_ptr 0
		.amdhsa_user_sgpr_kernarg_segment_ptr 1
		.amdhsa_user_sgpr_dispatch_id 0
		.amdhsa_user_sgpr_kernarg_preload_length 0
		.amdhsa_user_sgpr_kernarg_preload_offset 0
		.amdhsa_user_sgpr_private_segment_size 0
		.amdhsa_uses_dynamic_stack 0
		.amdhsa_enable_private_segment 0
		.amdhsa_system_sgpr_workgroup_id_x 1
		.amdhsa_system_sgpr_workgroup_id_y 1
		.amdhsa_system_sgpr_workgroup_id_z 1
		.amdhsa_system_sgpr_workgroup_info 0
		.amdhsa_system_vgpr_workitem_id 1
		.amdhsa_next_free_vgpr 108
		.amdhsa_next_free_sgpr 42
		.amdhsa_accum_offset 108
		.amdhsa_reserve_vcc 1
		.amdhsa_float_round_mode_32 0
		.amdhsa_float_round_mode_16_64 0
		.amdhsa_float_denorm_mode_32 3
		.amdhsa_float_denorm_mode_16_64 3
		.amdhsa_dx10_clamp 1
		.amdhsa_ieee_mode 1
		.amdhsa_fp16_overflow 0
		.amdhsa_tg_split 0
		.amdhsa_exception_fp_ieee_invalid_op 0
		.amdhsa_exception_fp_denorm_src 0
		.amdhsa_exception_fp_ieee_div_zero 0
		.amdhsa_exception_fp_ieee_overflow 0
		.amdhsa_exception_fp_ieee_underflow 0
		.amdhsa_exception_fp_ieee_inexact 0
		.amdhsa_exception_int_div_zero 0
	.end_amdhsa_kernel
	.section	.text._ZN12_GLOBAL__N_127rocblas_gemm_batched_kernelI19rocblas_complex_numIfELi16ELi16ELi64ELi64ELi4ELi64ELi4ELi4ELi64ELc84ELc84EKPKS2_S5_KPS2_EEvlllT_PT11_llSA_llS8_PT12_llPT13_lli,"axG",@progbits,_ZN12_GLOBAL__N_127rocblas_gemm_batched_kernelI19rocblas_complex_numIfELi16ELi16ELi64ELi64ELi4ELi64ELi4ELi4ELi64ELc84ELc84EKPKS2_S5_KPS2_EEvlllT_PT11_llSA_llS8_PT12_llPT13_lli,comdat
.Lfunc_end237:
	.size	_ZN12_GLOBAL__N_127rocblas_gemm_batched_kernelI19rocblas_complex_numIfELi16ELi16ELi64ELi64ELi4ELi64ELi4ELi4ELi64ELc84ELc84EKPKS2_S5_KPS2_EEvlllT_PT11_llSA_llS8_PT12_llPT13_lli, .Lfunc_end237-_ZN12_GLOBAL__N_127rocblas_gemm_batched_kernelI19rocblas_complex_numIfELi16ELi16ELi64ELi64ELi4ELi64ELi4ELi4ELi64ELc84ELc84EKPKS2_S5_KPS2_EEvlllT_PT11_llSA_llS8_PT12_llPT13_lli
                                        ; -- End function
	.set _ZN12_GLOBAL__N_127rocblas_gemm_batched_kernelI19rocblas_complex_numIfELi16ELi16ELi64ELi64ELi4ELi64ELi4ELi4ELi64ELc84ELc84EKPKS2_S5_KPS2_EEvlllT_PT11_llSA_llS8_PT12_llPT13_lli.num_vgpr, 108
	.set _ZN12_GLOBAL__N_127rocblas_gemm_batched_kernelI19rocblas_complex_numIfELi16ELi16ELi64ELi64ELi4ELi64ELi4ELi4ELi64ELc84ELc84EKPKS2_S5_KPS2_EEvlllT_PT11_llSA_llS8_PT12_llPT13_lli.num_agpr, 0
	.set _ZN12_GLOBAL__N_127rocblas_gemm_batched_kernelI19rocblas_complex_numIfELi16ELi16ELi64ELi64ELi4ELi64ELi4ELi4ELi64ELc84ELc84EKPKS2_S5_KPS2_EEvlllT_PT11_llSA_llS8_PT12_llPT13_lli.numbered_sgpr, 42
	.set _ZN12_GLOBAL__N_127rocblas_gemm_batched_kernelI19rocblas_complex_numIfELi16ELi16ELi64ELi64ELi4ELi64ELi4ELi4ELi64ELc84ELc84EKPKS2_S5_KPS2_EEvlllT_PT11_llSA_llS8_PT12_llPT13_lli.num_named_barrier, 0
	.set _ZN12_GLOBAL__N_127rocblas_gemm_batched_kernelI19rocblas_complex_numIfELi16ELi16ELi64ELi64ELi4ELi64ELi4ELi4ELi64ELc84ELc84EKPKS2_S5_KPS2_EEvlllT_PT11_llSA_llS8_PT12_llPT13_lli.private_seg_size, 0
	.set _ZN12_GLOBAL__N_127rocblas_gemm_batched_kernelI19rocblas_complex_numIfELi16ELi16ELi64ELi64ELi4ELi64ELi4ELi4ELi64ELc84ELc84EKPKS2_S5_KPS2_EEvlllT_PT11_llSA_llS8_PT12_llPT13_lli.uses_vcc, 1
	.set _ZN12_GLOBAL__N_127rocblas_gemm_batched_kernelI19rocblas_complex_numIfELi16ELi16ELi64ELi64ELi4ELi64ELi4ELi4ELi64ELc84ELc84EKPKS2_S5_KPS2_EEvlllT_PT11_llSA_llS8_PT12_llPT13_lli.uses_flat_scratch, 0
	.set _ZN12_GLOBAL__N_127rocblas_gemm_batched_kernelI19rocblas_complex_numIfELi16ELi16ELi64ELi64ELi4ELi64ELi4ELi4ELi64ELc84ELc84EKPKS2_S5_KPS2_EEvlllT_PT11_llSA_llS8_PT12_llPT13_lli.has_dyn_sized_stack, 0
	.set _ZN12_GLOBAL__N_127rocblas_gemm_batched_kernelI19rocblas_complex_numIfELi16ELi16ELi64ELi64ELi4ELi64ELi4ELi4ELi64ELc84ELc84EKPKS2_S5_KPS2_EEvlllT_PT11_llSA_llS8_PT12_llPT13_lli.has_recursion, 0
	.set _ZN12_GLOBAL__N_127rocblas_gemm_batched_kernelI19rocblas_complex_numIfELi16ELi16ELi64ELi64ELi4ELi64ELi4ELi4ELi64ELc84ELc84EKPKS2_S5_KPS2_EEvlllT_PT11_llSA_llS8_PT12_llPT13_lli.has_indirect_call, 0
	.section	.AMDGPU.csdata,"",@progbits
; Kernel info:
; codeLenInByte = 5204
; TotalNumSgprs: 48
; NumVgprs: 108
; NumAgprs: 0
; TotalNumVgprs: 108
; ScratchSize: 0
; MemoryBound: 0
; FloatMode: 240
; IeeeMode: 1
; LDSByteSize: 4096 bytes/workgroup (compile time only)
; SGPRBlocks: 5
; VGPRBlocks: 13
; NumSGPRsForWavesPerEU: 48
; NumVGPRsForWavesPerEU: 108
; AccumOffset: 108
; Occupancy: 4
; WaveLimiterHint : 1
; COMPUTE_PGM_RSRC2:SCRATCH_EN: 0
; COMPUTE_PGM_RSRC2:USER_SGPR: 2
; COMPUTE_PGM_RSRC2:TRAP_HANDLER: 0
; COMPUTE_PGM_RSRC2:TGID_X_EN: 1
; COMPUTE_PGM_RSRC2:TGID_Y_EN: 1
; COMPUTE_PGM_RSRC2:TGID_Z_EN: 1
; COMPUTE_PGM_RSRC2:TIDIG_COMP_CNT: 1
; COMPUTE_PGM_RSRC3_GFX90A:ACCUM_OFFSET: 26
; COMPUTE_PGM_RSRC3_GFX90A:TG_SPLIT: 0
	.section	.text._ZN12_GLOBAL__N_127rocblas_gemm_batched_kernelI19rocblas_complex_numIfELi16ELi16ELi64ELi64ELi4ELi64ELi4ELi4ELi64ELc67ELc67EKPKS2_S5_KPS2_EEvlllT_PT11_llSA_llS8_PT12_llPT13_lli,"axG",@progbits,_ZN12_GLOBAL__N_127rocblas_gemm_batched_kernelI19rocblas_complex_numIfELi16ELi16ELi64ELi64ELi4ELi64ELi4ELi4ELi64ELc67ELc67EKPKS2_S5_KPS2_EEvlllT_PT11_llSA_llS8_PT12_llPT13_lli,comdat
	.globl	_ZN12_GLOBAL__N_127rocblas_gemm_batched_kernelI19rocblas_complex_numIfELi16ELi16ELi64ELi64ELi4ELi64ELi4ELi4ELi64ELc67ELc67EKPKS2_S5_KPS2_EEvlllT_PT11_llSA_llS8_PT12_llPT13_lli ; -- Begin function _ZN12_GLOBAL__N_127rocblas_gemm_batched_kernelI19rocblas_complex_numIfELi16ELi16ELi64ELi64ELi4ELi64ELi4ELi4ELi64ELc67ELc67EKPKS2_S5_KPS2_EEvlllT_PT11_llSA_llS8_PT12_llPT13_lli
	.p2align	8
	.type	_ZN12_GLOBAL__N_127rocblas_gemm_batched_kernelI19rocblas_complex_numIfELi16ELi16ELi64ELi64ELi4ELi64ELi4ELi4ELi64ELc67ELc67EKPKS2_S5_KPS2_EEvlllT_PT11_llSA_llS8_PT12_llPT13_lli,@function
_ZN12_GLOBAL__N_127rocblas_gemm_batched_kernelI19rocblas_complex_numIfELi16ELi16ELi64ELi64ELi4ELi64ELi4ELi4ELi64ELc67ELc67EKPKS2_S5_KPS2_EEvlllT_PT11_llSA_llS8_PT12_llPT13_lli: ; @_ZN12_GLOBAL__N_127rocblas_gemm_batched_kernelI19rocblas_complex_numIfELi16ELi16ELi64ELi64ELi4ELi64ELi4ELi4ELi64ELc67ELc67EKPKS2_S5_KPS2_EEvlllT_PT11_llSA_llS8_PT12_llPT13_lli
; %bb.0:
	s_load_dwordx16 s[8:23], s[0:1], 0x10
	s_load_dwordx4 s[36:39], s[0:1], 0x78
	s_load_dwordx8 s[24:31], s[0:1], 0x58
	s_load_dwordx2 s[6:7], s[0:1], 0x50
	s_mov_b32 s5, 0
	s_lshl_b64 s[34:35], s[4:5], 3
	s_mov_b32 s40, s3
	s_waitcnt lgkmcnt(0)
	s_add_u32 s0, s24, s34
	s_addc_u32 s1, s25, s35
	s_add_u32 s4, s30, s34
	s_addc_u32 s5, s31, s35
	s_load_dwordx2 s[0:1], s[0:1], 0x0
	v_mov_b32_e32 v39, 0
	s_load_dwordx2 s[4:5], s[4:5], 0x0
	s_ashr_i32 s3, s2, 31
	s_ashr_i32 s41, s40, 31
	v_cmp_lt_i64_e64 s[30:31], s[8:9], 1
	v_bfe_u32 v38, v0, 10, 10
	v_and_b32_e32 v36, 0x3ff, v0
	v_mov_b32_e32 v37, v39
	s_lshl_b64 s[2:3], s[2:3], 6
	s_lshl_b64 s[24:25], s[40:41], 6
	s_and_b64 vcc, exec, s[30:31]
	v_mov_b32_e32 v59, v39
	v_mov_b32_e32 v58, v39
	;; [unrolled: 1-line block ×32, first 2 shown]
	s_cbranch_vccnz .LBB238_3
; %bb.1:
	v_lshl_add_u32 v4, v38, 4, v36
	v_lshrrev_b32_e32 v40, 2, v4
	v_mov_b32_e32 v41, 0
	v_lshl_add_u64 v[0:1], v[40:41], 0, s[24:25]
	v_and_b32_e32 v5, 3, v36
	v_mad_u64_u32 v[0:1], s[30:31], s20, v5, v[0:1]
	s_add_u32 s12, s12, s34
	v_mov_b32_e32 v2, v1
	s_addc_u32 s13, s13, s35
	v_mad_u64_u32 v[2:3], s[30:31], s21, v5, v[2:3]
	v_lshlrev_b32_e32 v5, 3, v5
	s_add_u32 s18, s18, s34
	v_mov_b32_e32 v1, v2
	v_and_b32_e32 v2, 63, v4
	v_mov_b32_e32 v3, v41
	v_lshl_or_b32 v5, v40, 5, v5
	s_load_dwordx2 s[12:13], s[12:13], 0x0
	s_addc_u32 s19, s19, s35
	v_lshrrev_b32_e32 v4, 6, v4
	v_lshlrev_b32_e32 v6, 3, v2
	v_add_u32_e32 v45, 0x800, v5
	v_mov_b32_e32 v5, 0x800
	v_lshl_add_u64 v[2:3], s[2:3], 0, v[2:3]
	s_load_dwordx2 s[18:19], s[18:19], 0x0
	v_lshl_or_b32 v43, v4, 9, v6
	v_lshl_add_u32 v49, v38, 5, v5
	v_mul_lo_u32 v5, s15, v2
	v_mul_lo_u32 v6, s14, v3
	v_mad_u64_u32 v[2:3], s[14:15], s14, v2, 0
	v_add3_u32 v3, v3, v6, v5
	s_lshl_b64 s[14:15], s[16:17], 3
	v_lshl_add_u64 v[2:3], v[2:3], 3, s[14:15]
	v_lshlrev_b32_e32 v40, 3, v4
	v_lshl_add_u64 v[2:3], v[2:3], 0, v[40:41]
	s_waitcnt lgkmcnt(0)
	v_lshl_add_u64 v[50:51], s[12:13], 0, v[2:3]
	s_lshl_b64 s[12:13], s[22:23], 3
	s_add_u32 s12, s18, s12
	s_addc_u32 s13, s19, s13
	v_lshlrev_b32_e32 v47, 3, v36
	v_lshl_add_u64 v[52:53], v[0:1], 3, s[12:13]
	s_lshl_b64 s[12:13], s[20:21], 5
	s_mov_b64 s[14:15], 0
	v_mov_b64_e32 v[54:55], s[8:9]
	v_mov_b32_e32 v40, v41
	v_mov_b32_e32 v44, v41
	;; [unrolled: 1-line block ×31, first 2 shown]
.LBB238_2:                              ; =>This Inner Loop Header: Depth=1
	flat_load_dwordx2 v[0:1], v[50:51]
	s_add_u32 s14, s14, 4
	s_addc_u32 s15, s15, 0
	v_cmp_lt_i64_e32 vcc, s[14:15], v[54:55]
	v_lshl_add_u64 v[50:51], v[50:51], 0, 32
	s_and_b64 vcc, exec, vcc
	s_waitcnt vmcnt(0) lgkmcnt(0)
	v_xor_b32_e32 v1, 0x80000000, v1
	ds_write_b64 v43, v[0:1]
	flat_load_dwordx2 v[0:1], v[52:53]
	v_lshl_add_u64 v[52:53], v[52:53], 0, s[12:13]
	s_waitcnt vmcnt(0) lgkmcnt(0)
	v_xor_b32_e32 v1, 0x80000000, v1
	ds_write_b64 v45, v[0:1]
	s_waitcnt lgkmcnt(0)
	s_barrier
	ds_read_b128 v[0:3], v49
	ds_read_b128 v[32:35], v49 offset:16
	ds_read2_b64 v[8:11], v47 offset1:16
	ds_read2_b64 v[12:15], v47 offset0:32 offset1:48
	s_waitcnt lgkmcnt(1)
	v_mul_f32_e32 v4, v1, v9
	v_fma_f32 v4, v0, v8, -v4
	v_mul_f32_e32 v5, v0, v9
	v_add_f32_e32 v20, v102, v4
	v_mul_f32_e32 v4, v1, v11
	v_fmac_f32_e32 v5, v1, v8
	v_fma_f32 v4, v0, v10, -v4
	v_add_f32_e32 v21, v104, v5
	v_mul_f32_e32 v5, v0, v11
	v_add_f32_e32 v22, v98, v4
	s_waitcnt lgkmcnt(0)
	v_mul_f32_e32 v4, v1, v13
	v_fmac_f32_e32 v5, v1, v10
	v_fma_f32 v4, v0, v12, -v4
	v_add_f32_e32 v23, v100, v5
	v_mul_f32_e32 v5, v0, v13
	v_add_f32_e32 v57, v94, v4
	v_mul_f32_e32 v4, v1, v15
	v_fmac_f32_e32 v5, v1, v12
	v_fma_f32 v4, v0, v14, -v4
	v_mul_f32_e32 v0, v0, v15
	v_add_f32_e32 v61, v96, v5
	v_fmac_f32_e32 v0, v1, v14
	v_add_f32_e32 v1, v90, v4
	ds_read_b128 v[4:7], v49 offset:512
	ds_read_b128 v[104:107], v49 offset:1040
	v_add_f32_e32 v0, v92, v0
	s_waitcnt lgkmcnt(1)
	v_mul_f32_e32 v16, v5, v9
	v_fma_f32 v16, v4, v8, -v16
	v_mul_f32_e32 v17, v4, v9
	v_add_f32_e32 v63, v86, v16
	v_mul_f32_e32 v16, v5, v11
	v_fmac_f32_e32 v17, v5, v8
	v_fma_f32 v16, v4, v10, -v16
	v_add_f32_e32 v65, v88, v17
	v_mul_f32_e32 v17, v4, v11
	v_add_f32_e32 v67, v82, v16
	v_mul_f32_e32 v16, v5, v13
	v_fmac_f32_e32 v17, v5, v10
	v_fma_f32 v16, v4, v12, -v16
	v_add_f32_e32 v69, v84, v17
	v_mul_f32_e32 v17, v4, v13
	v_add_f32_e32 v71, v78, v16
	v_mul_f32_e32 v16, v5, v15
	v_fmac_f32_e32 v17, v5, v12
	v_fma_f32 v16, v4, v14, -v16
	v_mul_f32_e32 v4, v4, v15
	v_add_f32_e32 v73, v80, v17
	v_fmac_f32_e32 v4, v5, v14
	v_add_f32_e32 v5, v74, v16
	ds_read_b128 v[16:19], v49 offset:1024
	v_add_f32_e32 v4, v76, v4
	s_waitcnt lgkmcnt(0)
	v_mul_f32_e32 v24, v17, v9
	v_fma_f32 v24, v16, v8, -v24
	v_mul_f32_e32 v25, v16, v9
	v_add_f32_e32 v70, v70, v24
	v_mul_f32_e32 v24, v17, v11
	v_fmac_f32_e32 v25, v17, v8
	v_fma_f32 v24, v16, v10, -v24
	v_add_f32_e32 v72, v72, v25
	v_mul_f32_e32 v25, v16, v11
	v_add_f32_e32 v66, v66, v24
	v_mul_f32_e32 v24, v17, v13
	v_fmac_f32_e32 v25, v17, v10
	v_fma_f32 v24, v16, v12, -v24
	v_add_f32_e32 v68, v68, v25
	v_mul_f32_e32 v25, v16, v13
	v_add_f32_e32 v62, v62, v24
	v_mul_f32_e32 v24, v17, v15
	v_fmac_f32_e32 v25, v17, v12
	v_fma_f32 v24, v16, v14, -v24
	v_mul_f32_e32 v16, v16, v15
	v_add_f32_e32 v64, v64, v25
	v_fmac_f32_e32 v16, v17, v14
	v_add_f32_e32 v17, v56, v24
	ds_read2_b64 v[24:27], v47 offset0:64 offset1:80
	v_add_f32_e32 v16, v60, v16
	s_waitcnt lgkmcnt(0)
	v_mul_f32_e32 v28, v3, v25
	v_mul_f32_e32 v29, v2, v25
	v_fma_f32 v28, v2, v24, -v28
	v_fmac_f32_e32 v29, v3, v24
	v_add_f32_e32 v20, v20, v28
	v_add_f32_e32 v21, v21, v29
	v_mul_f32_e32 v28, v3, v27
	v_mul_f32_e32 v29, v2, v27
	v_fma_f32 v28, v2, v26, -v28
	v_fmac_f32_e32 v29, v3, v26
	v_add_f32_e32 v22, v22, v28
	v_add_f32_e32 v23, v23, v29
	ds_read2_b64 v[28:31], v47 offset0:96 offset1:112
	s_waitcnt lgkmcnt(0)
	v_mul_f32_e32 v56, v3, v29
	v_mul_f32_e32 v60, v2, v29
	v_fma_f32 v56, v2, v28, -v56
	v_fmac_f32_e32 v60, v3, v28
	v_add_f32_e32 v56, v57, v56
	v_add_f32_e32 v57, v61, v60
	v_mul_f32_e32 v60, v3, v31
	v_fma_f32 v60, v2, v30, -v60
	v_mul_f32_e32 v2, v2, v31
	v_fmac_f32_e32 v2, v3, v30
	v_add_f32_e32 v60, v1, v60
	v_add_f32_e32 v61, v0, v2
	v_mul_f32_e32 v0, v7, v25
	v_mul_f32_e32 v1, v6, v25
	v_fma_f32 v0, v6, v24, -v0
	v_fmac_f32_e32 v1, v7, v24
	v_add_f32_e32 v74, v63, v0
	v_add_f32_e32 v65, v65, v1
	v_mul_f32_e32 v0, v7, v27
	v_mul_f32_e32 v1, v6, v27
	v_fma_f32 v0, v6, v26, -v0
	;; [unrolled: 6-line block ×6, first 2 shown]
	v_fmac_f32_e32 v1, v19, v26
	ds_read2_b64 v[4:7], v47 offset0:128 offset1:144
	v_add_f32_e32 v66, v66, v0
	v_add_f32_e32 v68, v68, v1
	v_mul_f32_e32 v0, v19, v29
	v_mul_f32_e32 v1, v18, v29
	v_fma_f32 v0, v18, v28, -v0
	v_fmac_f32_e32 v1, v19, v28
	v_add_f32_e32 v77, v62, v0
	v_add_f32_e32 v64, v64, v1
	v_mul_f32_e32 v0, v19, v31
	v_mul_f32_e32 v1, v18, v31
	v_fma_f32 v0, v18, v30, -v0
	v_fmac_f32_e32 v1, v19, v30
	v_add_f32_e32 v17, v17, v0
	v_add_f32_e32 v16, v16, v1
	s_waitcnt lgkmcnt(0)
	v_mul_f32_e32 v0, v33, v5
	v_mul_f32_e32 v1, v32, v5
	v_fma_f32 v0, v32, v4, -v0
	v_fmac_f32_e32 v1, v33, v4
	v_add_f32_e32 v18, v20, v0
	v_add_f32_e32 v19, v21, v1
	v_mul_f32_e32 v0, v33, v7
	v_mul_f32_e32 v1, v32, v7
	v_fma_f32 v0, v32, v6, -v0
	v_fmac_f32_e32 v1, v33, v6
	v_add_f32_e32 v78, v22, v0
	v_add_f32_e32 v79, v23, v1
	ds_read2_b64 v[0:3], v47 offset0:160 offset1:176
	s_waitcnt lgkmcnt(0)
	v_mul_f32_e32 v20, v33, v1
	v_mul_f32_e32 v21, v32, v1
	v_fma_f32 v20, v32, v0, -v20
	v_fmac_f32_e32 v21, v33, v0
	v_add_f32_e32 v56, v56, v20
	v_add_f32_e32 v57, v57, v21
	v_mul_f32_e32 v20, v33, v3
	v_mul_f32_e32 v21, v32, v3
	v_fma_f32 v20, v32, v2, -v20
	v_fmac_f32_e32 v21, v33, v2
	v_add_f32_e32 v32, v60, v20
	v_add_f32_e32 v33, v61, v21
	ds_read_b128 v[60:63], v49 offset:528
	s_waitcnt lgkmcnt(0)
	v_mul_f32_e32 v20, v61, v5
	v_mul_f32_e32 v21, v60, v5
	v_fma_f32 v20, v60, v4, -v20
	v_fmac_f32_e32 v21, v61, v4
	v_add_f32_e32 v74, v74, v20
	v_add_f32_e32 v65, v65, v21
	v_mul_f32_e32 v20, v61, v7
	v_mul_f32_e32 v21, v60, v7
	v_fma_f32 v20, v60, v6, -v20
	v_fmac_f32_e32 v21, v61, v6
	v_add_f32_e32 v67, v67, v20
	v_add_f32_e32 v69, v69, v21
	v_mul_f32_e32 v20, v61, v1
	v_mul_f32_e32 v21, v60, v1
	v_fma_f32 v20, v60, v0, -v20
	v_fmac_f32_e32 v21, v61, v0
	v_add_f32_e32 v71, v71, v20
	v_add_f32_e32 v73, v73, v21
	v_mul_f32_e32 v20, v61, v3
	v_mul_f32_e32 v21, v60, v3
	v_fma_f32 v20, v60, v2, -v20
	v_fmac_f32_e32 v21, v61, v2
	v_add_f32_e32 v60, v75, v20
	v_add_f32_e32 v61, v76, v21
	v_mul_f32_e32 v20, v105, v5
	v_mul_f32_e32 v21, v104, v5
	v_fma_f32 v20, v104, v4, -v20
	v_fmac_f32_e32 v21, v105, v4
	v_add_f32_e32 v70, v70, v20
	v_add_f32_e32 v72, v72, v21
	v_mul_f32_e32 v20, v105, v7
	v_mul_f32_e32 v21, v104, v7
	v_fma_f32 v20, v104, v6, -v20
	v_fmac_f32_e32 v21, v105, v6
	v_add_f32_e32 v66, v66, v20
	v_add_f32_e32 v68, v68, v21
	v_mul_f32_e32 v20, v105, v1
	v_mul_f32_e32 v21, v104, v1
	v_fma_f32 v20, v104, v0, -v20
	v_fmac_f32_e32 v21, v105, v0
	v_add_f32_e32 v75, v77, v20
	v_add_f32_e32 v64, v64, v21
	v_mul_f32_e32 v20, v105, v3
	v_mul_f32_e32 v21, v104, v3
	v_fma_f32 v20, v104, v2, -v20
	v_fmac_f32_e32 v21, v105, v2
	v_add_f32_e32 v77, v17, v20
	v_add_f32_e32 v81, v16, v21
	ds_read2_b64 v[20:23], v47 offset0:192 offset1:208
	s_waitcnt lgkmcnt(0)
	v_mul_f32_e32 v16, v35, v21
	v_mul_f32_e32 v17, v34, v21
	v_fma_f32 v16, v34, v20, -v16
	v_fmac_f32_e32 v17, v35, v20
	v_add_f32_e32 v102, v18, v16
	v_add_f32_e32 v104, v19, v17
	v_mul_f32_e32 v16, v35, v23
	v_mul_f32_e32 v17, v34, v23
	v_fma_f32 v16, v34, v22, -v16
	v_fmac_f32_e32 v17, v35, v22
	v_add_f32_e32 v98, v78, v16
	v_add_f32_e32 v100, v79, v17
	ds_read2_b64 v[16:19], v47 offset0:224 offset1:240
	s_waitcnt lgkmcnt(0)
	v_mul_f32_e32 v76, v35, v17
	v_fma_f32 v76, v34, v16, -v76
	v_add_f32_e32 v94, v56, v76
	v_mul_f32_e32 v56, v35, v19
	v_mul_f32_e32 v78, v34, v17
	v_fma_f32 v56, v34, v18, -v56
	v_mul_f32_e32 v34, v34, v19
	v_fmac_f32_e32 v34, v35, v18
	v_add_f32_e32 v90, v32, v56
	v_add_f32_e32 v92, v33, v34
	v_mul_f32_e32 v32, v63, v21
	v_mul_f32_e32 v33, v62, v21
	v_fma_f32 v32, v62, v20, -v32
	v_fmac_f32_e32 v33, v63, v20
	v_add_f32_e32 v86, v74, v32
	v_add_f32_e32 v88, v65, v33
	v_mul_f32_e32 v32, v63, v23
	v_mul_f32_e32 v33, v62, v23
	v_fma_f32 v32, v62, v22, -v32
	v_fmac_f32_e32 v33, v63, v22
	v_add_f32_e32 v82, v67, v32
	v_add_f32_e32 v84, v69, v33
	v_mul_f32_e32 v32, v63, v17
	v_mul_f32_e32 v33, v62, v17
	v_fmac_f32_e32 v78, v35, v16
	v_fma_f32 v32, v62, v16, -v32
	v_fmac_f32_e32 v33, v63, v16
	v_add_f32_e32 v96, v57, v78
	v_add_f32_e32 v78, v71, v32
	;; [unrolled: 1-line block ×3, first 2 shown]
	v_mul_f32_e32 v32, v63, v19
	v_mul_f32_e32 v33, v62, v19
	v_fma_f32 v32, v62, v18, -v32
	v_fmac_f32_e32 v33, v63, v18
	v_add_f32_e32 v74, v60, v32
	v_add_f32_e32 v76, v61, v33
	v_mul_f32_e32 v32, v107, v21
	v_mul_f32_e32 v33, v106, v21
	v_fma_f32 v32, v106, v20, -v32
	v_fmac_f32_e32 v33, v107, v20
	v_add_f32_e32 v70, v70, v32
	v_add_f32_e32 v72, v72, v33
	;; [unrolled: 6-line block ×5, first 2 shown]
	ds_read_b128 v[32:35], v49 offset:1536
	s_waitcnt lgkmcnt(0)
	v_mul_f32_e32 v57, v33, v9
	v_mul_f32_e32 v9, v32, v9
	v_fmac_f32_e32 v9, v33, v8
	v_fma_f32 v57, v32, v8, -v57
	v_add_f32_e32 v48, v48, v9
	v_mul_f32_e32 v8, v33, v11
	v_mul_f32_e32 v9, v32, v11
	v_fma_f32 v8, v32, v10, -v8
	v_fmac_f32_e32 v9, v33, v10
	v_add_f32_e32 v42, v42, v8
	v_add_f32_e32 v44, v44, v9
	v_mul_f32_e32 v8, v33, v13
	v_mul_f32_e32 v9, v32, v13
	v_fma_f32 v8, v32, v12, -v8
	v_fmac_f32_e32 v9, v33, v12
	v_add_f32_e32 v12, v40, v8
	v_add_f32_e32 v13, v41, v9
	v_pk_mul_f32 v[8:9], v[32:33], v[14:15] op_sel:[1,1] op_sel_hi:[0,1]
	v_pk_fma_f32 v[10:11], v[32:33], v[14:15], v[8:9] neg_lo:[0,0,1] neg_hi:[0,0,1]
	v_pk_fma_f32 v[8:9], v[32:33], v[14:15], v[8:9] op_sel_hi:[1,0,1]
	v_add_f32_e32 v46, v46, v57
	v_mov_b32_e32 v11, v9
	v_pk_add_f32 v[8:9], v[58:59], v[10:11]
	v_mul_f32_e32 v10, v35, v25
	v_mul_f32_e32 v11, v34, v25
	v_fma_f32 v10, v34, v24, -v10
	v_fmac_f32_e32 v11, v35, v24
	v_add_f32_e32 v32, v46, v10
	v_add_f32_e32 v33, v48, v11
	v_mul_f32_e32 v10, v35, v27
	v_mul_f32_e32 v11, v34, v27
	v_fma_f32 v10, v34, v26, -v10
	v_fmac_f32_e32 v11, v35, v26
	v_add_f32_e32 v24, v42, v10
	v_add_f32_e32 v25, v44, v11
	;; [unrolled: 6-line block ×3, first 2 shown]
	v_pk_mul_f32 v[10:11], v[34:35], v[30:31] op_sel:[1,1] op_sel_hi:[0,1]
	v_pk_fma_f32 v[12:13], v[34:35], v[30:31], v[10:11] neg_lo:[0,0,1] neg_hi:[0,0,1]
	v_pk_fma_f32 v[10:11], v[34:35], v[30:31], v[10:11] op_sel_hi:[1,0,1]
	s_nop 0
	v_mov_b32_e32 v13, v11
	v_pk_add_f32 v[12:13], v[8:9], v[12:13]
	ds_read_b128 v[8:11], v49 offset:1552
	s_waitcnt lgkmcnt(0)
	s_barrier
	v_mul_f32_e32 v26, v9, v5
	v_mul_f32_e32 v5, v8, v5
	v_fma_f32 v26, v8, v4, -v26
	v_fmac_f32_e32 v5, v9, v4
	v_mul_f32_e32 v4, v9, v7
	v_add_f32_e32 v27, v33, v5
	v_fma_f32 v4, v8, v6, -v4
	v_mul_f32_e32 v5, v8, v7
	v_fmac_f32_e32 v5, v9, v6
	v_add_f32_e32 v6, v24, v4
	v_mul_f32_e32 v4, v9, v1
	v_mul_f32_e32 v1, v8, v1
	v_fmac_f32_e32 v1, v9, v0
	v_fma_f32 v4, v8, v0, -v4
	v_add_f32_e32 v15, v15, v1
	v_pk_mul_f32 v[0:1], v[8:9], v[2:3] op_sel:[1,1] op_sel_hi:[0,1]
	v_add_f32_e32 v7, v25, v5
	v_add_f32_e32 v14, v14, v4
	v_pk_fma_f32 v[4:5], v[8:9], v[2:3], v[0:1] neg_lo:[0,0,1] neg_hi:[0,0,1]
	v_pk_fma_f32 v[0:1], v[8:9], v[2:3], v[0:1] op_sel_hi:[1,0,1]
	v_mul_f32_e32 v2, v11, v21
	v_mul_f32_e32 v3, v10, v21
	v_add_f32_e32 v26, v32, v26
	v_fma_f32 v2, v10, v20, -v2
	v_fmac_f32_e32 v3, v11, v20
	v_add_f32_e32 v46, v26, v2
	v_add_f32_e32 v48, v27, v3
	v_mul_f32_e32 v2, v11, v23
	v_mul_f32_e32 v3, v10, v23
	v_fma_f32 v2, v10, v22, -v2
	v_fmac_f32_e32 v3, v11, v22
	v_add_f32_e32 v42, v6, v2
	v_add_f32_e32 v44, v7, v3
	v_mul_f32_e32 v2, v11, v17
	v_mul_f32_e32 v3, v10, v17
	v_fma_f32 v2, v10, v16, -v2
	v_fmac_f32_e32 v3, v11, v16
	v_mov_b32_e32 v5, v1
	v_add_f32_e32 v40, v14, v2
	v_add_f32_e32 v41, v15, v3
	v_pk_mul_f32 v[2:3], v[10:11], v[18:19] op_sel:[1,1] op_sel_hi:[0,1]
	v_pk_add_f32 v[0:1], v[12:13], v[4:5]
	v_pk_fma_f32 v[4:5], v[10:11], v[18:19], v[2:3] neg_lo:[0,0,1] neg_hi:[0,0,1]
	v_pk_fma_f32 v[2:3], v[10:11], v[18:19], v[2:3] op_sel_hi:[1,0,1]
	s_nop 0
	v_mov_b32_e32 v5, v3
	v_pk_add_f32 v[58:59], v[0:1], v[4:5]
	s_cbranch_vccnz .LBB238_2
.LBB238_3:
	s_lshl_b64 s[8:9], s[38:39], 3
	s_waitcnt lgkmcnt(0)
	s_add_u32 s4, s4, s8
	s_addc_u32 s5, s5, s9
	s_or_b32 s8, s6, s7
	s_bitset0_b32 s8, 31
	v_lshl_add_u64 v[2:3], s[24:25], 0, v[38:39]
	s_cmp_lg_u32 s8, 0
	v_lshl_add_u64 v[0:1], s[2:3], 0, v[36:37]
	s_mov_b32 s2, s11
	s_mov_b32 s3, s10
	s_cbranch_scc1 .LBB238_5
; %bb.4:
	v_mul_lo_u32 v6, v3, s36
	v_mul_lo_u32 v7, v2, s37
	v_mad_u64_u32 v[4:5], s[8:9], v2, s36, 0
	v_add3_u32 v5, v5, v7, v6
	v_pk_mul_f32 v[6:7], v[104:105], s[2:3] op_sel_hi:[0,1]
	v_lshl_add_u64 v[4:5], v[4:5], 3, s[4:5]
	v_lshlrev_b64 v[8:9], 3, v[0:1]
	v_pk_fma_f32 v[12:13], v[102:103], s[2:3], v[6:7] op_sel:[0,1,0] op_sel_hi:[1,0,1] neg_lo:[0,0,1] neg_hi:[0,0,1]
	v_pk_fma_f32 v[6:7], v[102:103], s[2:3], v[6:7] op_sel:[0,1,0] op_sel_hi:[0,0,1]
	v_lshl_add_u64 v[10:11], v[4:5], 0, v[8:9]
	v_mov_b32_e32 v13, v7
	v_pk_mul_f32 v[6:7], v[100:101], s[2:3] op_sel_hi:[0,1]
	flat_store_dwordx2 v[10:11], v[12:13]
	v_pk_fma_f32 v[12:13], v[98:99], s[2:3], v[6:7] op_sel:[0,1,0] op_sel_hi:[1,0,1] neg_lo:[0,0,1] neg_hi:[0,0,1]
	v_pk_fma_f32 v[6:7], v[98:99], s[2:3], v[6:7] op_sel:[0,1,0] op_sel_hi:[0,0,1]
	v_mov_b32_e32 v13, v7
	v_pk_mul_f32 v[6:7], v[96:97], s[2:3] op_sel_hi:[0,1]
	flat_store_dwordx2 v[10:11], v[12:13] offset:128
	v_pk_fma_f32 v[12:13], v[94:95], s[2:3], v[6:7] op_sel:[0,1,0] op_sel_hi:[1,0,1] neg_lo:[0,0,1] neg_hi:[0,0,1]
	v_pk_fma_f32 v[6:7], v[94:95], s[2:3], v[6:7] op_sel:[0,1,0] op_sel_hi:[0,0,1]
	v_mov_b32_e32 v13, v7
	v_pk_mul_f32 v[6:7], v[92:93], s[2:3] op_sel_hi:[0,1]
	flat_store_dwordx2 v[10:11], v[12:13] offset:256
	v_pk_fma_f32 v[12:13], v[90:91], s[2:3], v[6:7] op_sel:[0,1,0] op_sel_hi:[1,0,1] neg_lo:[0,0,1] neg_hi:[0,0,1]
	v_pk_fma_f32 v[6:7], v[90:91], s[2:3], v[6:7] op_sel:[0,1,0] op_sel_hi:[0,0,1]
	v_mov_b32_e32 v13, v7
	s_lshl_b64 s[8:9], s[36:37], 7
	v_pk_mul_f32 v[6:7], v[88:89], s[2:3] op_sel_hi:[0,1]
	flat_store_dwordx2 v[10:11], v[12:13] offset:384
	v_lshl_add_u64 v[4:5], v[4:5], 0, s[8:9]
	v_pk_fma_f32 v[12:13], v[86:87], s[2:3], v[6:7] op_sel:[0,1,0] op_sel_hi:[1,0,1] neg_lo:[0,0,1] neg_hi:[0,0,1]
	v_pk_fma_f32 v[6:7], v[86:87], s[2:3], v[6:7] op_sel:[0,1,0] op_sel_hi:[0,0,1]
	v_lshl_add_u64 v[10:11], v[4:5], 0, v[8:9]
	v_mov_b32_e32 v13, v7
	v_pk_mul_f32 v[6:7], v[84:85], s[2:3] op_sel_hi:[0,1]
	flat_store_dwordx2 v[10:11], v[12:13]
	v_pk_fma_f32 v[12:13], v[82:83], s[2:3], v[6:7] op_sel:[0,1,0] op_sel_hi:[1,0,1] neg_lo:[0,0,1] neg_hi:[0,0,1]
	v_pk_fma_f32 v[6:7], v[82:83], s[2:3], v[6:7] op_sel:[0,1,0] op_sel_hi:[0,0,1]
	v_mov_b32_e32 v13, v7
	v_pk_mul_f32 v[6:7], v[80:81], s[2:3] op_sel_hi:[0,1]
	flat_store_dwordx2 v[10:11], v[12:13] offset:128
	v_pk_fma_f32 v[12:13], v[78:79], s[2:3], v[6:7] op_sel:[0,1,0] op_sel_hi:[1,0,1] neg_lo:[0,0,1] neg_hi:[0,0,1]
	v_pk_fma_f32 v[6:7], v[78:79], s[2:3], v[6:7] op_sel:[0,1,0] op_sel_hi:[0,0,1]
	v_mov_b32_e32 v13, v7
	v_pk_mul_f32 v[6:7], v[76:77], s[2:3] op_sel_hi:[0,1]
	flat_store_dwordx2 v[10:11], v[12:13] offset:256
	;; [unrolled: 5-line block ×3, first 2 shown]
	v_lshl_add_u64 v[4:5], v[4:5], 0, s[8:9]
	v_pk_fma_f32 v[12:13], v[70:71], s[2:3], v[6:7] op_sel:[0,1,0] op_sel_hi:[1,0,1] neg_lo:[0,0,1] neg_hi:[0,0,1]
	v_pk_fma_f32 v[6:7], v[70:71], s[2:3], v[6:7] op_sel:[0,1,0] op_sel_hi:[0,0,1]
	v_lshl_add_u64 v[10:11], v[4:5], 0, v[8:9]
	v_mov_b32_e32 v13, v7
	v_pk_mul_f32 v[6:7], v[68:69], s[2:3] op_sel_hi:[0,1]
	flat_store_dwordx2 v[10:11], v[12:13]
	v_pk_fma_f32 v[12:13], v[66:67], s[2:3], v[6:7] op_sel:[0,1,0] op_sel_hi:[1,0,1] neg_lo:[0,0,1] neg_hi:[0,0,1]
	v_pk_fma_f32 v[6:7], v[66:67], s[2:3], v[6:7] op_sel:[0,1,0] op_sel_hi:[0,0,1]
	v_mov_b32_e32 v13, v7
	v_pk_mul_f32 v[6:7], v[64:65], s[2:3] op_sel_hi:[0,1]
	flat_store_dwordx2 v[10:11], v[12:13] offset:128
	v_pk_fma_f32 v[12:13], v[62:63], s[2:3], v[6:7] op_sel:[0,1,0] op_sel_hi:[1,0,1] neg_lo:[0,0,1] neg_hi:[0,0,1]
	v_pk_fma_f32 v[6:7], v[62:63], s[2:3], v[6:7] op_sel:[0,1,0] op_sel_hi:[0,0,1]
	v_mov_b32_e32 v13, v7
	v_pk_mul_f32 v[6:7], v[60:61], s[2:3] op_sel_hi:[0,1]
	flat_store_dwordx2 v[10:11], v[12:13] offset:256
	v_pk_fma_f32 v[12:13], v[56:57], s[2:3], v[6:7] op_sel:[0,1,0] op_sel_hi:[1,0,1] neg_lo:[0,0,1] neg_hi:[0,0,1]
	v_pk_fma_f32 v[6:7], v[56:57], s[2:3], v[6:7] op_sel:[0,1,0] op_sel_hi:[0,0,1]
	v_mov_b32_e32 v13, v7
	v_lshl_add_u64 v[4:5], v[4:5], 0, s[8:9]
	v_pk_mul_f32 v[6:7], v[48:49], s[2:3] op_sel_hi:[0,1]
	v_lshl_add_u64 v[8:9], v[4:5], 0, v[8:9]
	v_pk_fma_f32 v[4:5], v[46:47], s[2:3], v[6:7] op_sel:[0,1,0] op_sel_hi:[1,0,1] neg_lo:[0,0,1] neg_hi:[0,0,1]
	v_pk_fma_f32 v[6:7], v[46:47], s[2:3], v[6:7] op_sel:[0,1,0] op_sel_hi:[0,0,1]
	v_mov_b32_e32 v5, v7
	flat_store_dwordx2 v[10:11], v[12:13] offset:384
	flat_store_dwordx2 v[8:9], v[4:5]
	v_pk_mul_f32 v[4:5], v[44:45], s[2:3] op_sel_hi:[0,1]
	v_pk_fma_f32 v[6:7], v[42:43], s[2:3], v[4:5] op_sel:[0,1,0] op_sel_hi:[1,0,1] neg_lo:[0,0,1] neg_hi:[0,0,1]
	v_pk_fma_f32 v[4:5], v[42:43], s[2:3], v[4:5] op_sel:[0,1,0] op_sel_hi:[0,0,1]
	v_mov_b32_e32 v4, v41
	v_mov_b32_e32 v7, v5
	v_pk_mul_f32 v[4:5], v[4:5], s[2:3] op_sel_hi:[0,1]
	flat_store_dwordx2 v[8:9], v[6:7] offset:128
	v_pk_fma_f32 v[6:7], v[40:41], s[2:3], v[4:5] op_sel:[0,1,0] op_sel_hi:[1,0,1] neg_lo:[0,0,1] neg_hi:[0,0,1]
	v_pk_fma_f32 v[4:5], v[40:41], s[2:3], v[4:5] op_sel:[0,1,0] op_sel_hi:[0,0,1]
	v_mov_b32_e32 v7, v5
	v_mul_f32_e32 v4, s3, v58
	flat_store_dwordx2 v[8:9], v[6:7] offset:256
	v_fma_f32 v7, -v59, s2, v4
	v_pk_mul_f32 v[4:5], v[58:59], s[2:3]
	s_mov_b64 s[8:9], 0x180
	v_add_f32_e32 v6, v4, v5
	v_lshl_add_u64 v[4:5], v[8:9], 0, s[8:9]
	flat_store_dword v[8:9], v7 offset:384
	s_cbranch_execz .LBB238_6
	s_branch .LBB238_7
.LBB238_5:
                                        ; implicit-def: $vgpr6
                                        ; implicit-def: $vgpr4_vgpr5
.LBB238_6:
	s_lshl_b64 s[8:9], s[28:29], 3
	s_add_u32 s0, s0, s8
	s_addc_u32 s1, s1, s9
	v_mul_lo_u32 v6, v3, s26
	v_mul_lo_u32 v7, v2, s27
	v_mad_u64_u32 v[4:5], s[8:9], v2, s26, 0
	v_add3_u32 v5, v5, v7, v6
	v_lshl_add_u64 v[4:5], v[4:5], 3, s[0:1]
	v_lshlrev_b64 v[0:1], 3, v[0:1]
	v_lshl_add_u64 v[6:7], v[4:5], 0, v[0:1]
	flat_load_dwordx2 v[8:9], v[6:7]
	v_mul_lo_u32 v12, v3, s36
	v_mul_lo_u32 v13, v2, s37
	v_mad_u64_u32 v[2:3], s[0:1], v2, s36, 0
	s_mov_b32 s0, s7
	v_pk_mul_f32 v[10:11], v[104:105], s[2:3] op_sel_hi:[0,1]
	v_add3_u32 v3, v3, v13, v12
	v_pk_fma_f32 v[12:13], v[102:103], s[2:3], v[10:11] op_sel:[0,1,0] op_sel_hi:[1,0,1] neg_lo:[0,0,1] neg_hi:[0,0,1]
	v_pk_fma_f32 v[10:11], v[102:103], s[2:3], v[10:11] op_sel:[0,1,0] op_sel_hi:[0,0,1]
	v_lshl_add_u64 v[2:3], v[2:3], 3, s[4:5]
	v_mov_b32_e32 v13, v11
	v_lshl_add_u64 v[10:11], v[2:3], 0, v[0:1]
	s_lshl_b64 s[4:5], s[26:27], 7
	v_lshl_add_u64 v[4:5], v[4:5], 0, s[4:5]
	s_lshl_b64 s[8:9], s[36:37], 7
	v_lshl_add_u64 v[2:3], v[2:3], 0, s[8:9]
	s_mov_b32 s11, s6
	s_waitcnt vmcnt(0) lgkmcnt(0)
	v_pk_mul_f32 v[14:15], v[8:9], s[0:1] op_sel_hi:[1,0]
	s_nop 0
	v_pk_fma_f32 v[16:17], v[8:9], s[6:7], v[14:15] op_sel:[0,0,1] op_sel_hi:[1,1,0] neg_lo:[0,0,1] neg_hi:[0,0,1]
	v_pk_fma_f32 v[8:9], v[8:9], s[6:7], v[14:15] op_sel:[0,0,1] op_sel_hi:[1,0,0]
	s_nop 0
	v_mov_b32_e32 v17, v9
	v_pk_add_f32 v[8:9], v[12:13], v[16:17]
	flat_store_dwordx2 v[10:11], v[8:9]
	flat_load_dwordx2 v[8:9], v[6:7] offset:128
	v_pk_mul_f32 v[12:13], v[100:101], s[2:3] op_sel_hi:[0,1]
	v_pk_fma_f32 v[14:15], v[98:99], s[2:3], v[12:13] op_sel:[0,1,0] op_sel_hi:[1,0,1] neg_lo:[0,0,1] neg_hi:[0,0,1]
	v_pk_fma_f32 v[12:13], v[98:99], s[2:3], v[12:13] op_sel:[0,1,0] op_sel_hi:[0,0,1]
	v_mov_b32_e32 v15, v13
	s_waitcnt vmcnt(0) lgkmcnt(0)
	v_pk_mul_f32 v[12:13], v[8:9], s[0:1] op_sel_hi:[1,0]
	s_nop 0
	v_pk_fma_f32 v[16:17], v[8:9], s[6:7], v[12:13] op_sel:[0,0,1] op_sel_hi:[1,1,0] neg_lo:[0,0,1] neg_hi:[0,0,1]
	v_pk_fma_f32 v[8:9], v[8:9], s[6:7], v[12:13] op_sel:[0,0,1] op_sel_hi:[1,0,0]
	v_pk_mul_f32 v[12:13], v[96:97], s[2:3] op_sel_hi:[0,1]
	v_mov_b32_e32 v17, v9
	v_pk_add_f32 v[8:9], v[14:15], v[16:17]
	flat_store_dwordx2 v[10:11], v[8:9] offset:128
	flat_load_dwordx2 v[8:9], v[6:7] offset:256
	v_pk_fma_f32 v[14:15], v[94:95], s[2:3], v[12:13] op_sel:[0,1,0] op_sel_hi:[1,0,1] neg_lo:[0,0,1] neg_hi:[0,0,1]
	v_pk_fma_f32 v[12:13], v[94:95], s[2:3], v[12:13] op_sel:[0,1,0] op_sel_hi:[0,0,1]
	v_mov_b32_e32 v15, v13
	s_waitcnt vmcnt(0) lgkmcnt(0)
	v_pk_mul_f32 v[12:13], v[8:9], s[0:1] op_sel_hi:[1,0]
	s_nop 0
	v_pk_fma_f32 v[16:17], v[8:9], s[6:7], v[12:13] op_sel:[0,0,1] op_sel_hi:[1,1,0] neg_lo:[0,0,1] neg_hi:[0,0,1]
	v_pk_fma_f32 v[8:9], v[8:9], s[6:7], v[12:13] op_sel:[0,0,1] op_sel_hi:[1,0,0]
	s_nop 0
	v_mov_b32_e32 v17, v9
	v_pk_add_f32 v[8:9], v[14:15], v[16:17]
	flat_store_dwordx2 v[10:11], v[8:9] offset:256
	flat_load_dwordx2 v[6:7], v[6:7] offset:384
	v_pk_mul_f32 v[8:9], v[92:93], s[2:3] op_sel_hi:[0,1]
	v_pk_fma_f32 v[12:13], v[90:91], s[2:3], v[8:9] op_sel:[0,1,0] op_sel_hi:[1,0,1] neg_lo:[0,0,1] neg_hi:[0,0,1]
	v_pk_fma_f32 v[8:9], v[90:91], s[2:3], v[8:9] op_sel:[0,1,0] op_sel_hi:[0,0,1]
	v_mov_b32_e32 v13, v9
	v_lshl_add_u64 v[8:9], v[4:5], 0, v[0:1]
	v_lshl_add_u64 v[4:5], v[4:5], 0, s[4:5]
	s_waitcnt vmcnt(0) lgkmcnt(0)
	v_pk_mul_f32 v[14:15], v[6:7], s[0:1] op_sel_hi:[1,0]
	s_nop 0
	v_pk_fma_f32 v[16:17], v[6:7], s[6:7], v[14:15] op_sel:[0,0,1] op_sel_hi:[1,1,0] neg_lo:[0,0,1] neg_hi:[0,0,1]
	v_pk_fma_f32 v[6:7], v[6:7], s[6:7], v[14:15] op_sel:[0,0,1] op_sel_hi:[1,0,0]
	s_nop 0
	v_mov_b32_e32 v17, v7
	v_pk_add_f32 v[6:7], v[12:13], v[16:17]
	flat_store_dwordx2 v[10:11], v[6:7] offset:384
	flat_load_dwordx2 v[6:7], v[8:9]
	v_pk_mul_f32 v[10:11], v[88:89], s[2:3] op_sel_hi:[0,1]
	v_pk_fma_f32 v[12:13], v[86:87], s[2:3], v[10:11] op_sel:[0,1,0] op_sel_hi:[1,0,1] neg_lo:[0,0,1] neg_hi:[0,0,1]
	v_pk_fma_f32 v[10:11], v[86:87], s[2:3], v[10:11] op_sel:[0,1,0] op_sel_hi:[0,0,1]
	v_mov_b32_e32 v13, v11
	v_lshl_add_u64 v[10:11], v[2:3], 0, v[0:1]
	v_lshl_add_u64 v[2:3], v[2:3], 0, s[8:9]
	s_waitcnt vmcnt(0) lgkmcnt(0)
	v_pk_mul_f32 v[14:15], v[6:7], s[0:1] op_sel_hi:[1,0]
	s_nop 0
	v_pk_fma_f32 v[16:17], v[6:7], s[6:7], v[14:15] op_sel:[0,0,1] op_sel_hi:[1,1,0] neg_lo:[0,0,1] neg_hi:[0,0,1]
	v_pk_fma_f32 v[6:7], v[6:7], s[6:7], v[14:15] op_sel:[0,0,1] op_sel_hi:[1,0,0]
	s_nop 0
	v_mov_b32_e32 v17, v7
	v_pk_add_f32 v[6:7], v[12:13], v[16:17]
	flat_store_dwordx2 v[10:11], v[6:7]
	flat_load_dwordx2 v[6:7], v[8:9] offset:128
	v_pk_mul_f32 v[12:13], v[84:85], s[2:3] op_sel_hi:[0,1]
	v_pk_fma_f32 v[14:15], v[82:83], s[2:3], v[12:13] op_sel:[0,1,0] op_sel_hi:[1,0,1] neg_lo:[0,0,1] neg_hi:[0,0,1]
	v_pk_fma_f32 v[12:13], v[82:83], s[2:3], v[12:13] op_sel:[0,1,0] op_sel_hi:[0,0,1]
	v_mov_b32_e32 v15, v13
	s_waitcnt vmcnt(0) lgkmcnt(0)
	v_pk_mul_f32 v[12:13], v[6:7], s[0:1] op_sel_hi:[1,0]
	s_nop 0
	v_pk_fma_f32 v[16:17], v[6:7], s[6:7], v[12:13] op_sel:[0,0,1] op_sel_hi:[1,1,0] neg_lo:[0,0,1] neg_hi:[0,0,1]
	v_pk_fma_f32 v[6:7], v[6:7], s[6:7], v[12:13] op_sel:[0,0,1] op_sel_hi:[1,0,0]
	v_pk_mul_f32 v[12:13], v[80:81], s[2:3] op_sel_hi:[0,1]
	v_mov_b32_e32 v17, v7
	v_pk_add_f32 v[6:7], v[14:15], v[16:17]
	flat_store_dwordx2 v[10:11], v[6:7] offset:128
	flat_load_dwordx2 v[6:7], v[8:9] offset:256
	v_pk_fma_f32 v[14:15], v[78:79], s[2:3], v[12:13] op_sel:[0,1,0] op_sel_hi:[1,0,1] neg_lo:[0,0,1] neg_hi:[0,0,1]
	v_pk_fma_f32 v[12:13], v[78:79], s[2:3], v[12:13] op_sel:[0,1,0] op_sel_hi:[0,0,1]
	v_mov_b32_e32 v15, v13
	s_waitcnt vmcnt(0) lgkmcnt(0)
	v_pk_mul_f32 v[12:13], v[6:7], s[0:1] op_sel_hi:[1,0]
	s_nop 0
	v_pk_fma_f32 v[16:17], v[6:7], s[6:7], v[12:13] op_sel:[0,0,1] op_sel_hi:[1,1,0] neg_lo:[0,0,1] neg_hi:[0,0,1]
	v_pk_fma_f32 v[6:7], v[6:7], s[6:7], v[12:13] op_sel:[0,0,1] op_sel_hi:[1,0,0]
	s_nop 0
	v_mov_b32_e32 v17, v7
	v_pk_add_f32 v[6:7], v[14:15], v[16:17]
	flat_store_dwordx2 v[10:11], v[6:7] offset:256
	flat_load_dwordx2 v[6:7], v[8:9] offset:384
	v_pk_mul_f32 v[8:9], v[76:77], s[2:3] op_sel_hi:[0,1]
	v_pk_fma_f32 v[12:13], v[74:75], s[2:3], v[8:9] op_sel:[0,1,0] op_sel_hi:[1,0,1] neg_lo:[0,0,1] neg_hi:[0,0,1]
	v_pk_fma_f32 v[8:9], v[74:75], s[2:3], v[8:9] op_sel:[0,1,0] op_sel_hi:[0,0,1]
	v_mov_b32_e32 v13, v9
	v_lshl_add_u64 v[8:9], v[4:5], 0, v[0:1]
	v_lshl_add_u64 v[4:5], v[4:5], 0, s[4:5]
	;; [unrolled: 1-line block ×3, first 2 shown]
	s_waitcnt vmcnt(0) lgkmcnt(0)
	v_pk_mul_f32 v[14:15], v[6:7], s[0:1] op_sel_hi:[1,0]
	s_nop 0
	v_pk_fma_f32 v[16:17], v[6:7], s[6:7], v[14:15] op_sel:[0,0,1] op_sel_hi:[1,1,0] neg_lo:[0,0,1] neg_hi:[0,0,1]
	v_pk_fma_f32 v[6:7], v[6:7], s[6:7], v[14:15] op_sel:[0,0,1] op_sel_hi:[1,0,0]
	s_nop 0
	v_mov_b32_e32 v17, v7
	v_pk_add_f32 v[6:7], v[12:13], v[16:17]
	flat_store_dwordx2 v[10:11], v[6:7] offset:384
	flat_load_dwordx2 v[6:7], v[8:9]
	v_pk_mul_f32 v[10:11], v[72:73], s[2:3] op_sel_hi:[0,1]
	v_pk_fma_f32 v[12:13], v[70:71], s[2:3], v[10:11] op_sel:[0,1,0] op_sel_hi:[1,0,1] neg_lo:[0,0,1] neg_hi:[0,0,1]
	v_pk_fma_f32 v[10:11], v[70:71], s[2:3], v[10:11] op_sel:[0,1,0] op_sel_hi:[0,0,1]
	v_mov_b32_e32 v13, v11
	v_lshl_add_u64 v[10:11], v[2:3], 0, v[0:1]
	v_lshl_add_u64 v[2:3], v[2:3], 0, s[8:9]
	;; [unrolled: 1-line block ×3, first 2 shown]
	s_waitcnt vmcnt(0) lgkmcnt(0)
	v_pk_mul_f32 v[14:15], v[6:7], s[0:1] op_sel_hi:[1,0]
	s_nop 0
	v_pk_fma_f32 v[16:17], v[6:7], s[6:7], v[14:15] op_sel:[0,0,1] op_sel_hi:[1,1,0] neg_lo:[0,0,1] neg_hi:[0,0,1]
	v_pk_fma_f32 v[6:7], v[6:7], s[6:7], v[14:15] op_sel:[0,0,1] op_sel_hi:[1,0,0]
	s_nop 0
	v_mov_b32_e32 v17, v7
	v_pk_add_f32 v[6:7], v[12:13], v[16:17]
	flat_store_dwordx2 v[10:11], v[6:7]
	flat_load_dwordx2 v[6:7], v[8:9] offset:128
	v_pk_mul_f32 v[12:13], v[68:69], s[2:3] op_sel_hi:[0,1]
	v_pk_fma_f32 v[14:15], v[66:67], s[2:3], v[12:13] op_sel:[0,1,0] op_sel_hi:[1,0,1] neg_lo:[0,0,1] neg_hi:[0,0,1]
	v_pk_fma_f32 v[12:13], v[66:67], s[2:3], v[12:13] op_sel:[0,1,0] op_sel_hi:[0,0,1]
	v_mov_b32_e32 v15, v13
	s_waitcnt vmcnt(0) lgkmcnt(0)
	v_pk_mul_f32 v[12:13], v[6:7], s[0:1] op_sel_hi:[1,0]
	s_nop 0
	v_pk_fma_f32 v[16:17], v[6:7], s[6:7], v[12:13] op_sel:[0,0,1] op_sel_hi:[1,1,0] neg_lo:[0,0,1] neg_hi:[0,0,1]
	v_pk_fma_f32 v[6:7], v[6:7], s[6:7], v[12:13] op_sel:[0,0,1] op_sel_hi:[1,0,0]
	v_pk_mul_f32 v[12:13], v[64:65], s[2:3] op_sel_hi:[0,1]
	v_mov_b32_e32 v17, v7
	v_pk_add_f32 v[6:7], v[14:15], v[16:17]
	flat_store_dwordx2 v[10:11], v[6:7] offset:128
	flat_load_dwordx2 v[6:7], v[8:9] offset:256
	v_pk_fma_f32 v[14:15], v[62:63], s[2:3], v[12:13] op_sel:[0,1,0] op_sel_hi:[1,0,1] neg_lo:[0,0,1] neg_hi:[0,0,1]
	v_pk_fma_f32 v[12:13], v[62:63], s[2:3], v[12:13] op_sel:[0,1,0] op_sel_hi:[0,0,1]
	v_mov_b32_e32 v15, v13
	s_waitcnt vmcnt(0) lgkmcnt(0)
	v_pk_mul_f32 v[12:13], v[6:7], s[0:1] op_sel_hi:[1,0]
	s_nop 0
	v_pk_fma_f32 v[16:17], v[6:7], s[6:7], v[12:13] op_sel:[0,0,1] op_sel_hi:[1,1,0] neg_lo:[0,0,1] neg_hi:[0,0,1]
	v_pk_fma_f32 v[6:7], v[6:7], s[6:7], v[12:13] op_sel:[0,0,1] op_sel_hi:[1,0,0]
	s_nop 0
	v_mov_b32_e32 v17, v7
	v_pk_add_f32 v[6:7], v[14:15], v[16:17]
	flat_store_dwordx2 v[10:11], v[6:7] offset:256
	flat_load_dwordx2 v[6:7], v[8:9] offset:384
	v_pk_mul_f32 v[8:9], v[60:61], s[2:3] op_sel_hi:[0,1]
	v_pk_fma_f32 v[12:13], v[56:57], s[2:3], v[8:9] op_sel:[0,1,0] op_sel_hi:[1,0,1] neg_lo:[0,0,1] neg_hi:[0,0,1]
	v_pk_fma_f32 v[8:9], v[56:57], s[2:3], v[8:9] op_sel:[0,1,0] op_sel_hi:[0,0,1]
	v_mov_b32_e32 v13, v9
	s_waitcnt vmcnt(0) lgkmcnt(0)
	v_pk_mul_f32 v[8:9], v[6:7], s[0:1] op_sel_hi:[1,0]
	s_nop 0
	v_pk_fma_f32 v[14:15], v[6:7], s[6:7], v[8:9] op_sel:[0,0,1] op_sel_hi:[1,1,0] neg_lo:[0,0,1] neg_hi:[0,0,1]
	v_pk_fma_f32 v[6:7], v[6:7], s[6:7], v[8:9] op_sel:[0,0,1] op_sel_hi:[1,0,0]
	v_pk_mul_f32 v[8:9], v[48:49], s[2:3] op_sel_hi:[0,1]
	v_mov_b32_e32 v15, v7
	v_pk_add_f32 v[6:7], v[12:13], v[14:15]
	flat_store_dwordx2 v[10:11], v[6:7] offset:384
	flat_load_dwordx2 v[6:7], v[4:5]
	v_pk_fma_f32 v[10:11], v[46:47], s[2:3], v[8:9] op_sel:[0,1,0] op_sel_hi:[1,0,1] neg_lo:[0,0,1] neg_hi:[0,0,1]
	v_pk_fma_f32 v[8:9], v[46:47], s[2:3], v[8:9] op_sel:[0,1,0] op_sel_hi:[0,0,1]
	v_mov_b32_e32 v11, v9
	s_waitcnt vmcnt(0) lgkmcnt(0)
	v_pk_mul_f32 v[2:3], v[6:7], s[0:1] op_sel_hi:[1,0]
	s_nop 0
	v_pk_fma_f32 v[8:9], v[6:7], s[6:7], v[2:3] op_sel:[0,0,1] op_sel_hi:[1,1,0] neg_lo:[0,0,1] neg_hi:[0,0,1]
	v_pk_fma_f32 v[2:3], v[6:7], s[6:7], v[2:3] op_sel:[0,0,1] op_sel_hi:[1,0,0]
	v_pk_mul_f32 v[6:7], v[44:45], s[2:3] op_sel_hi:[0,1]
	v_mov_b32_e32 v9, v3
	v_pk_add_f32 v[2:3], v[10:11], v[8:9]
	flat_store_dwordx2 v[0:1], v[2:3]
	flat_load_dwordx2 v[2:3], v[4:5] offset:128
	v_pk_fma_f32 v[8:9], v[42:43], s[2:3], v[6:7] op_sel:[0,1,0] op_sel_hi:[1,0,1] neg_lo:[0,0,1] neg_hi:[0,0,1]
	v_pk_fma_f32 v[6:7], v[42:43], s[2:3], v[6:7] op_sel:[0,1,0] op_sel_hi:[0,0,1]
	v_mov_b32_e32 v9, v7
	s_waitcnt vmcnt(0) lgkmcnt(0)
	v_pk_mul_f32 v[6:7], v[2:3], s[0:1] op_sel_hi:[1,0]
	s_nop 0
	v_pk_fma_f32 v[10:11], v[2:3], s[6:7], v[6:7] op_sel:[0,0,1] op_sel_hi:[1,1,0] neg_lo:[0,0,1] neg_hi:[0,0,1]
	v_pk_fma_f32 v[2:3], v[2:3], s[6:7], v[6:7] op_sel:[0,0,1] op_sel_hi:[1,0,0]
	v_mov_b32_e32 v6, v41
	v_mov_b32_e32 v11, v3
	v_pk_add_f32 v[2:3], v[8:9], v[10:11]
	flat_store_dwordx2 v[0:1], v[2:3] offset:128
	flat_load_dwordx2 v[2:3], v[4:5] offset:256
	v_pk_mul_f32 v[6:7], v[6:7], s[2:3] op_sel_hi:[0,1]
	v_pk_fma_f32 v[8:9], v[40:41], s[2:3], v[6:7] op_sel:[0,1,0] op_sel_hi:[1,0,1] neg_lo:[0,0,1] neg_hi:[0,0,1]
	v_pk_fma_f32 v[6:7], v[40:41], s[2:3], v[6:7] op_sel:[0,1,0] op_sel_hi:[0,0,1]
	v_mov_b32_e32 v9, v7
	s_waitcnt vmcnt(0) lgkmcnt(0)
	v_pk_mul_f32 v[6:7], v[2:3], s[0:1] op_sel_hi:[1,0]
	s_nop 0
	v_pk_fma_f32 v[10:11], v[2:3], s[6:7], v[6:7] op_sel:[0,0,1] op_sel_hi:[1,1,0] neg_lo:[0,0,1] neg_hi:[0,0,1]
	v_pk_fma_f32 v[2:3], v[2:3], s[6:7], v[6:7] op_sel:[0,0,1] op_sel_hi:[1,0,0]
	v_mov_b32_e32 v6, v58
	v_mov_b32_e32 v11, v3
	v_pk_add_f32 v[2:3], v[8:9], v[10:11]
	flat_store_dwordx2 v[0:1], v[2:3] offset:256
	flat_load_dwordx2 v[2:3], v[4:5] offset:384
	v_mul_f32_e32 v4, s3, v58
	s_mov_b32 s3, s7
	s_mov_b64 s[0:1], 0x180
	v_fma_f32 v8, -v59, s2, v4
	v_lshl_add_u64 v[4:5], v[0:1], 0, s[0:1]
	s_waitcnt vmcnt(0) lgkmcnt(0)
	v_mul_f32_e32 v9, s7, v3
	v_mov_b32_e32 v7, v2
	v_fma_f32 v9, v2, s6, -v9
	v_mov_b32_e32 v2, v59
	v_pk_mul_f32 v[2:3], v[2:3], s[10:11]
	v_add_f32_e32 v8, v8, v9
	v_pk_fma_f32 v[2:3], v[6:7], s[2:3], v[2:3]
	flat_store_dword v[0:1], v8 offset:384
	v_add_f32_e32 v6, v2, v3
.LBB238_7:
	flat_store_dword v[4:5], v6 offset:4
	s_endpgm
	.section	.rodata,"a",@progbits
	.p2align	6, 0x0
	.amdhsa_kernel _ZN12_GLOBAL__N_127rocblas_gemm_batched_kernelI19rocblas_complex_numIfELi16ELi16ELi64ELi64ELi4ELi64ELi4ELi4ELi64ELc67ELc67EKPKS2_S5_KPS2_EEvlllT_PT11_llSA_llS8_PT12_llPT13_lli
		.amdhsa_group_segment_fixed_size 4096
		.amdhsa_private_segment_fixed_size 0
		.amdhsa_kernarg_size 140
		.amdhsa_user_sgpr_count 2
		.amdhsa_user_sgpr_dispatch_ptr 0
		.amdhsa_user_sgpr_queue_ptr 0
		.amdhsa_user_sgpr_kernarg_segment_ptr 1
		.amdhsa_user_sgpr_dispatch_id 0
		.amdhsa_user_sgpr_kernarg_preload_length 0
		.amdhsa_user_sgpr_kernarg_preload_offset 0
		.amdhsa_user_sgpr_private_segment_size 0
		.amdhsa_uses_dynamic_stack 0
		.amdhsa_enable_private_segment 0
		.amdhsa_system_sgpr_workgroup_id_x 1
		.amdhsa_system_sgpr_workgroup_id_y 1
		.amdhsa_system_sgpr_workgroup_id_z 1
		.amdhsa_system_sgpr_workgroup_info 0
		.amdhsa_system_vgpr_workitem_id 1
		.amdhsa_next_free_vgpr 108
		.amdhsa_next_free_sgpr 42
		.amdhsa_accum_offset 108
		.amdhsa_reserve_vcc 1
		.amdhsa_float_round_mode_32 0
		.amdhsa_float_round_mode_16_64 0
		.amdhsa_float_denorm_mode_32 3
		.amdhsa_float_denorm_mode_16_64 3
		.amdhsa_dx10_clamp 1
		.amdhsa_ieee_mode 1
		.amdhsa_fp16_overflow 0
		.amdhsa_tg_split 0
		.amdhsa_exception_fp_ieee_invalid_op 0
		.amdhsa_exception_fp_denorm_src 0
		.amdhsa_exception_fp_ieee_div_zero 0
		.amdhsa_exception_fp_ieee_overflow 0
		.amdhsa_exception_fp_ieee_underflow 0
		.amdhsa_exception_fp_ieee_inexact 0
		.amdhsa_exception_int_div_zero 0
	.end_amdhsa_kernel
	.section	.text._ZN12_GLOBAL__N_127rocblas_gemm_batched_kernelI19rocblas_complex_numIfELi16ELi16ELi64ELi64ELi4ELi64ELi4ELi4ELi64ELc67ELc67EKPKS2_S5_KPS2_EEvlllT_PT11_llSA_llS8_PT12_llPT13_lli,"axG",@progbits,_ZN12_GLOBAL__N_127rocblas_gemm_batched_kernelI19rocblas_complex_numIfELi16ELi16ELi64ELi64ELi4ELi64ELi4ELi4ELi64ELc67ELc67EKPKS2_S5_KPS2_EEvlllT_PT11_llSA_llS8_PT12_llPT13_lli,comdat
.Lfunc_end238:
	.size	_ZN12_GLOBAL__N_127rocblas_gemm_batched_kernelI19rocblas_complex_numIfELi16ELi16ELi64ELi64ELi4ELi64ELi4ELi4ELi64ELc67ELc67EKPKS2_S5_KPS2_EEvlllT_PT11_llSA_llS8_PT12_llPT13_lli, .Lfunc_end238-_ZN12_GLOBAL__N_127rocblas_gemm_batched_kernelI19rocblas_complex_numIfELi16ELi16ELi64ELi64ELi4ELi64ELi4ELi4ELi64ELc67ELc67EKPKS2_S5_KPS2_EEvlllT_PT11_llSA_llS8_PT12_llPT13_lli
                                        ; -- End function
	.set _ZN12_GLOBAL__N_127rocblas_gemm_batched_kernelI19rocblas_complex_numIfELi16ELi16ELi64ELi64ELi4ELi64ELi4ELi4ELi64ELc67ELc67EKPKS2_S5_KPS2_EEvlllT_PT11_llSA_llS8_PT12_llPT13_lli.num_vgpr, 108
	.set _ZN12_GLOBAL__N_127rocblas_gemm_batched_kernelI19rocblas_complex_numIfELi16ELi16ELi64ELi64ELi4ELi64ELi4ELi4ELi64ELc67ELc67EKPKS2_S5_KPS2_EEvlllT_PT11_llSA_llS8_PT12_llPT13_lli.num_agpr, 0
	.set _ZN12_GLOBAL__N_127rocblas_gemm_batched_kernelI19rocblas_complex_numIfELi16ELi16ELi64ELi64ELi4ELi64ELi4ELi4ELi64ELc67ELc67EKPKS2_S5_KPS2_EEvlllT_PT11_llSA_llS8_PT12_llPT13_lli.numbered_sgpr, 42
	.set _ZN12_GLOBAL__N_127rocblas_gemm_batched_kernelI19rocblas_complex_numIfELi16ELi16ELi64ELi64ELi4ELi64ELi4ELi4ELi64ELc67ELc67EKPKS2_S5_KPS2_EEvlllT_PT11_llSA_llS8_PT12_llPT13_lli.num_named_barrier, 0
	.set _ZN12_GLOBAL__N_127rocblas_gemm_batched_kernelI19rocblas_complex_numIfELi16ELi16ELi64ELi64ELi4ELi64ELi4ELi4ELi64ELc67ELc67EKPKS2_S5_KPS2_EEvlllT_PT11_llSA_llS8_PT12_llPT13_lli.private_seg_size, 0
	.set _ZN12_GLOBAL__N_127rocblas_gemm_batched_kernelI19rocblas_complex_numIfELi16ELi16ELi64ELi64ELi4ELi64ELi4ELi4ELi64ELc67ELc67EKPKS2_S5_KPS2_EEvlllT_PT11_llSA_llS8_PT12_llPT13_lli.uses_vcc, 1
	.set _ZN12_GLOBAL__N_127rocblas_gemm_batched_kernelI19rocblas_complex_numIfELi16ELi16ELi64ELi64ELi4ELi64ELi4ELi4ELi64ELc67ELc67EKPKS2_S5_KPS2_EEvlllT_PT11_llSA_llS8_PT12_llPT13_lli.uses_flat_scratch, 0
	.set _ZN12_GLOBAL__N_127rocblas_gemm_batched_kernelI19rocblas_complex_numIfELi16ELi16ELi64ELi64ELi4ELi64ELi4ELi4ELi64ELc67ELc67EKPKS2_S5_KPS2_EEvlllT_PT11_llSA_llS8_PT12_llPT13_lli.has_dyn_sized_stack, 0
	.set _ZN12_GLOBAL__N_127rocblas_gemm_batched_kernelI19rocblas_complex_numIfELi16ELi16ELi64ELi64ELi4ELi64ELi4ELi4ELi64ELc67ELc67EKPKS2_S5_KPS2_EEvlllT_PT11_llSA_llS8_PT12_llPT13_lli.has_recursion, 0
	.set _ZN12_GLOBAL__N_127rocblas_gemm_batched_kernelI19rocblas_complex_numIfELi16ELi16ELi64ELi64ELi4ELi64ELi4ELi4ELi64ELc67ELc67EKPKS2_S5_KPS2_EEvlllT_PT11_llSA_llS8_PT12_llPT13_lli.has_indirect_call, 0
	.section	.AMDGPU.csdata,"",@progbits
; Kernel info:
; codeLenInByte = 5220
; TotalNumSgprs: 48
; NumVgprs: 108
; NumAgprs: 0
; TotalNumVgprs: 108
; ScratchSize: 0
; MemoryBound: 0
; FloatMode: 240
; IeeeMode: 1
; LDSByteSize: 4096 bytes/workgroup (compile time only)
; SGPRBlocks: 5
; VGPRBlocks: 13
; NumSGPRsForWavesPerEU: 48
; NumVGPRsForWavesPerEU: 108
; AccumOffset: 108
; Occupancy: 4
; WaveLimiterHint : 1
; COMPUTE_PGM_RSRC2:SCRATCH_EN: 0
; COMPUTE_PGM_RSRC2:USER_SGPR: 2
; COMPUTE_PGM_RSRC2:TRAP_HANDLER: 0
; COMPUTE_PGM_RSRC2:TGID_X_EN: 1
; COMPUTE_PGM_RSRC2:TGID_Y_EN: 1
; COMPUTE_PGM_RSRC2:TGID_Z_EN: 1
; COMPUTE_PGM_RSRC2:TIDIG_COMP_CNT: 1
; COMPUTE_PGM_RSRC3_GFX90A:ACCUM_OFFSET: 26
; COMPUTE_PGM_RSRC3_GFX90A:TG_SPLIT: 0
	.section	.text._ZN12_GLOBAL__N_127rocblas_gemm_batched_kernelI19rocblas_complex_numIfELi16ELi16ELi64ELi64ELi4ELi64ELi4ELi4ELi64ELc67ELc78EKPKS2_S5_KPS2_EEvlllT_PT11_llSA_llS8_PT12_llPT13_lli,"axG",@progbits,_ZN12_GLOBAL__N_127rocblas_gemm_batched_kernelI19rocblas_complex_numIfELi16ELi16ELi64ELi64ELi4ELi64ELi4ELi4ELi64ELc67ELc78EKPKS2_S5_KPS2_EEvlllT_PT11_llSA_llS8_PT12_llPT13_lli,comdat
	.globl	_ZN12_GLOBAL__N_127rocblas_gemm_batched_kernelI19rocblas_complex_numIfELi16ELi16ELi64ELi64ELi4ELi64ELi4ELi4ELi64ELc67ELc78EKPKS2_S5_KPS2_EEvlllT_PT11_llSA_llS8_PT12_llPT13_lli ; -- Begin function _ZN12_GLOBAL__N_127rocblas_gemm_batched_kernelI19rocblas_complex_numIfELi16ELi16ELi64ELi64ELi4ELi64ELi4ELi4ELi64ELc67ELc78EKPKS2_S5_KPS2_EEvlllT_PT11_llSA_llS8_PT12_llPT13_lli
	.p2align	8
	.type	_ZN12_GLOBAL__N_127rocblas_gemm_batched_kernelI19rocblas_complex_numIfELi16ELi16ELi64ELi64ELi4ELi64ELi4ELi4ELi64ELc67ELc78EKPKS2_S5_KPS2_EEvlllT_PT11_llSA_llS8_PT12_llPT13_lli,@function
_ZN12_GLOBAL__N_127rocblas_gemm_batched_kernelI19rocblas_complex_numIfELi16ELi16ELi64ELi64ELi4ELi64ELi4ELi4ELi64ELc67ELc78EKPKS2_S5_KPS2_EEvlllT_PT11_llSA_llS8_PT12_llPT13_lli: ; @_ZN12_GLOBAL__N_127rocblas_gemm_batched_kernelI19rocblas_complex_numIfELi16ELi16ELi64ELi64ELi4ELi64ELi4ELi4ELi64ELc67ELc78EKPKS2_S5_KPS2_EEvlllT_PT11_llSA_llS8_PT12_llPT13_lli
; %bb.0:
	s_load_dwordx16 s[8:23], s[0:1], 0x10
	s_load_dwordx4 s[36:39], s[0:1], 0x78
	s_load_dwordx8 s[24:31], s[0:1], 0x58
	s_load_dwordx2 s[6:7], s[0:1], 0x50
	s_mov_b32 s5, 0
	s_lshl_b64 s[34:35], s[4:5], 3
	s_mov_b32 s40, s3
	s_waitcnt lgkmcnt(0)
	s_add_u32 s0, s24, s34
	s_addc_u32 s1, s25, s35
	s_add_u32 s4, s30, s34
	s_addc_u32 s5, s31, s35
	s_load_dwordx2 s[0:1], s[0:1], 0x0
	v_mov_b32_e32 v39, 0
	s_load_dwordx2 s[4:5], s[4:5], 0x0
	s_ashr_i32 s3, s2, 31
	s_ashr_i32 s41, s40, 31
	v_cmp_lt_i64_e64 s[30:31], s[8:9], 1
	v_bfe_u32 v38, v0, 10, 10
	v_and_b32_e32 v36, 0x3ff, v0
	v_mov_b32_e32 v37, v39
	s_lshl_b64 s[2:3], s[2:3], 6
	s_lshl_b64 s[24:25], s[40:41], 6
	s_and_b64 vcc, exec, s[30:31]
	v_mov_b32_e32 v59, v39
	v_mov_b32_e32 v58, v39
	;; [unrolled: 1-line block ×32, first 2 shown]
	s_cbranch_vccnz .LBB239_3
; %bb.1:
	v_lshl_add_u32 v4, v38, 4, v36
	v_and_b32_e32 v2, 63, v4
	v_lshrrev_b32_e32 v40, 2, v4
	v_and_b32_e32 v5, 3, v36
	v_lshrrev_b32_e32 v6, 6, v4
	v_lshlrev_b32_e32 v4, 3, v2
	s_add_u32 s12, s12, s34
	v_mov_b32_e32 v41, 0
	v_lshl_or_b32 v43, v6, 9, v4
	v_lshlrev_b32_e32 v4, 3, v5
	s_addc_u32 s13, s13, s35
	v_mov_b32_e32 v3, v41
	v_lshl_or_b32 v5, v40, 5, v4
	s_load_dwordx2 s[12:13], s[12:13], 0x0
	v_add_u32_e32 v45, 0x800, v5
	v_mov_b32_e32 v5, 0x800
	v_lshl_add_u64 v[2:3], s[2:3], 0, v[2:3]
	s_add_u32 s18, s18, s34
	v_lshl_add_u32 v51, v38, 5, v5
	v_mul_lo_u32 v5, s15, v2
	v_mul_lo_u32 v7, s14, v3
	v_mad_u64_u32 v[2:3], s[14:15], s14, v2, 0
	s_addc_u32 s19, s19, s35
	v_add3_u32 v3, v3, v7, v5
	s_lshl_b64 s[14:15], s[16:17], 3
	v_lshl_add_u64 v[0:1], v[40:41], 0, s[24:25]
	v_lshl_add_u64 v[2:3], v[2:3], 3, s[14:15]
	v_lshlrev_b32_e32 v40, 3, v6
	s_load_dwordx2 s[18:19], s[18:19], 0x0
	v_lshl_add_u64 v[2:3], v[2:3], 0, v[40:41]
	s_waitcnt lgkmcnt(0)
	v_lshl_add_u64 v[46:47], s[12:13], 0, v[2:3]
	v_mul_lo_u32 v2, s21, v0
	v_mul_lo_u32 v3, s20, v1
	v_mad_u64_u32 v[0:1], s[12:13], s20, v0, 0
	v_add3_u32 v1, v1, v3, v2
	s_lshl_b64 s[12:13], s[22:23], 3
	v_lshl_add_u64 v[0:1], v[0:1], 3, s[12:13]
	v_mov_b32_e32 v5, v41
	v_lshl_add_u64 v[0:1], v[0:1], 0, v[4:5]
	v_lshlrev_b32_e32 v49, 3, v36
	v_lshl_add_u64 v[52:53], s[18:19], 0, v[0:1]
	s_mov_b64 s[12:13], 0
	v_mov_b64_e32 v[54:55], s[8:9]
	v_mov_b32_e32 v40, v41
	v_mov_b32_e32 v44, v41
	;; [unrolled: 1-line block ×31, first 2 shown]
.LBB239_2:                              ; =>This Inner Loop Header: Depth=1
	flat_load_dwordx2 v[0:1], v[46:47]
	s_add_u32 s12, s12, 4
	s_addc_u32 s13, s13, 0
	v_cmp_lt_i64_e32 vcc, s[12:13], v[54:55]
	v_lshl_add_u64 v[46:47], v[46:47], 0, 32
	s_and_b64 vcc, exec, vcc
	s_waitcnt vmcnt(0) lgkmcnt(0)
	v_xor_b32_e32 v1, 0x80000000, v1
	ds_write_b64 v43, v[0:1]
	flat_load_dwordx2 v[0:1], v[52:53]
	v_lshl_add_u64 v[52:53], v[52:53], 0, 32
	s_waitcnt vmcnt(0) lgkmcnt(0)
	ds_write_b64 v45, v[0:1]
	s_waitcnt lgkmcnt(0)
	s_barrier
	ds_read_b128 v[0:3], v51
	ds_read_b128 v[32:35], v51 offset:16
	ds_read2_b64 v[8:11], v49 offset1:16
	ds_read2_b64 v[12:15], v49 offset0:32 offset1:48
	s_waitcnt lgkmcnt(1)
	v_mul_f32_e32 v4, v1, v9
	v_fma_f32 v4, v0, v8, -v4
	v_mul_f32_e32 v5, v0, v9
	v_add_f32_e32 v20, v102, v4
	v_mul_f32_e32 v4, v1, v11
	v_fmac_f32_e32 v5, v1, v8
	v_fma_f32 v4, v0, v10, -v4
	v_add_f32_e32 v21, v104, v5
	v_mul_f32_e32 v5, v0, v11
	v_add_f32_e32 v22, v98, v4
	s_waitcnt lgkmcnt(0)
	v_mul_f32_e32 v4, v1, v13
	v_fmac_f32_e32 v5, v1, v10
	v_fma_f32 v4, v0, v12, -v4
	v_add_f32_e32 v23, v100, v5
	v_mul_f32_e32 v5, v0, v13
	v_add_f32_e32 v57, v94, v4
	v_mul_f32_e32 v4, v1, v15
	v_fmac_f32_e32 v5, v1, v12
	v_fma_f32 v4, v0, v14, -v4
	v_mul_f32_e32 v0, v0, v15
	v_add_f32_e32 v61, v96, v5
	v_fmac_f32_e32 v0, v1, v14
	v_add_f32_e32 v1, v90, v4
	ds_read_b128 v[4:7], v51 offset:512
	ds_read_b128 v[104:107], v51 offset:1040
	v_add_f32_e32 v0, v92, v0
	s_waitcnt lgkmcnt(1)
	v_mul_f32_e32 v16, v5, v9
	v_fma_f32 v16, v4, v8, -v16
	v_mul_f32_e32 v17, v4, v9
	v_add_f32_e32 v63, v86, v16
	v_mul_f32_e32 v16, v5, v11
	v_fmac_f32_e32 v17, v5, v8
	v_fma_f32 v16, v4, v10, -v16
	v_add_f32_e32 v65, v88, v17
	v_mul_f32_e32 v17, v4, v11
	v_add_f32_e32 v67, v82, v16
	v_mul_f32_e32 v16, v5, v13
	v_fmac_f32_e32 v17, v5, v10
	v_fma_f32 v16, v4, v12, -v16
	v_add_f32_e32 v69, v84, v17
	v_mul_f32_e32 v17, v4, v13
	v_add_f32_e32 v71, v78, v16
	v_mul_f32_e32 v16, v5, v15
	v_fmac_f32_e32 v17, v5, v12
	v_fma_f32 v16, v4, v14, -v16
	v_mul_f32_e32 v4, v4, v15
	v_add_f32_e32 v73, v80, v17
	v_fmac_f32_e32 v4, v5, v14
	v_add_f32_e32 v5, v74, v16
	ds_read_b128 v[16:19], v51 offset:1024
	v_add_f32_e32 v4, v76, v4
	s_waitcnt lgkmcnt(0)
	v_mul_f32_e32 v24, v17, v9
	v_fma_f32 v24, v16, v8, -v24
	v_mul_f32_e32 v25, v16, v9
	v_add_f32_e32 v70, v70, v24
	v_mul_f32_e32 v24, v17, v11
	v_fmac_f32_e32 v25, v17, v8
	v_fma_f32 v24, v16, v10, -v24
	v_add_f32_e32 v72, v72, v25
	v_mul_f32_e32 v25, v16, v11
	v_add_f32_e32 v66, v66, v24
	v_mul_f32_e32 v24, v17, v13
	v_fmac_f32_e32 v25, v17, v10
	v_fma_f32 v24, v16, v12, -v24
	v_add_f32_e32 v68, v68, v25
	v_mul_f32_e32 v25, v16, v13
	v_add_f32_e32 v62, v62, v24
	v_mul_f32_e32 v24, v17, v15
	v_fmac_f32_e32 v25, v17, v12
	v_fma_f32 v24, v16, v14, -v24
	v_mul_f32_e32 v16, v16, v15
	v_add_f32_e32 v64, v64, v25
	v_fmac_f32_e32 v16, v17, v14
	v_add_f32_e32 v17, v56, v24
	ds_read2_b64 v[24:27], v49 offset0:64 offset1:80
	v_add_f32_e32 v16, v60, v16
	s_waitcnt lgkmcnt(0)
	v_mul_f32_e32 v28, v3, v25
	v_mul_f32_e32 v29, v2, v25
	v_fma_f32 v28, v2, v24, -v28
	v_fmac_f32_e32 v29, v3, v24
	v_add_f32_e32 v20, v20, v28
	v_add_f32_e32 v21, v21, v29
	v_mul_f32_e32 v28, v3, v27
	v_mul_f32_e32 v29, v2, v27
	v_fma_f32 v28, v2, v26, -v28
	v_fmac_f32_e32 v29, v3, v26
	v_add_f32_e32 v22, v22, v28
	v_add_f32_e32 v23, v23, v29
	ds_read2_b64 v[28:31], v49 offset0:96 offset1:112
	s_waitcnt lgkmcnt(0)
	v_mul_f32_e32 v56, v3, v29
	v_mul_f32_e32 v60, v2, v29
	v_fma_f32 v56, v2, v28, -v56
	v_fmac_f32_e32 v60, v3, v28
	v_add_f32_e32 v56, v57, v56
	v_add_f32_e32 v57, v61, v60
	v_mul_f32_e32 v60, v3, v31
	v_fma_f32 v60, v2, v30, -v60
	v_mul_f32_e32 v2, v2, v31
	v_fmac_f32_e32 v2, v3, v30
	v_add_f32_e32 v60, v1, v60
	v_add_f32_e32 v61, v0, v2
	v_mul_f32_e32 v0, v7, v25
	v_mul_f32_e32 v1, v6, v25
	v_fma_f32 v0, v6, v24, -v0
	v_fmac_f32_e32 v1, v7, v24
	v_add_f32_e32 v74, v63, v0
	v_add_f32_e32 v65, v65, v1
	v_mul_f32_e32 v0, v7, v27
	v_mul_f32_e32 v1, v6, v27
	v_fma_f32 v0, v6, v26, -v0
	v_fmac_f32_e32 v1, v7, v26
	v_add_f32_e32 v67, v67, v0
	v_add_f32_e32 v69, v69, v1
	v_mul_f32_e32 v0, v7, v29
	v_mul_f32_e32 v1, v6, v29
	v_fma_f32 v0, v6, v28, -v0
	v_fmac_f32_e32 v1, v7, v28
	v_add_f32_e32 v71, v71, v0
	v_add_f32_e32 v73, v73, v1
	v_mul_f32_e32 v0, v7, v31
	v_mul_f32_e32 v1, v6, v31
	v_fma_f32 v0, v6, v30, -v0
	v_fmac_f32_e32 v1, v7, v30
	v_add_f32_e32 v75, v5, v0
	v_add_f32_e32 v76, v4, v1
	v_mul_f32_e32 v0, v19, v25
	v_mul_f32_e32 v1, v18, v25
	v_fma_f32 v0, v18, v24, -v0
	v_fmac_f32_e32 v1, v19, v24
	v_add_f32_e32 v70, v70, v0
	v_add_f32_e32 v72, v72, v1
	v_mul_f32_e32 v0, v19, v27
	v_mul_f32_e32 v1, v18, v27
	v_fma_f32 v0, v18, v26, -v0
	v_fmac_f32_e32 v1, v19, v26
	ds_read2_b64 v[4:7], v49 offset0:128 offset1:144
	v_add_f32_e32 v66, v66, v0
	v_add_f32_e32 v68, v68, v1
	v_mul_f32_e32 v0, v19, v29
	v_mul_f32_e32 v1, v18, v29
	v_fma_f32 v0, v18, v28, -v0
	v_fmac_f32_e32 v1, v19, v28
	v_add_f32_e32 v77, v62, v0
	v_add_f32_e32 v64, v64, v1
	v_mul_f32_e32 v0, v19, v31
	v_mul_f32_e32 v1, v18, v31
	v_fma_f32 v0, v18, v30, -v0
	v_fmac_f32_e32 v1, v19, v30
	v_add_f32_e32 v17, v17, v0
	v_add_f32_e32 v16, v16, v1
	s_waitcnt lgkmcnt(0)
	v_mul_f32_e32 v0, v33, v5
	v_mul_f32_e32 v1, v32, v5
	v_fma_f32 v0, v32, v4, -v0
	v_fmac_f32_e32 v1, v33, v4
	v_add_f32_e32 v18, v20, v0
	v_add_f32_e32 v19, v21, v1
	v_mul_f32_e32 v0, v33, v7
	v_mul_f32_e32 v1, v32, v7
	v_fma_f32 v0, v32, v6, -v0
	v_fmac_f32_e32 v1, v33, v6
	v_add_f32_e32 v78, v22, v0
	v_add_f32_e32 v79, v23, v1
	ds_read2_b64 v[0:3], v49 offset0:160 offset1:176
	s_waitcnt lgkmcnt(0)
	v_mul_f32_e32 v20, v33, v1
	v_mul_f32_e32 v21, v32, v1
	v_fma_f32 v20, v32, v0, -v20
	v_fmac_f32_e32 v21, v33, v0
	v_add_f32_e32 v56, v56, v20
	v_add_f32_e32 v57, v57, v21
	v_mul_f32_e32 v20, v33, v3
	v_mul_f32_e32 v21, v32, v3
	v_fma_f32 v20, v32, v2, -v20
	v_fmac_f32_e32 v21, v33, v2
	v_add_f32_e32 v32, v60, v20
	v_add_f32_e32 v33, v61, v21
	ds_read_b128 v[60:63], v51 offset:528
	s_waitcnt lgkmcnt(0)
	v_mul_f32_e32 v20, v61, v5
	v_mul_f32_e32 v21, v60, v5
	v_fma_f32 v20, v60, v4, -v20
	v_fmac_f32_e32 v21, v61, v4
	v_add_f32_e32 v74, v74, v20
	v_add_f32_e32 v65, v65, v21
	v_mul_f32_e32 v20, v61, v7
	v_mul_f32_e32 v21, v60, v7
	v_fma_f32 v20, v60, v6, -v20
	v_fmac_f32_e32 v21, v61, v6
	v_add_f32_e32 v67, v67, v20
	v_add_f32_e32 v69, v69, v21
	;; [unrolled: 6-line block ×8, first 2 shown]
	ds_read2_b64 v[20:23], v49 offset0:192 offset1:208
	s_waitcnt lgkmcnt(0)
	v_mul_f32_e32 v16, v35, v21
	v_mul_f32_e32 v17, v34, v21
	v_fma_f32 v16, v34, v20, -v16
	v_fmac_f32_e32 v17, v35, v20
	v_add_f32_e32 v102, v18, v16
	v_add_f32_e32 v104, v19, v17
	v_mul_f32_e32 v16, v35, v23
	v_mul_f32_e32 v17, v34, v23
	v_fma_f32 v16, v34, v22, -v16
	v_fmac_f32_e32 v17, v35, v22
	v_add_f32_e32 v98, v78, v16
	v_add_f32_e32 v100, v79, v17
	ds_read2_b64 v[16:19], v49 offset0:224 offset1:240
	s_waitcnt lgkmcnt(0)
	v_mul_f32_e32 v76, v35, v17
	v_fma_f32 v76, v34, v16, -v76
	v_add_f32_e32 v94, v56, v76
	v_mul_f32_e32 v56, v35, v19
	v_mul_f32_e32 v78, v34, v17
	v_fma_f32 v56, v34, v18, -v56
	v_mul_f32_e32 v34, v34, v19
	v_fmac_f32_e32 v34, v35, v18
	v_add_f32_e32 v90, v32, v56
	v_add_f32_e32 v92, v33, v34
	v_mul_f32_e32 v32, v63, v21
	v_mul_f32_e32 v33, v62, v21
	v_fma_f32 v32, v62, v20, -v32
	v_fmac_f32_e32 v33, v63, v20
	v_add_f32_e32 v86, v74, v32
	v_add_f32_e32 v88, v65, v33
	v_mul_f32_e32 v32, v63, v23
	v_mul_f32_e32 v33, v62, v23
	v_fma_f32 v32, v62, v22, -v32
	v_fmac_f32_e32 v33, v63, v22
	v_add_f32_e32 v82, v67, v32
	v_add_f32_e32 v84, v69, v33
	v_mul_f32_e32 v32, v63, v17
	v_mul_f32_e32 v33, v62, v17
	v_fmac_f32_e32 v78, v35, v16
	v_fma_f32 v32, v62, v16, -v32
	v_fmac_f32_e32 v33, v63, v16
	v_add_f32_e32 v96, v57, v78
	v_add_f32_e32 v78, v71, v32
	;; [unrolled: 1-line block ×3, first 2 shown]
	v_mul_f32_e32 v32, v63, v19
	v_mul_f32_e32 v33, v62, v19
	v_fma_f32 v32, v62, v18, -v32
	v_fmac_f32_e32 v33, v63, v18
	v_add_f32_e32 v74, v60, v32
	v_add_f32_e32 v76, v61, v33
	v_mul_f32_e32 v32, v107, v21
	v_mul_f32_e32 v33, v106, v21
	v_fma_f32 v32, v106, v20, -v32
	v_fmac_f32_e32 v33, v107, v20
	v_add_f32_e32 v70, v70, v32
	v_add_f32_e32 v72, v72, v33
	;; [unrolled: 6-line block ×5, first 2 shown]
	ds_read_b128 v[32:35], v51 offset:1536
	s_waitcnt lgkmcnt(0)
	v_mul_f32_e32 v57, v33, v9
	v_mul_f32_e32 v9, v32, v9
	v_fmac_f32_e32 v9, v33, v8
	v_fma_f32 v57, v32, v8, -v57
	v_add_f32_e32 v50, v50, v9
	v_mul_f32_e32 v8, v33, v11
	v_mul_f32_e32 v9, v32, v11
	v_fma_f32 v8, v32, v10, -v8
	v_fmac_f32_e32 v9, v33, v10
	v_add_f32_e32 v42, v42, v8
	v_add_f32_e32 v44, v44, v9
	v_mul_f32_e32 v8, v33, v13
	v_mul_f32_e32 v9, v32, v13
	v_fma_f32 v8, v32, v12, -v8
	v_fmac_f32_e32 v9, v33, v12
	v_add_f32_e32 v12, v40, v8
	v_add_f32_e32 v13, v41, v9
	v_pk_mul_f32 v[8:9], v[32:33], v[14:15] op_sel:[1,1] op_sel_hi:[0,1]
	v_pk_fma_f32 v[10:11], v[32:33], v[14:15], v[8:9] neg_lo:[0,0,1] neg_hi:[0,0,1]
	v_pk_fma_f32 v[8:9], v[32:33], v[14:15], v[8:9] op_sel_hi:[1,0,1]
	v_add_f32_e32 v48, v48, v57
	v_mov_b32_e32 v11, v9
	v_pk_add_f32 v[8:9], v[58:59], v[10:11]
	v_mul_f32_e32 v10, v35, v25
	v_mul_f32_e32 v11, v34, v25
	v_fma_f32 v10, v34, v24, -v10
	v_fmac_f32_e32 v11, v35, v24
	v_add_f32_e32 v32, v48, v10
	v_add_f32_e32 v33, v50, v11
	v_mul_f32_e32 v10, v35, v27
	v_mul_f32_e32 v11, v34, v27
	v_fma_f32 v10, v34, v26, -v10
	v_fmac_f32_e32 v11, v35, v26
	v_add_f32_e32 v24, v42, v10
	v_add_f32_e32 v25, v44, v11
	;; [unrolled: 6-line block ×3, first 2 shown]
	v_pk_mul_f32 v[10:11], v[34:35], v[30:31] op_sel:[1,1] op_sel_hi:[0,1]
	v_pk_fma_f32 v[12:13], v[34:35], v[30:31], v[10:11] neg_lo:[0,0,1] neg_hi:[0,0,1]
	v_pk_fma_f32 v[10:11], v[34:35], v[30:31], v[10:11] op_sel_hi:[1,0,1]
	s_nop 0
	v_mov_b32_e32 v13, v11
	v_pk_add_f32 v[12:13], v[8:9], v[12:13]
	ds_read_b128 v[8:11], v51 offset:1552
	s_waitcnt lgkmcnt(0)
	s_barrier
	v_mul_f32_e32 v26, v9, v5
	v_mul_f32_e32 v5, v8, v5
	v_fma_f32 v26, v8, v4, -v26
	v_fmac_f32_e32 v5, v9, v4
	v_mul_f32_e32 v4, v9, v7
	v_add_f32_e32 v27, v33, v5
	v_fma_f32 v4, v8, v6, -v4
	v_mul_f32_e32 v5, v8, v7
	v_fmac_f32_e32 v5, v9, v6
	v_add_f32_e32 v6, v24, v4
	v_mul_f32_e32 v4, v9, v1
	v_mul_f32_e32 v1, v8, v1
	v_fmac_f32_e32 v1, v9, v0
	v_fma_f32 v4, v8, v0, -v4
	v_add_f32_e32 v15, v15, v1
	v_pk_mul_f32 v[0:1], v[8:9], v[2:3] op_sel:[1,1] op_sel_hi:[0,1]
	v_add_f32_e32 v7, v25, v5
	v_add_f32_e32 v14, v14, v4
	v_pk_fma_f32 v[4:5], v[8:9], v[2:3], v[0:1] neg_lo:[0,0,1] neg_hi:[0,0,1]
	v_pk_fma_f32 v[0:1], v[8:9], v[2:3], v[0:1] op_sel_hi:[1,0,1]
	v_mul_f32_e32 v2, v11, v21
	v_mul_f32_e32 v3, v10, v21
	v_add_f32_e32 v26, v32, v26
	v_fma_f32 v2, v10, v20, -v2
	v_fmac_f32_e32 v3, v11, v20
	v_add_f32_e32 v48, v26, v2
	v_add_f32_e32 v50, v27, v3
	v_mul_f32_e32 v2, v11, v23
	v_mul_f32_e32 v3, v10, v23
	v_fma_f32 v2, v10, v22, -v2
	v_fmac_f32_e32 v3, v11, v22
	v_add_f32_e32 v42, v6, v2
	v_add_f32_e32 v44, v7, v3
	v_mul_f32_e32 v2, v11, v17
	v_mul_f32_e32 v3, v10, v17
	v_fma_f32 v2, v10, v16, -v2
	v_fmac_f32_e32 v3, v11, v16
	v_mov_b32_e32 v5, v1
	v_add_f32_e32 v40, v14, v2
	v_add_f32_e32 v41, v15, v3
	v_pk_mul_f32 v[2:3], v[10:11], v[18:19] op_sel:[1,1] op_sel_hi:[0,1]
	v_pk_add_f32 v[0:1], v[12:13], v[4:5]
	v_pk_fma_f32 v[4:5], v[10:11], v[18:19], v[2:3] neg_lo:[0,0,1] neg_hi:[0,0,1]
	v_pk_fma_f32 v[2:3], v[10:11], v[18:19], v[2:3] op_sel_hi:[1,0,1]
	s_nop 0
	v_mov_b32_e32 v5, v3
	v_pk_add_f32 v[58:59], v[0:1], v[4:5]
	s_cbranch_vccnz .LBB239_2
.LBB239_3:
	s_lshl_b64 s[8:9], s[38:39], 3
	s_waitcnt lgkmcnt(0)
	s_add_u32 s4, s4, s8
	s_addc_u32 s5, s5, s9
	s_or_b32 s8, s6, s7
	s_bitset0_b32 s8, 31
	v_lshl_add_u64 v[2:3], s[24:25], 0, v[38:39]
	s_cmp_lg_u32 s8, 0
	v_lshl_add_u64 v[0:1], s[2:3], 0, v[36:37]
	s_mov_b32 s2, s11
	s_mov_b32 s3, s10
	s_cbranch_scc1 .LBB239_5
; %bb.4:
	v_mul_lo_u32 v6, v3, s36
	v_mul_lo_u32 v7, v2, s37
	v_mad_u64_u32 v[4:5], s[8:9], v2, s36, 0
	v_add3_u32 v5, v5, v7, v6
	v_pk_mul_f32 v[6:7], v[104:105], s[2:3] op_sel_hi:[0,1]
	v_lshl_add_u64 v[4:5], v[4:5], 3, s[4:5]
	v_lshlrev_b64 v[8:9], 3, v[0:1]
	v_pk_fma_f32 v[12:13], v[102:103], s[2:3], v[6:7] op_sel:[0,1,0] op_sel_hi:[1,0,1] neg_lo:[0,0,1] neg_hi:[0,0,1]
	v_pk_fma_f32 v[6:7], v[102:103], s[2:3], v[6:7] op_sel:[0,1,0] op_sel_hi:[0,0,1]
	v_lshl_add_u64 v[10:11], v[4:5], 0, v[8:9]
	v_mov_b32_e32 v13, v7
	v_pk_mul_f32 v[6:7], v[100:101], s[2:3] op_sel_hi:[0,1]
	flat_store_dwordx2 v[10:11], v[12:13]
	v_pk_fma_f32 v[12:13], v[98:99], s[2:3], v[6:7] op_sel:[0,1,0] op_sel_hi:[1,0,1] neg_lo:[0,0,1] neg_hi:[0,0,1]
	v_pk_fma_f32 v[6:7], v[98:99], s[2:3], v[6:7] op_sel:[0,1,0] op_sel_hi:[0,0,1]
	v_mov_b32_e32 v13, v7
	v_pk_mul_f32 v[6:7], v[96:97], s[2:3] op_sel_hi:[0,1]
	flat_store_dwordx2 v[10:11], v[12:13] offset:128
	v_pk_fma_f32 v[12:13], v[94:95], s[2:3], v[6:7] op_sel:[0,1,0] op_sel_hi:[1,0,1] neg_lo:[0,0,1] neg_hi:[0,0,1]
	v_pk_fma_f32 v[6:7], v[94:95], s[2:3], v[6:7] op_sel:[0,1,0] op_sel_hi:[0,0,1]
	v_mov_b32_e32 v13, v7
	v_pk_mul_f32 v[6:7], v[92:93], s[2:3] op_sel_hi:[0,1]
	flat_store_dwordx2 v[10:11], v[12:13] offset:256
	v_pk_fma_f32 v[12:13], v[90:91], s[2:3], v[6:7] op_sel:[0,1,0] op_sel_hi:[1,0,1] neg_lo:[0,0,1] neg_hi:[0,0,1]
	v_pk_fma_f32 v[6:7], v[90:91], s[2:3], v[6:7] op_sel:[0,1,0] op_sel_hi:[0,0,1]
	v_mov_b32_e32 v13, v7
	s_lshl_b64 s[8:9], s[36:37], 7
	v_pk_mul_f32 v[6:7], v[88:89], s[2:3] op_sel_hi:[0,1]
	flat_store_dwordx2 v[10:11], v[12:13] offset:384
	v_lshl_add_u64 v[4:5], v[4:5], 0, s[8:9]
	v_pk_fma_f32 v[12:13], v[86:87], s[2:3], v[6:7] op_sel:[0,1,0] op_sel_hi:[1,0,1] neg_lo:[0,0,1] neg_hi:[0,0,1]
	v_pk_fma_f32 v[6:7], v[86:87], s[2:3], v[6:7] op_sel:[0,1,0] op_sel_hi:[0,0,1]
	v_lshl_add_u64 v[10:11], v[4:5], 0, v[8:9]
	v_mov_b32_e32 v13, v7
	v_pk_mul_f32 v[6:7], v[84:85], s[2:3] op_sel_hi:[0,1]
	flat_store_dwordx2 v[10:11], v[12:13]
	v_pk_fma_f32 v[12:13], v[82:83], s[2:3], v[6:7] op_sel:[0,1,0] op_sel_hi:[1,0,1] neg_lo:[0,0,1] neg_hi:[0,0,1]
	v_pk_fma_f32 v[6:7], v[82:83], s[2:3], v[6:7] op_sel:[0,1,0] op_sel_hi:[0,0,1]
	v_mov_b32_e32 v13, v7
	v_pk_mul_f32 v[6:7], v[80:81], s[2:3] op_sel_hi:[0,1]
	flat_store_dwordx2 v[10:11], v[12:13] offset:128
	v_pk_fma_f32 v[12:13], v[78:79], s[2:3], v[6:7] op_sel:[0,1,0] op_sel_hi:[1,0,1] neg_lo:[0,0,1] neg_hi:[0,0,1]
	v_pk_fma_f32 v[6:7], v[78:79], s[2:3], v[6:7] op_sel:[0,1,0] op_sel_hi:[0,0,1]
	v_mov_b32_e32 v13, v7
	v_pk_mul_f32 v[6:7], v[76:77], s[2:3] op_sel_hi:[0,1]
	flat_store_dwordx2 v[10:11], v[12:13] offset:256
	;; [unrolled: 5-line block ×3, first 2 shown]
	v_lshl_add_u64 v[4:5], v[4:5], 0, s[8:9]
	v_pk_fma_f32 v[12:13], v[70:71], s[2:3], v[6:7] op_sel:[0,1,0] op_sel_hi:[1,0,1] neg_lo:[0,0,1] neg_hi:[0,0,1]
	v_pk_fma_f32 v[6:7], v[70:71], s[2:3], v[6:7] op_sel:[0,1,0] op_sel_hi:[0,0,1]
	v_lshl_add_u64 v[10:11], v[4:5], 0, v[8:9]
	v_mov_b32_e32 v13, v7
	v_pk_mul_f32 v[6:7], v[68:69], s[2:3] op_sel_hi:[0,1]
	flat_store_dwordx2 v[10:11], v[12:13]
	v_pk_fma_f32 v[12:13], v[66:67], s[2:3], v[6:7] op_sel:[0,1,0] op_sel_hi:[1,0,1] neg_lo:[0,0,1] neg_hi:[0,0,1]
	v_pk_fma_f32 v[6:7], v[66:67], s[2:3], v[6:7] op_sel:[0,1,0] op_sel_hi:[0,0,1]
	v_mov_b32_e32 v13, v7
	v_pk_mul_f32 v[6:7], v[64:65], s[2:3] op_sel_hi:[0,1]
	flat_store_dwordx2 v[10:11], v[12:13] offset:128
	v_pk_fma_f32 v[12:13], v[62:63], s[2:3], v[6:7] op_sel:[0,1,0] op_sel_hi:[1,0,1] neg_lo:[0,0,1] neg_hi:[0,0,1]
	v_pk_fma_f32 v[6:7], v[62:63], s[2:3], v[6:7] op_sel:[0,1,0] op_sel_hi:[0,0,1]
	v_mov_b32_e32 v13, v7
	v_pk_mul_f32 v[6:7], v[60:61], s[2:3] op_sel_hi:[0,1]
	flat_store_dwordx2 v[10:11], v[12:13] offset:256
	v_pk_fma_f32 v[12:13], v[56:57], s[2:3], v[6:7] op_sel:[0,1,0] op_sel_hi:[1,0,1] neg_lo:[0,0,1] neg_hi:[0,0,1]
	v_pk_fma_f32 v[6:7], v[56:57], s[2:3], v[6:7] op_sel:[0,1,0] op_sel_hi:[0,0,1]
	v_mov_b32_e32 v13, v7
	v_lshl_add_u64 v[4:5], v[4:5], 0, s[8:9]
	v_pk_mul_f32 v[6:7], v[50:51], s[2:3] op_sel_hi:[0,1]
	v_lshl_add_u64 v[8:9], v[4:5], 0, v[8:9]
	v_pk_fma_f32 v[4:5], v[48:49], s[2:3], v[6:7] op_sel:[0,1,0] op_sel_hi:[1,0,1] neg_lo:[0,0,1] neg_hi:[0,0,1]
	v_pk_fma_f32 v[6:7], v[48:49], s[2:3], v[6:7] op_sel:[0,1,0] op_sel_hi:[0,0,1]
	v_mov_b32_e32 v5, v7
	flat_store_dwordx2 v[10:11], v[12:13] offset:384
	flat_store_dwordx2 v[8:9], v[4:5]
	v_pk_mul_f32 v[4:5], v[44:45], s[2:3] op_sel_hi:[0,1]
	v_pk_fma_f32 v[6:7], v[42:43], s[2:3], v[4:5] op_sel:[0,1,0] op_sel_hi:[1,0,1] neg_lo:[0,0,1] neg_hi:[0,0,1]
	v_pk_fma_f32 v[4:5], v[42:43], s[2:3], v[4:5] op_sel:[0,1,0] op_sel_hi:[0,0,1]
	v_mov_b32_e32 v4, v41
	v_mov_b32_e32 v7, v5
	v_pk_mul_f32 v[4:5], v[4:5], s[2:3] op_sel_hi:[0,1]
	flat_store_dwordx2 v[8:9], v[6:7] offset:128
	v_pk_fma_f32 v[6:7], v[40:41], s[2:3], v[4:5] op_sel:[0,1,0] op_sel_hi:[1,0,1] neg_lo:[0,0,1] neg_hi:[0,0,1]
	v_pk_fma_f32 v[4:5], v[40:41], s[2:3], v[4:5] op_sel:[0,1,0] op_sel_hi:[0,0,1]
	v_mov_b32_e32 v7, v5
	v_mul_f32_e32 v4, s3, v58
	flat_store_dwordx2 v[8:9], v[6:7] offset:256
	v_fma_f32 v7, -v59, s2, v4
	v_pk_mul_f32 v[4:5], v[58:59], s[2:3]
	s_mov_b64 s[8:9], 0x180
	v_add_f32_e32 v6, v4, v5
	v_lshl_add_u64 v[4:5], v[8:9], 0, s[8:9]
	flat_store_dword v[8:9], v7 offset:384
	s_cbranch_execz .LBB239_6
	s_branch .LBB239_7
.LBB239_5:
                                        ; implicit-def: $vgpr6
                                        ; implicit-def: $vgpr4_vgpr5
.LBB239_6:
	s_lshl_b64 s[8:9], s[28:29], 3
	s_add_u32 s0, s0, s8
	s_addc_u32 s1, s1, s9
	v_mul_lo_u32 v6, v3, s26
	v_mul_lo_u32 v7, v2, s27
	v_mad_u64_u32 v[4:5], s[8:9], v2, s26, 0
	v_add3_u32 v5, v5, v7, v6
	v_lshl_add_u64 v[4:5], v[4:5], 3, s[0:1]
	v_lshlrev_b64 v[0:1], 3, v[0:1]
	v_lshl_add_u64 v[6:7], v[4:5], 0, v[0:1]
	flat_load_dwordx2 v[8:9], v[6:7]
	v_mul_lo_u32 v12, v3, s36
	v_mul_lo_u32 v13, v2, s37
	v_mad_u64_u32 v[2:3], s[0:1], v2, s36, 0
	s_mov_b32 s0, s7
	v_pk_mul_f32 v[10:11], v[104:105], s[2:3] op_sel_hi:[0,1]
	v_add3_u32 v3, v3, v13, v12
	v_pk_fma_f32 v[12:13], v[102:103], s[2:3], v[10:11] op_sel:[0,1,0] op_sel_hi:[1,0,1] neg_lo:[0,0,1] neg_hi:[0,0,1]
	v_pk_fma_f32 v[10:11], v[102:103], s[2:3], v[10:11] op_sel:[0,1,0] op_sel_hi:[0,0,1]
	v_lshl_add_u64 v[2:3], v[2:3], 3, s[4:5]
	v_mov_b32_e32 v13, v11
	v_lshl_add_u64 v[10:11], v[2:3], 0, v[0:1]
	s_lshl_b64 s[4:5], s[26:27], 7
	v_lshl_add_u64 v[4:5], v[4:5], 0, s[4:5]
	s_lshl_b64 s[8:9], s[36:37], 7
	v_lshl_add_u64 v[2:3], v[2:3], 0, s[8:9]
	s_mov_b32 s11, s6
	s_waitcnt vmcnt(0) lgkmcnt(0)
	v_pk_mul_f32 v[14:15], v[8:9], s[0:1] op_sel_hi:[1,0]
	s_nop 0
	v_pk_fma_f32 v[16:17], v[8:9], s[6:7], v[14:15] op_sel:[0,0,1] op_sel_hi:[1,1,0] neg_lo:[0,0,1] neg_hi:[0,0,1]
	v_pk_fma_f32 v[8:9], v[8:9], s[6:7], v[14:15] op_sel:[0,0,1] op_sel_hi:[1,0,0]
	s_nop 0
	v_mov_b32_e32 v17, v9
	v_pk_add_f32 v[8:9], v[12:13], v[16:17]
	flat_store_dwordx2 v[10:11], v[8:9]
	flat_load_dwordx2 v[8:9], v[6:7] offset:128
	v_pk_mul_f32 v[12:13], v[100:101], s[2:3] op_sel_hi:[0,1]
	v_pk_fma_f32 v[14:15], v[98:99], s[2:3], v[12:13] op_sel:[0,1,0] op_sel_hi:[1,0,1] neg_lo:[0,0,1] neg_hi:[0,0,1]
	v_pk_fma_f32 v[12:13], v[98:99], s[2:3], v[12:13] op_sel:[0,1,0] op_sel_hi:[0,0,1]
	v_mov_b32_e32 v15, v13
	s_waitcnt vmcnt(0) lgkmcnt(0)
	v_pk_mul_f32 v[12:13], v[8:9], s[0:1] op_sel_hi:[1,0]
	s_nop 0
	v_pk_fma_f32 v[16:17], v[8:9], s[6:7], v[12:13] op_sel:[0,0,1] op_sel_hi:[1,1,0] neg_lo:[0,0,1] neg_hi:[0,0,1]
	v_pk_fma_f32 v[8:9], v[8:9], s[6:7], v[12:13] op_sel:[0,0,1] op_sel_hi:[1,0,0]
	v_pk_mul_f32 v[12:13], v[96:97], s[2:3] op_sel_hi:[0,1]
	v_mov_b32_e32 v17, v9
	v_pk_add_f32 v[8:9], v[14:15], v[16:17]
	flat_store_dwordx2 v[10:11], v[8:9] offset:128
	flat_load_dwordx2 v[8:9], v[6:7] offset:256
	v_pk_fma_f32 v[14:15], v[94:95], s[2:3], v[12:13] op_sel:[0,1,0] op_sel_hi:[1,0,1] neg_lo:[0,0,1] neg_hi:[0,0,1]
	v_pk_fma_f32 v[12:13], v[94:95], s[2:3], v[12:13] op_sel:[0,1,0] op_sel_hi:[0,0,1]
	v_mov_b32_e32 v15, v13
	s_waitcnt vmcnt(0) lgkmcnt(0)
	v_pk_mul_f32 v[12:13], v[8:9], s[0:1] op_sel_hi:[1,0]
	s_nop 0
	v_pk_fma_f32 v[16:17], v[8:9], s[6:7], v[12:13] op_sel:[0,0,1] op_sel_hi:[1,1,0] neg_lo:[0,0,1] neg_hi:[0,0,1]
	v_pk_fma_f32 v[8:9], v[8:9], s[6:7], v[12:13] op_sel:[0,0,1] op_sel_hi:[1,0,0]
	s_nop 0
	v_mov_b32_e32 v17, v9
	v_pk_add_f32 v[8:9], v[14:15], v[16:17]
	flat_store_dwordx2 v[10:11], v[8:9] offset:256
	flat_load_dwordx2 v[6:7], v[6:7] offset:384
	v_pk_mul_f32 v[8:9], v[92:93], s[2:3] op_sel_hi:[0,1]
	v_pk_fma_f32 v[12:13], v[90:91], s[2:3], v[8:9] op_sel:[0,1,0] op_sel_hi:[1,0,1] neg_lo:[0,0,1] neg_hi:[0,0,1]
	v_pk_fma_f32 v[8:9], v[90:91], s[2:3], v[8:9] op_sel:[0,1,0] op_sel_hi:[0,0,1]
	v_mov_b32_e32 v13, v9
	v_lshl_add_u64 v[8:9], v[4:5], 0, v[0:1]
	v_lshl_add_u64 v[4:5], v[4:5], 0, s[4:5]
	s_waitcnt vmcnt(0) lgkmcnt(0)
	v_pk_mul_f32 v[14:15], v[6:7], s[0:1] op_sel_hi:[1,0]
	s_nop 0
	v_pk_fma_f32 v[16:17], v[6:7], s[6:7], v[14:15] op_sel:[0,0,1] op_sel_hi:[1,1,0] neg_lo:[0,0,1] neg_hi:[0,0,1]
	v_pk_fma_f32 v[6:7], v[6:7], s[6:7], v[14:15] op_sel:[0,0,1] op_sel_hi:[1,0,0]
	s_nop 0
	v_mov_b32_e32 v17, v7
	v_pk_add_f32 v[6:7], v[12:13], v[16:17]
	flat_store_dwordx2 v[10:11], v[6:7] offset:384
	flat_load_dwordx2 v[6:7], v[8:9]
	v_pk_mul_f32 v[10:11], v[88:89], s[2:3] op_sel_hi:[0,1]
	v_pk_fma_f32 v[12:13], v[86:87], s[2:3], v[10:11] op_sel:[0,1,0] op_sel_hi:[1,0,1] neg_lo:[0,0,1] neg_hi:[0,0,1]
	v_pk_fma_f32 v[10:11], v[86:87], s[2:3], v[10:11] op_sel:[0,1,0] op_sel_hi:[0,0,1]
	v_mov_b32_e32 v13, v11
	v_lshl_add_u64 v[10:11], v[2:3], 0, v[0:1]
	v_lshl_add_u64 v[2:3], v[2:3], 0, s[8:9]
	s_waitcnt vmcnt(0) lgkmcnt(0)
	v_pk_mul_f32 v[14:15], v[6:7], s[0:1] op_sel_hi:[1,0]
	s_nop 0
	v_pk_fma_f32 v[16:17], v[6:7], s[6:7], v[14:15] op_sel:[0,0,1] op_sel_hi:[1,1,0] neg_lo:[0,0,1] neg_hi:[0,0,1]
	v_pk_fma_f32 v[6:7], v[6:7], s[6:7], v[14:15] op_sel:[0,0,1] op_sel_hi:[1,0,0]
	s_nop 0
	v_mov_b32_e32 v17, v7
	v_pk_add_f32 v[6:7], v[12:13], v[16:17]
	flat_store_dwordx2 v[10:11], v[6:7]
	flat_load_dwordx2 v[6:7], v[8:9] offset:128
	v_pk_mul_f32 v[12:13], v[84:85], s[2:3] op_sel_hi:[0,1]
	v_pk_fma_f32 v[14:15], v[82:83], s[2:3], v[12:13] op_sel:[0,1,0] op_sel_hi:[1,0,1] neg_lo:[0,0,1] neg_hi:[0,0,1]
	v_pk_fma_f32 v[12:13], v[82:83], s[2:3], v[12:13] op_sel:[0,1,0] op_sel_hi:[0,0,1]
	v_mov_b32_e32 v15, v13
	s_waitcnt vmcnt(0) lgkmcnt(0)
	v_pk_mul_f32 v[12:13], v[6:7], s[0:1] op_sel_hi:[1,0]
	s_nop 0
	v_pk_fma_f32 v[16:17], v[6:7], s[6:7], v[12:13] op_sel:[0,0,1] op_sel_hi:[1,1,0] neg_lo:[0,0,1] neg_hi:[0,0,1]
	v_pk_fma_f32 v[6:7], v[6:7], s[6:7], v[12:13] op_sel:[0,0,1] op_sel_hi:[1,0,0]
	v_pk_mul_f32 v[12:13], v[80:81], s[2:3] op_sel_hi:[0,1]
	v_mov_b32_e32 v17, v7
	v_pk_add_f32 v[6:7], v[14:15], v[16:17]
	flat_store_dwordx2 v[10:11], v[6:7] offset:128
	flat_load_dwordx2 v[6:7], v[8:9] offset:256
	v_pk_fma_f32 v[14:15], v[78:79], s[2:3], v[12:13] op_sel:[0,1,0] op_sel_hi:[1,0,1] neg_lo:[0,0,1] neg_hi:[0,0,1]
	v_pk_fma_f32 v[12:13], v[78:79], s[2:3], v[12:13] op_sel:[0,1,0] op_sel_hi:[0,0,1]
	v_mov_b32_e32 v15, v13
	s_waitcnt vmcnt(0) lgkmcnt(0)
	v_pk_mul_f32 v[12:13], v[6:7], s[0:1] op_sel_hi:[1,0]
	s_nop 0
	v_pk_fma_f32 v[16:17], v[6:7], s[6:7], v[12:13] op_sel:[0,0,1] op_sel_hi:[1,1,0] neg_lo:[0,0,1] neg_hi:[0,0,1]
	v_pk_fma_f32 v[6:7], v[6:7], s[6:7], v[12:13] op_sel:[0,0,1] op_sel_hi:[1,0,0]
	s_nop 0
	v_mov_b32_e32 v17, v7
	v_pk_add_f32 v[6:7], v[14:15], v[16:17]
	flat_store_dwordx2 v[10:11], v[6:7] offset:256
	flat_load_dwordx2 v[6:7], v[8:9] offset:384
	v_pk_mul_f32 v[8:9], v[76:77], s[2:3] op_sel_hi:[0,1]
	v_pk_fma_f32 v[12:13], v[74:75], s[2:3], v[8:9] op_sel:[0,1,0] op_sel_hi:[1,0,1] neg_lo:[0,0,1] neg_hi:[0,0,1]
	v_pk_fma_f32 v[8:9], v[74:75], s[2:3], v[8:9] op_sel:[0,1,0] op_sel_hi:[0,0,1]
	v_mov_b32_e32 v13, v9
	v_lshl_add_u64 v[8:9], v[4:5], 0, v[0:1]
	v_lshl_add_u64 v[4:5], v[4:5], 0, s[4:5]
	;; [unrolled: 1-line block ×3, first 2 shown]
	s_waitcnt vmcnt(0) lgkmcnt(0)
	v_pk_mul_f32 v[14:15], v[6:7], s[0:1] op_sel_hi:[1,0]
	s_nop 0
	v_pk_fma_f32 v[16:17], v[6:7], s[6:7], v[14:15] op_sel:[0,0,1] op_sel_hi:[1,1,0] neg_lo:[0,0,1] neg_hi:[0,0,1]
	v_pk_fma_f32 v[6:7], v[6:7], s[6:7], v[14:15] op_sel:[0,0,1] op_sel_hi:[1,0,0]
	s_nop 0
	v_mov_b32_e32 v17, v7
	v_pk_add_f32 v[6:7], v[12:13], v[16:17]
	flat_store_dwordx2 v[10:11], v[6:7] offset:384
	flat_load_dwordx2 v[6:7], v[8:9]
	v_pk_mul_f32 v[10:11], v[72:73], s[2:3] op_sel_hi:[0,1]
	v_pk_fma_f32 v[12:13], v[70:71], s[2:3], v[10:11] op_sel:[0,1,0] op_sel_hi:[1,0,1] neg_lo:[0,0,1] neg_hi:[0,0,1]
	v_pk_fma_f32 v[10:11], v[70:71], s[2:3], v[10:11] op_sel:[0,1,0] op_sel_hi:[0,0,1]
	v_mov_b32_e32 v13, v11
	v_lshl_add_u64 v[10:11], v[2:3], 0, v[0:1]
	v_lshl_add_u64 v[2:3], v[2:3], 0, s[8:9]
	;; [unrolled: 1-line block ×3, first 2 shown]
	s_waitcnt vmcnt(0) lgkmcnt(0)
	v_pk_mul_f32 v[14:15], v[6:7], s[0:1] op_sel_hi:[1,0]
	s_nop 0
	v_pk_fma_f32 v[16:17], v[6:7], s[6:7], v[14:15] op_sel:[0,0,1] op_sel_hi:[1,1,0] neg_lo:[0,0,1] neg_hi:[0,0,1]
	v_pk_fma_f32 v[6:7], v[6:7], s[6:7], v[14:15] op_sel:[0,0,1] op_sel_hi:[1,0,0]
	s_nop 0
	v_mov_b32_e32 v17, v7
	v_pk_add_f32 v[6:7], v[12:13], v[16:17]
	flat_store_dwordx2 v[10:11], v[6:7]
	flat_load_dwordx2 v[6:7], v[8:9] offset:128
	v_pk_mul_f32 v[12:13], v[68:69], s[2:3] op_sel_hi:[0,1]
	v_pk_fma_f32 v[14:15], v[66:67], s[2:3], v[12:13] op_sel:[0,1,0] op_sel_hi:[1,0,1] neg_lo:[0,0,1] neg_hi:[0,0,1]
	v_pk_fma_f32 v[12:13], v[66:67], s[2:3], v[12:13] op_sel:[0,1,0] op_sel_hi:[0,0,1]
	v_mov_b32_e32 v15, v13
	s_waitcnt vmcnt(0) lgkmcnt(0)
	v_pk_mul_f32 v[12:13], v[6:7], s[0:1] op_sel_hi:[1,0]
	s_nop 0
	v_pk_fma_f32 v[16:17], v[6:7], s[6:7], v[12:13] op_sel:[0,0,1] op_sel_hi:[1,1,0] neg_lo:[0,0,1] neg_hi:[0,0,1]
	v_pk_fma_f32 v[6:7], v[6:7], s[6:7], v[12:13] op_sel:[0,0,1] op_sel_hi:[1,0,0]
	v_pk_mul_f32 v[12:13], v[64:65], s[2:3] op_sel_hi:[0,1]
	v_mov_b32_e32 v17, v7
	v_pk_add_f32 v[6:7], v[14:15], v[16:17]
	flat_store_dwordx2 v[10:11], v[6:7] offset:128
	flat_load_dwordx2 v[6:7], v[8:9] offset:256
	v_pk_fma_f32 v[14:15], v[62:63], s[2:3], v[12:13] op_sel:[0,1,0] op_sel_hi:[1,0,1] neg_lo:[0,0,1] neg_hi:[0,0,1]
	v_pk_fma_f32 v[12:13], v[62:63], s[2:3], v[12:13] op_sel:[0,1,0] op_sel_hi:[0,0,1]
	v_mov_b32_e32 v15, v13
	s_waitcnt vmcnt(0) lgkmcnt(0)
	v_pk_mul_f32 v[12:13], v[6:7], s[0:1] op_sel_hi:[1,0]
	s_nop 0
	v_pk_fma_f32 v[16:17], v[6:7], s[6:7], v[12:13] op_sel:[0,0,1] op_sel_hi:[1,1,0] neg_lo:[0,0,1] neg_hi:[0,0,1]
	v_pk_fma_f32 v[6:7], v[6:7], s[6:7], v[12:13] op_sel:[0,0,1] op_sel_hi:[1,0,0]
	s_nop 0
	v_mov_b32_e32 v17, v7
	v_pk_add_f32 v[6:7], v[14:15], v[16:17]
	flat_store_dwordx2 v[10:11], v[6:7] offset:256
	flat_load_dwordx2 v[6:7], v[8:9] offset:384
	v_pk_mul_f32 v[8:9], v[60:61], s[2:3] op_sel_hi:[0,1]
	v_pk_fma_f32 v[12:13], v[56:57], s[2:3], v[8:9] op_sel:[0,1,0] op_sel_hi:[1,0,1] neg_lo:[0,0,1] neg_hi:[0,0,1]
	v_pk_fma_f32 v[8:9], v[56:57], s[2:3], v[8:9] op_sel:[0,1,0] op_sel_hi:[0,0,1]
	v_mov_b32_e32 v13, v9
	s_waitcnt vmcnt(0) lgkmcnt(0)
	v_pk_mul_f32 v[8:9], v[6:7], s[0:1] op_sel_hi:[1,0]
	s_nop 0
	v_pk_fma_f32 v[14:15], v[6:7], s[6:7], v[8:9] op_sel:[0,0,1] op_sel_hi:[1,1,0] neg_lo:[0,0,1] neg_hi:[0,0,1]
	v_pk_fma_f32 v[6:7], v[6:7], s[6:7], v[8:9] op_sel:[0,0,1] op_sel_hi:[1,0,0]
	v_pk_mul_f32 v[8:9], v[50:51], s[2:3] op_sel_hi:[0,1]
	v_mov_b32_e32 v15, v7
	v_pk_add_f32 v[6:7], v[12:13], v[14:15]
	flat_store_dwordx2 v[10:11], v[6:7] offset:384
	flat_load_dwordx2 v[6:7], v[4:5]
	v_pk_fma_f32 v[10:11], v[48:49], s[2:3], v[8:9] op_sel:[0,1,0] op_sel_hi:[1,0,1] neg_lo:[0,0,1] neg_hi:[0,0,1]
	v_pk_fma_f32 v[8:9], v[48:49], s[2:3], v[8:9] op_sel:[0,1,0] op_sel_hi:[0,0,1]
	v_mov_b32_e32 v11, v9
	s_waitcnt vmcnt(0) lgkmcnt(0)
	v_pk_mul_f32 v[2:3], v[6:7], s[0:1] op_sel_hi:[1,0]
	s_nop 0
	v_pk_fma_f32 v[8:9], v[6:7], s[6:7], v[2:3] op_sel:[0,0,1] op_sel_hi:[1,1,0] neg_lo:[0,0,1] neg_hi:[0,0,1]
	v_pk_fma_f32 v[2:3], v[6:7], s[6:7], v[2:3] op_sel:[0,0,1] op_sel_hi:[1,0,0]
	v_pk_mul_f32 v[6:7], v[44:45], s[2:3] op_sel_hi:[0,1]
	v_mov_b32_e32 v9, v3
	v_pk_add_f32 v[2:3], v[10:11], v[8:9]
	flat_store_dwordx2 v[0:1], v[2:3]
	flat_load_dwordx2 v[2:3], v[4:5] offset:128
	v_pk_fma_f32 v[8:9], v[42:43], s[2:3], v[6:7] op_sel:[0,1,0] op_sel_hi:[1,0,1] neg_lo:[0,0,1] neg_hi:[0,0,1]
	v_pk_fma_f32 v[6:7], v[42:43], s[2:3], v[6:7] op_sel:[0,1,0] op_sel_hi:[0,0,1]
	v_mov_b32_e32 v9, v7
	s_waitcnt vmcnt(0) lgkmcnt(0)
	v_pk_mul_f32 v[6:7], v[2:3], s[0:1] op_sel_hi:[1,0]
	s_nop 0
	v_pk_fma_f32 v[10:11], v[2:3], s[6:7], v[6:7] op_sel:[0,0,1] op_sel_hi:[1,1,0] neg_lo:[0,0,1] neg_hi:[0,0,1]
	v_pk_fma_f32 v[2:3], v[2:3], s[6:7], v[6:7] op_sel:[0,0,1] op_sel_hi:[1,0,0]
	v_mov_b32_e32 v6, v41
	v_mov_b32_e32 v11, v3
	v_pk_add_f32 v[2:3], v[8:9], v[10:11]
	flat_store_dwordx2 v[0:1], v[2:3] offset:128
	flat_load_dwordx2 v[2:3], v[4:5] offset:256
	v_pk_mul_f32 v[6:7], v[6:7], s[2:3] op_sel_hi:[0,1]
	v_pk_fma_f32 v[8:9], v[40:41], s[2:3], v[6:7] op_sel:[0,1,0] op_sel_hi:[1,0,1] neg_lo:[0,0,1] neg_hi:[0,0,1]
	v_pk_fma_f32 v[6:7], v[40:41], s[2:3], v[6:7] op_sel:[0,1,0] op_sel_hi:[0,0,1]
	v_mov_b32_e32 v9, v7
	s_waitcnt vmcnt(0) lgkmcnt(0)
	v_pk_mul_f32 v[6:7], v[2:3], s[0:1] op_sel_hi:[1,0]
	s_nop 0
	v_pk_fma_f32 v[10:11], v[2:3], s[6:7], v[6:7] op_sel:[0,0,1] op_sel_hi:[1,1,0] neg_lo:[0,0,1] neg_hi:[0,0,1]
	v_pk_fma_f32 v[2:3], v[2:3], s[6:7], v[6:7] op_sel:[0,0,1] op_sel_hi:[1,0,0]
	v_mov_b32_e32 v6, v58
	v_mov_b32_e32 v11, v3
	v_pk_add_f32 v[2:3], v[8:9], v[10:11]
	flat_store_dwordx2 v[0:1], v[2:3] offset:256
	flat_load_dwordx2 v[2:3], v[4:5] offset:384
	v_mul_f32_e32 v4, s3, v58
	s_mov_b32 s3, s7
	s_mov_b64 s[0:1], 0x180
	v_fma_f32 v8, -v59, s2, v4
	v_lshl_add_u64 v[4:5], v[0:1], 0, s[0:1]
	s_waitcnt vmcnt(0) lgkmcnt(0)
	v_mul_f32_e32 v9, s7, v3
	v_mov_b32_e32 v7, v2
	v_fma_f32 v9, v2, s6, -v9
	v_mov_b32_e32 v2, v59
	v_pk_mul_f32 v[2:3], v[2:3], s[10:11]
	v_add_f32_e32 v8, v8, v9
	v_pk_fma_f32 v[2:3], v[6:7], s[2:3], v[2:3]
	flat_store_dword v[0:1], v8 offset:384
	v_add_f32_e32 v6, v2, v3
.LBB239_7:
	flat_store_dword v[4:5], v6 offset:4
	s_endpgm
	.section	.rodata,"a",@progbits
	.p2align	6, 0x0
	.amdhsa_kernel _ZN12_GLOBAL__N_127rocblas_gemm_batched_kernelI19rocblas_complex_numIfELi16ELi16ELi64ELi64ELi4ELi64ELi4ELi4ELi64ELc67ELc78EKPKS2_S5_KPS2_EEvlllT_PT11_llSA_llS8_PT12_llPT13_lli
		.amdhsa_group_segment_fixed_size 4096
		.amdhsa_private_segment_fixed_size 0
		.amdhsa_kernarg_size 140
		.amdhsa_user_sgpr_count 2
		.amdhsa_user_sgpr_dispatch_ptr 0
		.amdhsa_user_sgpr_queue_ptr 0
		.amdhsa_user_sgpr_kernarg_segment_ptr 1
		.amdhsa_user_sgpr_dispatch_id 0
		.amdhsa_user_sgpr_kernarg_preload_length 0
		.amdhsa_user_sgpr_kernarg_preload_offset 0
		.amdhsa_user_sgpr_private_segment_size 0
		.amdhsa_uses_dynamic_stack 0
		.amdhsa_enable_private_segment 0
		.amdhsa_system_sgpr_workgroup_id_x 1
		.amdhsa_system_sgpr_workgroup_id_y 1
		.amdhsa_system_sgpr_workgroup_id_z 1
		.amdhsa_system_sgpr_workgroup_info 0
		.amdhsa_system_vgpr_workitem_id 1
		.amdhsa_next_free_vgpr 108
		.amdhsa_next_free_sgpr 42
		.amdhsa_accum_offset 108
		.amdhsa_reserve_vcc 1
		.amdhsa_float_round_mode_32 0
		.amdhsa_float_round_mode_16_64 0
		.amdhsa_float_denorm_mode_32 3
		.amdhsa_float_denorm_mode_16_64 3
		.amdhsa_dx10_clamp 1
		.amdhsa_ieee_mode 1
		.amdhsa_fp16_overflow 0
		.amdhsa_tg_split 0
		.amdhsa_exception_fp_ieee_invalid_op 0
		.amdhsa_exception_fp_denorm_src 0
		.amdhsa_exception_fp_ieee_div_zero 0
		.amdhsa_exception_fp_ieee_overflow 0
		.amdhsa_exception_fp_ieee_underflow 0
		.amdhsa_exception_fp_ieee_inexact 0
		.amdhsa_exception_int_div_zero 0
	.end_amdhsa_kernel
	.section	.text._ZN12_GLOBAL__N_127rocblas_gemm_batched_kernelI19rocblas_complex_numIfELi16ELi16ELi64ELi64ELi4ELi64ELi4ELi4ELi64ELc67ELc78EKPKS2_S5_KPS2_EEvlllT_PT11_llSA_llS8_PT12_llPT13_lli,"axG",@progbits,_ZN12_GLOBAL__N_127rocblas_gemm_batched_kernelI19rocblas_complex_numIfELi16ELi16ELi64ELi64ELi4ELi64ELi4ELi4ELi64ELc67ELc78EKPKS2_S5_KPS2_EEvlllT_PT11_llSA_llS8_PT12_llPT13_lli,comdat
.Lfunc_end239:
	.size	_ZN12_GLOBAL__N_127rocblas_gemm_batched_kernelI19rocblas_complex_numIfELi16ELi16ELi64ELi64ELi4ELi64ELi4ELi4ELi64ELc67ELc78EKPKS2_S5_KPS2_EEvlllT_PT11_llSA_llS8_PT12_llPT13_lli, .Lfunc_end239-_ZN12_GLOBAL__N_127rocblas_gemm_batched_kernelI19rocblas_complex_numIfELi16ELi16ELi64ELi64ELi4ELi64ELi4ELi4ELi64ELc67ELc78EKPKS2_S5_KPS2_EEvlllT_PT11_llSA_llS8_PT12_llPT13_lli
                                        ; -- End function
	.set _ZN12_GLOBAL__N_127rocblas_gemm_batched_kernelI19rocblas_complex_numIfELi16ELi16ELi64ELi64ELi4ELi64ELi4ELi4ELi64ELc67ELc78EKPKS2_S5_KPS2_EEvlllT_PT11_llSA_llS8_PT12_llPT13_lli.num_vgpr, 108
	.set _ZN12_GLOBAL__N_127rocblas_gemm_batched_kernelI19rocblas_complex_numIfELi16ELi16ELi64ELi64ELi4ELi64ELi4ELi4ELi64ELc67ELc78EKPKS2_S5_KPS2_EEvlllT_PT11_llSA_llS8_PT12_llPT13_lli.num_agpr, 0
	.set _ZN12_GLOBAL__N_127rocblas_gemm_batched_kernelI19rocblas_complex_numIfELi16ELi16ELi64ELi64ELi4ELi64ELi4ELi4ELi64ELc67ELc78EKPKS2_S5_KPS2_EEvlllT_PT11_llSA_llS8_PT12_llPT13_lli.numbered_sgpr, 42
	.set _ZN12_GLOBAL__N_127rocblas_gemm_batched_kernelI19rocblas_complex_numIfELi16ELi16ELi64ELi64ELi4ELi64ELi4ELi4ELi64ELc67ELc78EKPKS2_S5_KPS2_EEvlllT_PT11_llSA_llS8_PT12_llPT13_lli.num_named_barrier, 0
	.set _ZN12_GLOBAL__N_127rocblas_gemm_batched_kernelI19rocblas_complex_numIfELi16ELi16ELi64ELi64ELi4ELi64ELi4ELi4ELi64ELc67ELc78EKPKS2_S5_KPS2_EEvlllT_PT11_llSA_llS8_PT12_llPT13_lli.private_seg_size, 0
	.set _ZN12_GLOBAL__N_127rocblas_gemm_batched_kernelI19rocblas_complex_numIfELi16ELi16ELi64ELi64ELi4ELi64ELi4ELi4ELi64ELc67ELc78EKPKS2_S5_KPS2_EEvlllT_PT11_llSA_llS8_PT12_llPT13_lli.uses_vcc, 1
	.set _ZN12_GLOBAL__N_127rocblas_gemm_batched_kernelI19rocblas_complex_numIfELi16ELi16ELi64ELi64ELi4ELi64ELi4ELi4ELi64ELc67ELc78EKPKS2_S5_KPS2_EEvlllT_PT11_llSA_llS8_PT12_llPT13_lli.uses_flat_scratch, 0
	.set _ZN12_GLOBAL__N_127rocblas_gemm_batched_kernelI19rocblas_complex_numIfELi16ELi16ELi64ELi64ELi4ELi64ELi4ELi4ELi64ELc67ELc78EKPKS2_S5_KPS2_EEvlllT_PT11_llSA_llS8_PT12_llPT13_lli.has_dyn_sized_stack, 0
	.set _ZN12_GLOBAL__N_127rocblas_gemm_batched_kernelI19rocblas_complex_numIfELi16ELi16ELi64ELi64ELi4ELi64ELi4ELi4ELi64ELc67ELc78EKPKS2_S5_KPS2_EEvlllT_PT11_llSA_llS8_PT12_llPT13_lli.has_recursion, 0
	.set _ZN12_GLOBAL__N_127rocblas_gemm_batched_kernelI19rocblas_complex_numIfELi16ELi16ELi64ELi64ELi4ELi64ELi4ELi4ELi64ELc67ELc78EKPKS2_S5_KPS2_EEvlllT_PT11_llSA_llS8_PT12_llPT13_lli.has_indirect_call, 0
	.section	.AMDGPU.csdata,"",@progbits
; Kernel info:
; codeLenInByte = 5228
; TotalNumSgprs: 48
; NumVgprs: 108
; NumAgprs: 0
; TotalNumVgprs: 108
; ScratchSize: 0
; MemoryBound: 0
; FloatMode: 240
; IeeeMode: 1
; LDSByteSize: 4096 bytes/workgroup (compile time only)
; SGPRBlocks: 5
; VGPRBlocks: 13
; NumSGPRsForWavesPerEU: 48
; NumVGPRsForWavesPerEU: 108
; AccumOffset: 108
; Occupancy: 4
; WaveLimiterHint : 1
; COMPUTE_PGM_RSRC2:SCRATCH_EN: 0
; COMPUTE_PGM_RSRC2:USER_SGPR: 2
; COMPUTE_PGM_RSRC2:TRAP_HANDLER: 0
; COMPUTE_PGM_RSRC2:TGID_X_EN: 1
; COMPUTE_PGM_RSRC2:TGID_Y_EN: 1
; COMPUTE_PGM_RSRC2:TGID_Z_EN: 1
; COMPUTE_PGM_RSRC2:TIDIG_COMP_CNT: 1
; COMPUTE_PGM_RSRC3_GFX90A:ACCUM_OFFSET: 26
; COMPUTE_PGM_RSRC3_GFX90A:TG_SPLIT: 0
	.section	.text._ZN12_GLOBAL__N_127rocblas_gemm_batched_kernelI19rocblas_complex_numIfELi16ELi16ELi64ELi64ELi4ELi64ELi4ELi4ELi64ELc67ELc84EKPKS2_S5_KPS2_EEvlllT_PT11_llSA_llS8_PT12_llPT13_lli,"axG",@progbits,_ZN12_GLOBAL__N_127rocblas_gemm_batched_kernelI19rocblas_complex_numIfELi16ELi16ELi64ELi64ELi4ELi64ELi4ELi4ELi64ELc67ELc84EKPKS2_S5_KPS2_EEvlllT_PT11_llSA_llS8_PT12_llPT13_lli,comdat
	.globl	_ZN12_GLOBAL__N_127rocblas_gemm_batched_kernelI19rocblas_complex_numIfELi16ELi16ELi64ELi64ELi4ELi64ELi4ELi4ELi64ELc67ELc84EKPKS2_S5_KPS2_EEvlllT_PT11_llSA_llS8_PT12_llPT13_lli ; -- Begin function _ZN12_GLOBAL__N_127rocblas_gemm_batched_kernelI19rocblas_complex_numIfELi16ELi16ELi64ELi64ELi4ELi64ELi4ELi4ELi64ELc67ELc84EKPKS2_S5_KPS2_EEvlllT_PT11_llSA_llS8_PT12_llPT13_lli
	.p2align	8
	.type	_ZN12_GLOBAL__N_127rocblas_gemm_batched_kernelI19rocblas_complex_numIfELi16ELi16ELi64ELi64ELi4ELi64ELi4ELi4ELi64ELc67ELc84EKPKS2_S5_KPS2_EEvlllT_PT11_llSA_llS8_PT12_llPT13_lli,@function
_ZN12_GLOBAL__N_127rocblas_gemm_batched_kernelI19rocblas_complex_numIfELi16ELi16ELi64ELi64ELi4ELi64ELi4ELi4ELi64ELc67ELc84EKPKS2_S5_KPS2_EEvlllT_PT11_llSA_llS8_PT12_llPT13_lli: ; @_ZN12_GLOBAL__N_127rocblas_gemm_batched_kernelI19rocblas_complex_numIfELi16ELi16ELi64ELi64ELi4ELi64ELi4ELi4ELi64ELc67ELc84EKPKS2_S5_KPS2_EEvlllT_PT11_llSA_llS8_PT12_llPT13_lli
; %bb.0:
	s_load_dwordx16 s[8:23], s[0:1], 0x10
	s_load_dwordx4 s[36:39], s[0:1], 0x78
	s_load_dwordx8 s[24:31], s[0:1], 0x58
	s_load_dwordx2 s[6:7], s[0:1], 0x50
	s_mov_b32 s5, 0
	s_lshl_b64 s[34:35], s[4:5], 3
	s_mov_b32 s40, s3
	s_waitcnt lgkmcnt(0)
	s_add_u32 s0, s24, s34
	s_addc_u32 s1, s25, s35
	s_add_u32 s4, s30, s34
	s_addc_u32 s5, s31, s35
	s_load_dwordx2 s[0:1], s[0:1], 0x0
	v_mov_b32_e32 v39, 0
	s_load_dwordx2 s[4:5], s[4:5], 0x0
	s_ashr_i32 s3, s2, 31
	s_ashr_i32 s41, s40, 31
	v_cmp_lt_i64_e64 s[30:31], s[8:9], 1
	v_bfe_u32 v38, v0, 10, 10
	v_and_b32_e32 v36, 0x3ff, v0
	v_mov_b32_e32 v37, v39
	s_lshl_b64 s[2:3], s[2:3], 6
	s_lshl_b64 s[24:25], s[40:41], 6
	s_and_b64 vcc, exec, s[30:31]
	v_mov_b32_e32 v59, v39
	v_mov_b32_e32 v58, v39
	;; [unrolled: 1-line block ×32, first 2 shown]
	s_cbranch_vccnz .LBB240_3
; %bb.1:
	v_lshl_add_u32 v4, v38, 4, v36
	v_lshrrev_b32_e32 v40, 2, v4
	v_mov_b32_e32 v41, 0
	v_lshl_add_u64 v[0:1], v[40:41], 0, s[24:25]
	v_and_b32_e32 v5, 3, v36
	v_mad_u64_u32 v[0:1], s[30:31], s20, v5, v[0:1]
	s_add_u32 s12, s12, s34
	v_mov_b32_e32 v2, v1
	s_addc_u32 s13, s13, s35
	v_mad_u64_u32 v[2:3], s[30:31], s21, v5, v[2:3]
	v_lshlrev_b32_e32 v5, 3, v5
	s_add_u32 s18, s18, s34
	v_mov_b32_e32 v1, v2
	v_and_b32_e32 v2, 63, v4
	v_mov_b32_e32 v3, v41
	v_lshl_or_b32 v5, v40, 5, v5
	s_load_dwordx2 s[12:13], s[12:13], 0x0
	s_addc_u32 s19, s19, s35
	v_lshrrev_b32_e32 v4, 6, v4
	v_lshlrev_b32_e32 v6, 3, v2
	v_add_u32_e32 v45, 0x800, v5
	v_mov_b32_e32 v5, 0x800
	v_lshl_add_u64 v[2:3], s[2:3], 0, v[2:3]
	s_load_dwordx2 s[18:19], s[18:19], 0x0
	v_lshl_or_b32 v43, v4, 9, v6
	v_lshl_add_u32 v49, v38, 5, v5
	v_mul_lo_u32 v5, s15, v2
	v_mul_lo_u32 v6, s14, v3
	v_mad_u64_u32 v[2:3], s[14:15], s14, v2, 0
	v_add3_u32 v3, v3, v6, v5
	s_lshl_b64 s[14:15], s[16:17], 3
	v_lshl_add_u64 v[2:3], v[2:3], 3, s[14:15]
	v_lshlrev_b32_e32 v40, 3, v4
	v_lshl_add_u64 v[2:3], v[2:3], 0, v[40:41]
	s_waitcnt lgkmcnt(0)
	v_lshl_add_u64 v[50:51], s[12:13], 0, v[2:3]
	s_lshl_b64 s[12:13], s[22:23], 3
	s_add_u32 s12, s18, s12
	s_addc_u32 s13, s19, s13
	v_lshlrev_b32_e32 v47, 3, v36
	v_lshl_add_u64 v[52:53], v[0:1], 3, s[12:13]
	s_lshl_b64 s[12:13], s[20:21], 5
	s_mov_b64 s[14:15], 0
	v_mov_b64_e32 v[54:55], s[8:9]
	v_mov_b32_e32 v40, v41
	v_mov_b32_e32 v44, v41
	;; [unrolled: 1-line block ×31, first 2 shown]
.LBB240_2:                              ; =>This Inner Loop Header: Depth=1
	flat_load_dwordx2 v[0:1], v[50:51]
	s_add_u32 s14, s14, 4
	s_addc_u32 s15, s15, 0
	v_cmp_lt_i64_e32 vcc, s[14:15], v[54:55]
	v_lshl_add_u64 v[50:51], v[50:51], 0, 32
	s_and_b64 vcc, exec, vcc
	s_waitcnt vmcnt(0) lgkmcnt(0)
	v_xor_b32_e32 v1, 0x80000000, v1
	ds_write_b64 v43, v[0:1]
	flat_load_dwordx2 v[0:1], v[52:53]
	v_lshl_add_u64 v[52:53], v[52:53], 0, s[12:13]
	s_waitcnt vmcnt(0) lgkmcnt(0)
	ds_write_b64 v45, v[0:1]
	s_waitcnt lgkmcnt(0)
	s_barrier
	ds_read_b128 v[0:3], v49
	ds_read_b128 v[32:35], v49 offset:16
	ds_read2_b64 v[8:11], v47 offset1:16
	ds_read2_b64 v[12:15], v47 offset0:32 offset1:48
	s_waitcnt lgkmcnt(1)
	v_mul_f32_e32 v4, v1, v9
	v_fma_f32 v4, v0, v8, -v4
	v_mul_f32_e32 v5, v0, v9
	v_add_f32_e32 v20, v102, v4
	v_mul_f32_e32 v4, v1, v11
	v_fmac_f32_e32 v5, v1, v8
	v_fma_f32 v4, v0, v10, -v4
	v_add_f32_e32 v21, v104, v5
	v_mul_f32_e32 v5, v0, v11
	v_add_f32_e32 v22, v98, v4
	s_waitcnt lgkmcnt(0)
	v_mul_f32_e32 v4, v1, v13
	v_fmac_f32_e32 v5, v1, v10
	v_fma_f32 v4, v0, v12, -v4
	v_add_f32_e32 v23, v100, v5
	v_mul_f32_e32 v5, v0, v13
	v_add_f32_e32 v57, v94, v4
	v_mul_f32_e32 v4, v1, v15
	v_fmac_f32_e32 v5, v1, v12
	v_fma_f32 v4, v0, v14, -v4
	v_mul_f32_e32 v0, v0, v15
	v_add_f32_e32 v61, v96, v5
	v_fmac_f32_e32 v0, v1, v14
	v_add_f32_e32 v1, v90, v4
	ds_read_b128 v[4:7], v49 offset:512
	ds_read_b128 v[104:107], v49 offset:1040
	v_add_f32_e32 v0, v92, v0
	s_waitcnt lgkmcnt(1)
	v_mul_f32_e32 v16, v5, v9
	v_fma_f32 v16, v4, v8, -v16
	v_mul_f32_e32 v17, v4, v9
	v_add_f32_e32 v63, v86, v16
	v_mul_f32_e32 v16, v5, v11
	v_fmac_f32_e32 v17, v5, v8
	v_fma_f32 v16, v4, v10, -v16
	v_add_f32_e32 v65, v88, v17
	v_mul_f32_e32 v17, v4, v11
	v_add_f32_e32 v67, v82, v16
	v_mul_f32_e32 v16, v5, v13
	v_fmac_f32_e32 v17, v5, v10
	v_fma_f32 v16, v4, v12, -v16
	v_add_f32_e32 v69, v84, v17
	v_mul_f32_e32 v17, v4, v13
	v_add_f32_e32 v71, v78, v16
	v_mul_f32_e32 v16, v5, v15
	v_fmac_f32_e32 v17, v5, v12
	v_fma_f32 v16, v4, v14, -v16
	v_mul_f32_e32 v4, v4, v15
	v_add_f32_e32 v73, v80, v17
	v_fmac_f32_e32 v4, v5, v14
	v_add_f32_e32 v5, v74, v16
	ds_read_b128 v[16:19], v49 offset:1024
	v_add_f32_e32 v4, v76, v4
	s_waitcnt lgkmcnt(0)
	v_mul_f32_e32 v24, v17, v9
	v_fma_f32 v24, v16, v8, -v24
	v_mul_f32_e32 v25, v16, v9
	v_add_f32_e32 v70, v70, v24
	v_mul_f32_e32 v24, v17, v11
	v_fmac_f32_e32 v25, v17, v8
	v_fma_f32 v24, v16, v10, -v24
	v_add_f32_e32 v72, v72, v25
	v_mul_f32_e32 v25, v16, v11
	v_add_f32_e32 v66, v66, v24
	v_mul_f32_e32 v24, v17, v13
	v_fmac_f32_e32 v25, v17, v10
	v_fma_f32 v24, v16, v12, -v24
	v_add_f32_e32 v68, v68, v25
	v_mul_f32_e32 v25, v16, v13
	v_add_f32_e32 v62, v62, v24
	v_mul_f32_e32 v24, v17, v15
	v_fmac_f32_e32 v25, v17, v12
	v_fma_f32 v24, v16, v14, -v24
	v_mul_f32_e32 v16, v16, v15
	v_add_f32_e32 v64, v64, v25
	v_fmac_f32_e32 v16, v17, v14
	v_add_f32_e32 v17, v56, v24
	ds_read2_b64 v[24:27], v47 offset0:64 offset1:80
	v_add_f32_e32 v16, v60, v16
	s_waitcnt lgkmcnt(0)
	v_mul_f32_e32 v28, v3, v25
	v_mul_f32_e32 v29, v2, v25
	v_fma_f32 v28, v2, v24, -v28
	v_fmac_f32_e32 v29, v3, v24
	v_add_f32_e32 v20, v20, v28
	v_add_f32_e32 v21, v21, v29
	v_mul_f32_e32 v28, v3, v27
	v_mul_f32_e32 v29, v2, v27
	v_fma_f32 v28, v2, v26, -v28
	v_fmac_f32_e32 v29, v3, v26
	v_add_f32_e32 v22, v22, v28
	v_add_f32_e32 v23, v23, v29
	ds_read2_b64 v[28:31], v47 offset0:96 offset1:112
	s_waitcnt lgkmcnt(0)
	v_mul_f32_e32 v56, v3, v29
	v_mul_f32_e32 v60, v2, v29
	v_fma_f32 v56, v2, v28, -v56
	v_fmac_f32_e32 v60, v3, v28
	v_add_f32_e32 v56, v57, v56
	v_add_f32_e32 v57, v61, v60
	v_mul_f32_e32 v60, v3, v31
	v_fma_f32 v60, v2, v30, -v60
	v_mul_f32_e32 v2, v2, v31
	v_fmac_f32_e32 v2, v3, v30
	v_add_f32_e32 v60, v1, v60
	v_add_f32_e32 v61, v0, v2
	v_mul_f32_e32 v0, v7, v25
	v_mul_f32_e32 v1, v6, v25
	v_fma_f32 v0, v6, v24, -v0
	v_fmac_f32_e32 v1, v7, v24
	v_add_f32_e32 v74, v63, v0
	v_add_f32_e32 v65, v65, v1
	v_mul_f32_e32 v0, v7, v27
	v_mul_f32_e32 v1, v6, v27
	v_fma_f32 v0, v6, v26, -v0
	;; [unrolled: 6-line block ×6, first 2 shown]
	v_fmac_f32_e32 v1, v19, v26
	ds_read2_b64 v[4:7], v47 offset0:128 offset1:144
	v_add_f32_e32 v66, v66, v0
	v_add_f32_e32 v68, v68, v1
	v_mul_f32_e32 v0, v19, v29
	v_mul_f32_e32 v1, v18, v29
	v_fma_f32 v0, v18, v28, -v0
	v_fmac_f32_e32 v1, v19, v28
	v_add_f32_e32 v77, v62, v0
	v_add_f32_e32 v64, v64, v1
	v_mul_f32_e32 v0, v19, v31
	v_mul_f32_e32 v1, v18, v31
	v_fma_f32 v0, v18, v30, -v0
	v_fmac_f32_e32 v1, v19, v30
	v_add_f32_e32 v17, v17, v0
	v_add_f32_e32 v16, v16, v1
	s_waitcnt lgkmcnt(0)
	v_mul_f32_e32 v0, v33, v5
	v_mul_f32_e32 v1, v32, v5
	v_fma_f32 v0, v32, v4, -v0
	v_fmac_f32_e32 v1, v33, v4
	v_add_f32_e32 v18, v20, v0
	v_add_f32_e32 v19, v21, v1
	v_mul_f32_e32 v0, v33, v7
	v_mul_f32_e32 v1, v32, v7
	v_fma_f32 v0, v32, v6, -v0
	v_fmac_f32_e32 v1, v33, v6
	v_add_f32_e32 v78, v22, v0
	v_add_f32_e32 v79, v23, v1
	ds_read2_b64 v[0:3], v47 offset0:160 offset1:176
	s_waitcnt lgkmcnt(0)
	v_mul_f32_e32 v20, v33, v1
	v_mul_f32_e32 v21, v32, v1
	v_fma_f32 v20, v32, v0, -v20
	v_fmac_f32_e32 v21, v33, v0
	v_add_f32_e32 v56, v56, v20
	v_add_f32_e32 v57, v57, v21
	v_mul_f32_e32 v20, v33, v3
	v_mul_f32_e32 v21, v32, v3
	v_fma_f32 v20, v32, v2, -v20
	v_fmac_f32_e32 v21, v33, v2
	v_add_f32_e32 v32, v60, v20
	v_add_f32_e32 v33, v61, v21
	ds_read_b128 v[60:63], v49 offset:528
	s_waitcnt lgkmcnt(0)
	v_mul_f32_e32 v20, v61, v5
	v_mul_f32_e32 v21, v60, v5
	v_fma_f32 v20, v60, v4, -v20
	v_fmac_f32_e32 v21, v61, v4
	v_add_f32_e32 v74, v74, v20
	v_add_f32_e32 v65, v65, v21
	v_mul_f32_e32 v20, v61, v7
	v_mul_f32_e32 v21, v60, v7
	v_fma_f32 v20, v60, v6, -v20
	v_fmac_f32_e32 v21, v61, v6
	v_add_f32_e32 v67, v67, v20
	v_add_f32_e32 v69, v69, v21
	;; [unrolled: 6-line block ×8, first 2 shown]
	ds_read2_b64 v[20:23], v47 offset0:192 offset1:208
	s_waitcnt lgkmcnt(0)
	v_mul_f32_e32 v16, v35, v21
	v_mul_f32_e32 v17, v34, v21
	v_fma_f32 v16, v34, v20, -v16
	v_fmac_f32_e32 v17, v35, v20
	v_add_f32_e32 v102, v18, v16
	v_add_f32_e32 v104, v19, v17
	v_mul_f32_e32 v16, v35, v23
	v_mul_f32_e32 v17, v34, v23
	v_fma_f32 v16, v34, v22, -v16
	v_fmac_f32_e32 v17, v35, v22
	v_add_f32_e32 v98, v78, v16
	v_add_f32_e32 v100, v79, v17
	ds_read2_b64 v[16:19], v47 offset0:224 offset1:240
	s_waitcnt lgkmcnt(0)
	v_mul_f32_e32 v76, v35, v17
	v_fma_f32 v76, v34, v16, -v76
	v_add_f32_e32 v94, v56, v76
	v_mul_f32_e32 v56, v35, v19
	v_mul_f32_e32 v78, v34, v17
	v_fma_f32 v56, v34, v18, -v56
	v_mul_f32_e32 v34, v34, v19
	v_fmac_f32_e32 v34, v35, v18
	v_add_f32_e32 v90, v32, v56
	v_add_f32_e32 v92, v33, v34
	v_mul_f32_e32 v32, v63, v21
	v_mul_f32_e32 v33, v62, v21
	v_fma_f32 v32, v62, v20, -v32
	v_fmac_f32_e32 v33, v63, v20
	v_add_f32_e32 v86, v74, v32
	v_add_f32_e32 v88, v65, v33
	v_mul_f32_e32 v32, v63, v23
	v_mul_f32_e32 v33, v62, v23
	v_fma_f32 v32, v62, v22, -v32
	v_fmac_f32_e32 v33, v63, v22
	v_add_f32_e32 v82, v67, v32
	v_add_f32_e32 v84, v69, v33
	v_mul_f32_e32 v32, v63, v17
	v_mul_f32_e32 v33, v62, v17
	v_fmac_f32_e32 v78, v35, v16
	v_fma_f32 v32, v62, v16, -v32
	v_fmac_f32_e32 v33, v63, v16
	v_add_f32_e32 v96, v57, v78
	v_add_f32_e32 v78, v71, v32
	;; [unrolled: 1-line block ×3, first 2 shown]
	v_mul_f32_e32 v32, v63, v19
	v_mul_f32_e32 v33, v62, v19
	v_fma_f32 v32, v62, v18, -v32
	v_fmac_f32_e32 v33, v63, v18
	v_add_f32_e32 v74, v60, v32
	v_add_f32_e32 v76, v61, v33
	v_mul_f32_e32 v32, v107, v21
	v_mul_f32_e32 v33, v106, v21
	v_fma_f32 v32, v106, v20, -v32
	v_fmac_f32_e32 v33, v107, v20
	v_add_f32_e32 v70, v70, v32
	v_add_f32_e32 v72, v72, v33
	;; [unrolled: 6-line block ×5, first 2 shown]
	ds_read_b128 v[32:35], v49 offset:1536
	s_waitcnt lgkmcnt(0)
	v_mul_f32_e32 v57, v33, v9
	v_mul_f32_e32 v9, v32, v9
	v_fmac_f32_e32 v9, v33, v8
	v_fma_f32 v57, v32, v8, -v57
	v_add_f32_e32 v48, v48, v9
	v_mul_f32_e32 v8, v33, v11
	v_mul_f32_e32 v9, v32, v11
	v_fma_f32 v8, v32, v10, -v8
	v_fmac_f32_e32 v9, v33, v10
	v_add_f32_e32 v42, v42, v8
	v_add_f32_e32 v44, v44, v9
	v_mul_f32_e32 v8, v33, v13
	v_mul_f32_e32 v9, v32, v13
	v_fma_f32 v8, v32, v12, -v8
	v_fmac_f32_e32 v9, v33, v12
	v_add_f32_e32 v12, v40, v8
	v_add_f32_e32 v13, v41, v9
	v_pk_mul_f32 v[8:9], v[32:33], v[14:15] op_sel:[1,1] op_sel_hi:[0,1]
	v_pk_fma_f32 v[10:11], v[32:33], v[14:15], v[8:9] neg_lo:[0,0,1] neg_hi:[0,0,1]
	v_pk_fma_f32 v[8:9], v[32:33], v[14:15], v[8:9] op_sel_hi:[1,0,1]
	v_add_f32_e32 v46, v46, v57
	v_mov_b32_e32 v11, v9
	v_pk_add_f32 v[8:9], v[58:59], v[10:11]
	v_mul_f32_e32 v10, v35, v25
	v_mul_f32_e32 v11, v34, v25
	v_fma_f32 v10, v34, v24, -v10
	v_fmac_f32_e32 v11, v35, v24
	v_add_f32_e32 v32, v46, v10
	v_add_f32_e32 v33, v48, v11
	v_mul_f32_e32 v10, v35, v27
	v_mul_f32_e32 v11, v34, v27
	v_fma_f32 v10, v34, v26, -v10
	v_fmac_f32_e32 v11, v35, v26
	v_add_f32_e32 v24, v42, v10
	v_add_f32_e32 v25, v44, v11
	;; [unrolled: 6-line block ×3, first 2 shown]
	v_pk_mul_f32 v[10:11], v[34:35], v[30:31] op_sel:[1,1] op_sel_hi:[0,1]
	v_pk_fma_f32 v[12:13], v[34:35], v[30:31], v[10:11] neg_lo:[0,0,1] neg_hi:[0,0,1]
	v_pk_fma_f32 v[10:11], v[34:35], v[30:31], v[10:11] op_sel_hi:[1,0,1]
	s_nop 0
	v_mov_b32_e32 v13, v11
	v_pk_add_f32 v[12:13], v[8:9], v[12:13]
	ds_read_b128 v[8:11], v49 offset:1552
	s_waitcnt lgkmcnt(0)
	s_barrier
	v_mul_f32_e32 v26, v9, v5
	v_mul_f32_e32 v5, v8, v5
	v_fma_f32 v26, v8, v4, -v26
	v_fmac_f32_e32 v5, v9, v4
	v_mul_f32_e32 v4, v9, v7
	v_add_f32_e32 v27, v33, v5
	v_fma_f32 v4, v8, v6, -v4
	v_mul_f32_e32 v5, v8, v7
	v_fmac_f32_e32 v5, v9, v6
	v_add_f32_e32 v6, v24, v4
	v_mul_f32_e32 v4, v9, v1
	v_mul_f32_e32 v1, v8, v1
	v_fmac_f32_e32 v1, v9, v0
	v_fma_f32 v4, v8, v0, -v4
	v_add_f32_e32 v15, v15, v1
	v_pk_mul_f32 v[0:1], v[8:9], v[2:3] op_sel:[1,1] op_sel_hi:[0,1]
	v_add_f32_e32 v7, v25, v5
	v_add_f32_e32 v14, v14, v4
	v_pk_fma_f32 v[4:5], v[8:9], v[2:3], v[0:1] neg_lo:[0,0,1] neg_hi:[0,0,1]
	v_pk_fma_f32 v[0:1], v[8:9], v[2:3], v[0:1] op_sel_hi:[1,0,1]
	v_mul_f32_e32 v2, v11, v21
	v_mul_f32_e32 v3, v10, v21
	v_add_f32_e32 v26, v32, v26
	v_fma_f32 v2, v10, v20, -v2
	v_fmac_f32_e32 v3, v11, v20
	v_add_f32_e32 v46, v26, v2
	v_add_f32_e32 v48, v27, v3
	v_mul_f32_e32 v2, v11, v23
	v_mul_f32_e32 v3, v10, v23
	v_fma_f32 v2, v10, v22, -v2
	v_fmac_f32_e32 v3, v11, v22
	v_add_f32_e32 v42, v6, v2
	v_add_f32_e32 v44, v7, v3
	v_mul_f32_e32 v2, v11, v17
	v_mul_f32_e32 v3, v10, v17
	v_fma_f32 v2, v10, v16, -v2
	v_fmac_f32_e32 v3, v11, v16
	v_mov_b32_e32 v5, v1
	v_add_f32_e32 v40, v14, v2
	v_add_f32_e32 v41, v15, v3
	v_pk_mul_f32 v[2:3], v[10:11], v[18:19] op_sel:[1,1] op_sel_hi:[0,1]
	v_pk_add_f32 v[0:1], v[12:13], v[4:5]
	v_pk_fma_f32 v[4:5], v[10:11], v[18:19], v[2:3] neg_lo:[0,0,1] neg_hi:[0,0,1]
	v_pk_fma_f32 v[2:3], v[10:11], v[18:19], v[2:3] op_sel_hi:[1,0,1]
	s_nop 0
	v_mov_b32_e32 v5, v3
	v_pk_add_f32 v[58:59], v[0:1], v[4:5]
	s_cbranch_vccnz .LBB240_2
.LBB240_3:
	s_lshl_b64 s[8:9], s[38:39], 3
	s_waitcnt lgkmcnt(0)
	s_add_u32 s4, s4, s8
	s_addc_u32 s5, s5, s9
	s_or_b32 s8, s6, s7
	s_bitset0_b32 s8, 31
	v_lshl_add_u64 v[2:3], s[24:25], 0, v[38:39]
	s_cmp_lg_u32 s8, 0
	v_lshl_add_u64 v[0:1], s[2:3], 0, v[36:37]
	s_mov_b32 s2, s11
	s_mov_b32 s3, s10
	s_cbranch_scc1 .LBB240_5
; %bb.4:
	v_mul_lo_u32 v6, v3, s36
	v_mul_lo_u32 v7, v2, s37
	v_mad_u64_u32 v[4:5], s[8:9], v2, s36, 0
	v_add3_u32 v5, v5, v7, v6
	v_pk_mul_f32 v[6:7], v[104:105], s[2:3] op_sel_hi:[0,1]
	v_lshl_add_u64 v[4:5], v[4:5], 3, s[4:5]
	v_lshlrev_b64 v[8:9], 3, v[0:1]
	v_pk_fma_f32 v[12:13], v[102:103], s[2:3], v[6:7] op_sel:[0,1,0] op_sel_hi:[1,0,1] neg_lo:[0,0,1] neg_hi:[0,0,1]
	v_pk_fma_f32 v[6:7], v[102:103], s[2:3], v[6:7] op_sel:[0,1,0] op_sel_hi:[0,0,1]
	v_lshl_add_u64 v[10:11], v[4:5], 0, v[8:9]
	v_mov_b32_e32 v13, v7
	v_pk_mul_f32 v[6:7], v[100:101], s[2:3] op_sel_hi:[0,1]
	flat_store_dwordx2 v[10:11], v[12:13]
	v_pk_fma_f32 v[12:13], v[98:99], s[2:3], v[6:7] op_sel:[0,1,0] op_sel_hi:[1,0,1] neg_lo:[0,0,1] neg_hi:[0,0,1]
	v_pk_fma_f32 v[6:7], v[98:99], s[2:3], v[6:7] op_sel:[0,1,0] op_sel_hi:[0,0,1]
	v_mov_b32_e32 v13, v7
	v_pk_mul_f32 v[6:7], v[96:97], s[2:3] op_sel_hi:[0,1]
	flat_store_dwordx2 v[10:11], v[12:13] offset:128
	v_pk_fma_f32 v[12:13], v[94:95], s[2:3], v[6:7] op_sel:[0,1,0] op_sel_hi:[1,0,1] neg_lo:[0,0,1] neg_hi:[0,0,1]
	v_pk_fma_f32 v[6:7], v[94:95], s[2:3], v[6:7] op_sel:[0,1,0] op_sel_hi:[0,0,1]
	v_mov_b32_e32 v13, v7
	v_pk_mul_f32 v[6:7], v[92:93], s[2:3] op_sel_hi:[0,1]
	flat_store_dwordx2 v[10:11], v[12:13] offset:256
	v_pk_fma_f32 v[12:13], v[90:91], s[2:3], v[6:7] op_sel:[0,1,0] op_sel_hi:[1,0,1] neg_lo:[0,0,1] neg_hi:[0,0,1]
	v_pk_fma_f32 v[6:7], v[90:91], s[2:3], v[6:7] op_sel:[0,1,0] op_sel_hi:[0,0,1]
	v_mov_b32_e32 v13, v7
	s_lshl_b64 s[8:9], s[36:37], 7
	v_pk_mul_f32 v[6:7], v[88:89], s[2:3] op_sel_hi:[0,1]
	flat_store_dwordx2 v[10:11], v[12:13] offset:384
	v_lshl_add_u64 v[4:5], v[4:5], 0, s[8:9]
	v_pk_fma_f32 v[12:13], v[86:87], s[2:3], v[6:7] op_sel:[0,1,0] op_sel_hi:[1,0,1] neg_lo:[0,0,1] neg_hi:[0,0,1]
	v_pk_fma_f32 v[6:7], v[86:87], s[2:3], v[6:7] op_sel:[0,1,0] op_sel_hi:[0,0,1]
	v_lshl_add_u64 v[10:11], v[4:5], 0, v[8:9]
	v_mov_b32_e32 v13, v7
	v_pk_mul_f32 v[6:7], v[84:85], s[2:3] op_sel_hi:[0,1]
	flat_store_dwordx2 v[10:11], v[12:13]
	v_pk_fma_f32 v[12:13], v[82:83], s[2:3], v[6:7] op_sel:[0,1,0] op_sel_hi:[1,0,1] neg_lo:[0,0,1] neg_hi:[0,0,1]
	v_pk_fma_f32 v[6:7], v[82:83], s[2:3], v[6:7] op_sel:[0,1,0] op_sel_hi:[0,0,1]
	v_mov_b32_e32 v13, v7
	v_pk_mul_f32 v[6:7], v[80:81], s[2:3] op_sel_hi:[0,1]
	flat_store_dwordx2 v[10:11], v[12:13] offset:128
	v_pk_fma_f32 v[12:13], v[78:79], s[2:3], v[6:7] op_sel:[0,1,0] op_sel_hi:[1,0,1] neg_lo:[0,0,1] neg_hi:[0,0,1]
	v_pk_fma_f32 v[6:7], v[78:79], s[2:3], v[6:7] op_sel:[0,1,0] op_sel_hi:[0,0,1]
	v_mov_b32_e32 v13, v7
	v_pk_mul_f32 v[6:7], v[76:77], s[2:3] op_sel_hi:[0,1]
	flat_store_dwordx2 v[10:11], v[12:13] offset:256
	;; [unrolled: 5-line block ×3, first 2 shown]
	v_lshl_add_u64 v[4:5], v[4:5], 0, s[8:9]
	v_pk_fma_f32 v[12:13], v[70:71], s[2:3], v[6:7] op_sel:[0,1,0] op_sel_hi:[1,0,1] neg_lo:[0,0,1] neg_hi:[0,0,1]
	v_pk_fma_f32 v[6:7], v[70:71], s[2:3], v[6:7] op_sel:[0,1,0] op_sel_hi:[0,0,1]
	v_lshl_add_u64 v[10:11], v[4:5], 0, v[8:9]
	v_mov_b32_e32 v13, v7
	v_pk_mul_f32 v[6:7], v[68:69], s[2:3] op_sel_hi:[0,1]
	flat_store_dwordx2 v[10:11], v[12:13]
	v_pk_fma_f32 v[12:13], v[66:67], s[2:3], v[6:7] op_sel:[0,1,0] op_sel_hi:[1,0,1] neg_lo:[0,0,1] neg_hi:[0,0,1]
	v_pk_fma_f32 v[6:7], v[66:67], s[2:3], v[6:7] op_sel:[0,1,0] op_sel_hi:[0,0,1]
	v_mov_b32_e32 v13, v7
	v_pk_mul_f32 v[6:7], v[64:65], s[2:3] op_sel_hi:[0,1]
	flat_store_dwordx2 v[10:11], v[12:13] offset:128
	v_pk_fma_f32 v[12:13], v[62:63], s[2:3], v[6:7] op_sel:[0,1,0] op_sel_hi:[1,0,1] neg_lo:[0,0,1] neg_hi:[0,0,1]
	v_pk_fma_f32 v[6:7], v[62:63], s[2:3], v[6:7] op_sel:[0,1,0] op_sel_hi:[0,0,1]
	v_mov_b32_e32 v13, v7
	v_pk_mul_f32 v[6:7], v[60:61], s[2:3] op_sel_hi:[0,1]
	flat_store_dwordx2 v[10:11], v[12:13] offset:256
	v_pk_fma_f32 v[12:13], v[56:57], s[2:3], v[6:7] op_sel:[0,1,0] op_sel_hi:[1,0,1] neg_lo:[0,0,1] neg_hi:[0,0,1]
	v_pk_fma_f32 v[6:7], v[56:57], s[2:3], v[6:7] op_sel:[0,1,0] op_sel_hi:[0,0,1]
	v_mov_b32_e32 v13, v7
	v_lshl_add_u64 v[4:5], v[4:5], 0, s[8:9]
	v_pk_mul_f32 v[6:7], v[48:49], s[2:3] op_sel_hi:[0,1]
	v_lshl_add_u64 v[8:9], v[4:5], 0, v[8:9]
	v_pk_fma_f32 v[4:5], v[46:47], s[2:3], v[6:7] op_sel:[0,1,0] op_sel_hi:[1,0,1] neg_lo:[0,0,1] neg_hi:[0,0,1]
	v_pk_fma_f32 v[6:7], v[46:47], s[2:3], v[6:7] op_sel:[0,1,0] op_sel_hi:[0,0,1]
	v_mov_b32_e32 v5, v7
	flat_store_dwordx2 v[10:11], v[12:13] offset:384
	flat_store_dwordx2 v[8:9], v[4:5]
	v_pk_mul_f32 v[4:5], v[44:45], s[2:3] op_sel_hi:[0,1]
	v_pk_fma_f32 v[6:7], v[42:43], s[2:3], v[4:5] op_sel:[0,1,0] op_sel_hi:[1,0,1] neg_lo:[0,0,1] neg_hi:[0,0,1]
	v_pk_fma_f32 v[4:5], v[42:43], s[2:3], v[4:5] op_sel:[0,1,0] op_sel_hi:[0,0,1]
	v_mov_b32_e32 v4, v41
	v_mov_b32_e32 v7, v5
	v_pk_mul_f32 v[4:5], v[4:5], s[2:3] op_sel_hi:[0,1]
	flat_store_dwordx2 v[8:9], v[6:7] offset:128
	v_pk_fma_f32 v[6:7], v[40:41], s[2:3], v[4:5] op_sel:[0,1,0] op_sel_hi:[1,0,1] neg_lo:[0,0,1] neg_hi:[0,0,1]
	v_pk_fma_f32 v[4:5], v[40:41], s[2:3], v[4:5] op_sel:[0,1,0] op_sel_hi:[0,0,1]
	v_mov_b32_e32 v7, v5
	v_mul_f32_e32 v4, s3, v58
	flat_store_dwordx2 v[8:9], v[6:7] offset:256
	v_fma_f32 v7, -v59, s2, v4
	v_pk_mul_f32 v[4:5], v[58:59], s[2:3]
	s_mov_b64 s[8:9], 0x180
	v_add_f32_e32 v6, v4, v5
	v_lshl_add_u64 v[4:5], v[8:9], 0, s[8:9]
	flat_store_dword v[8:9], v7 offset:384
	s_cbranch_execz .LBB240_6
	s_branch .LBB240_7
.LBB240_5:
                                        ; implicit-def: $vgpr6
                                        ; implicit-def: $vgpr4_vgpr5
.LBB240_6:
	s_lshl_b64 s[8:9], s[28:29], 3
	s_add_u32 s0, s0, s8
	s_addc_u32 s1, s1, s9
	v_mul_lo_u32 v6, v3, s26
	v_mul_lo_u32 v7, v2, s27
	v_mad_u64_u32 v[4:5], s[8:9], v2, s26, 0
	v_add3_u32 v5, v5, v7, v6
	v_lshl_add_u64 v[4:5], v[4:5], 3, s[0:1]
	v_lshlrev_b64 v[0:1], 3, v[0:1]
	v_lshl_add_u64 v[6:7], v[4:5], 0, v[0:1]
	flat_load_dwordx2 v[8:9], v[6:7]
	v_mul_lo_u32 v12, v3, s36
	v_mul_lo_u32 v13, v2, s37
	v_mad_u64_u32 v[2:3], s[0:1], v2, s36, 0
	s_mov_b32 s0, s7
	v_pk_mul_f32 v[10:11], v[104:105], s[2:3] op_sel_hi:[0,1]
	v_add3_u32 v3, v3, v13, v12
	v_pk_fma_f32 v[12:13], v[102:103], s[2:3], v[10:11] op_sel:[0,1,0] op_sel_hi:[1,0,1] neg_lo:[0,0,1] neg_hi:[0,0,1]
	v_pk_fma_f32 v[10:11], v[102:103], s[2:3], v[10:11] op_sel:[0,1,0] op_sel_hi:[0,0,1]
	v_lshl_add_u64 v[2:3], v[2:3], 3, s[4:5]
	v_mov_b32_e32 v13, v11
	v_lshl_add_u64 v[10:11], v[2:3], 0, v[0:1]
	s_lshl_b64 s[4:5], s[26:27], 7
	v_lshl_add_u64 v[4:5], v[4:5], 0, s[4:5]
	s_lshl_b64 s[8:9], s[36:37], 7
	v_lshl_add_u64 v[2:3], v[2:3], 0, s[8:9]
	s_mov_b32 s11, s6
	s_waitcnt vmcnt(0) lgkmcnt(0)
	v_pk_mul_f32 v[14:15], v[8:9], s[0:1] op_sel_hi:[1,0]
	s_nop 0
	v_pk_fma_f32 v[16:17], v[8:9], s[6:7], v[14:15] op_sel:[0,0,1] op_sel_hi:[1,1,0] neg_lo:[0,0,1] neg_hi:[0,0,1]
	v_pk_fma_f32 v[8:9], v[8:9], s[6:7], v[14:15] op_sel:[0,0,1] op_sel_hi:[1,0,0]
	s_nop 0
	v_mov_b32_e32 v17, v9
	v_pk_add_f32 v[8:9], v[12:13], v[16:17]
	flat_store_dwordx2 v[10:11], v[8:9]
	flat_load_dwordx2 v[8:9], v[6:7] offset:128
	v_pk_mul_f32 v[12:13], v[100:101], s[2:3] op_sel_hi:[0,1]
	v_pk_fma_f32 v[14:15], v[98:99], s[2:3], v[12:13] op_sel:[0,1,0] op_sel_hi:[1,0,1] neg_lo:[0,0,1] neg_hi:[0,0,1]
	v_pk_fma_f32 v[12:13], v[98:99], s[2:3], v[12:13] op_sel:[0,1,0] op_sel_hi:[0,0,1]
	v_mov_b32_e32 v15, v13
	s_waitcnt vmcnt(0) lgkmcnt(0)
	v_pk_mul_f32 v[12:13], v[8:9], s[0:1] op_sel_hi:[1,0]
	s_nop 0
	v_pk_fma_f32 v[16:17], v[8:9], s[6:7], v[12:13] op_sel:[0,0,1] op_sel_hi:[1,1,0] neg_lo:[0,0,1] neg_hi:[0,0,1]
	v_pk_fma_f32 v[8:9], v[8:9], s[6:7], v[12:13] op_sel:[0,0,1] op_sel_hi:[1,0,0]
	v_pk_mul_f32 v[12:13], v[96:97], s[2:3] op_sel_hi:[0,1]
	v_mov_b32_e32 v17, v9
	v_pk_add_f32 v[8:9], v[14:15], v[16:17]
	flat_store_dwordx2 v[10:11], v[8:9] offset:128
	flat_load_dwordx2 v[8:9], v[6:7] offset:256
	v_pk_fma_f32 v[14:15], v[94:95], s[2:3], v[12:13] op_sel:[0,1,0] op_sel_hi:[1,0,1] neg_lo:[0,0,1] neg_hi:[0,0,1]
	v_pk_fma_f32 v[12:13], v[94:95], s[2:3], v[12:13] op_sel:[0,1,0] op_sel_hi:[0,0,1]
	v_mov_b32_e32 v15, v13
	s_waitcnt vmcnt(0) lgkmcnt(0)
	v_pk_mul_f32 v[12:13], v[8:9], s[0:1] op_sel_hi:[1,0]
	s_nop 0
	v_pk_fma_f32 v[16:17], v[8:9], s[6:7], v[12:13] op_sel:[0,0,1] op_sel_hi:[1,1,0] neg_lo:[0,0,1] neg_hi:[0,0,1]
	v_pk_fma_f32 v[8:9], v[8:9], s[6:7], v[12:13] op_sel:[0,0,1] op_sel_hi:[1,0,0]
	s_nop 0
	v_mov_b32_e32 v17, v9
	v_pk_add_f32 v[8:9], v[14:15], v[16:17]
	flat_store_dwordx2 v[10:11], v[8:9] offset:256
	flat_load_dwordx2 v[6:7], v[6:7] offset:384
	v_pk_mul_f32 v[8:9], v[92:93], s[2:3] op_sel_hi:[0,1]
	v_pk_fma_f32 v[12:13], v[90:91], s[2:3], v[8:9] op_sel:[0,1,0] op_sel_hi:[1,0,1] neg_lo:[0,0,1] neg_hi:[0,0,1]
	v_pk_fma_f32 v[8:9], v[90:91], s[2:3], v[8:9] op_sel:[0,1,0] op_sel_hi:[0,0,1]
	v_mov_b32_e32 v13, v9
	v_lshl_add_u64 v[8:9], v[4:5], 0, v[0:1]
	v_lshl_add_u64 v[4:5], v[4:5], 0, s[4:5]
	s_waitcnt vmcnt(0) lgkmcnt(0)
	v_pk_mul_f32 v[14:15], v[6:7], s[0:1] op_sel_hi:[1,0]
	s_nop 0
	v_pk_fma_f32 v[16:17], v[6:7], s[6:7], v[14:15] op_sel:[0,0,1] op_sel_hi:[1,1,0] neg_lo:[0,0,1] neg_hi:[0,0,1]
	v_pk_fma_f32 v[6:7], v[6:7], s[6:7], v[14:15] op_sel:[0,0,1] op_sel_hi:[1,0,0]
	s_nop 0
	v_mov_b32_e32 v17, v7
	v_pk_add_f32 v[6:7], v[12:13], v[16:17]
	flat_store_dwordx2 v[10:11], v[6:7] offset:384
	flat_load_dwordx2 v[6:7], v[8:9]
	v_pk_mul_f32 v[10:11], v[88:89], s[2:3] op_sel_hi:[0,1]
	v_pk_fma_f32 v[12:13], v[86:87], s[2:3], v[10:11] op_sel:[0,1,0] op_sel_hi:[1,0,1] neg_lo:[0,0,1] neg_hi:[0,0,1]
	v_pk_fma_f32 v[10:11], v[86:87], s[2:3], v[10:11] op_sel:[0,1,0] op_sel_hi:[0,0,1]
	v_mov_b32_e32 v13, v11
	v_lshl_add_u64 v[10:11], v[2:3], 0, v[0:1]
	v_lshl_add_u64 v[2:3], v[2:3], 0, s[8:9]
	s_waitcnt vmcnt(0) lgkmcnt(0)
	v_pk_mul_f32 v[14:15], v[6:7], s[0:1] op_sel_hi:[1,0]
	s_nop 0
	v_pk_fma_f32 v[16:17], v[6:7], s[6:7], v[14:15] op_sel:[0,0,1] op_sel_hi:[1,1,0] neg_lo:[0,0,1] neg_hi:[0,0,1]
	v_pk_fma_f32 v[6:7], v[6:7], s[6:7], v[14:15] op_sel:[0,0,1] op_sel_hi:[1,0,0]
	s_nop 0
	v_mov_b32_e32 v17, v7
	v_pk_add_f32 v[6:7], v[12:13], v[16:17]
	flat_store_dwordx2 v[10:11], v[6:7]
	flat_load_dwordx2 v[6:7], v[8:9] offset:128
	v_pk_mul_f32 v[12:13], v[84:85], s[2:3] op_sel_hi:[0,1]
	v_pk_fma_f32 v[14:15], v[82:83], s[2:3], v[12:13] op_sel:[0,1,0] op_sel_hi:[1,0,1] neg_lo:[0,0,1] neg_hi:[0,0,1]
	v_pk_fma_f32 v[12:13], v[82:83], s[2:3], v[12:13] op_sel:[0,1,0] op_sel_hi:[0,0,1]
	v_mov_b32_e32 v15, v13
	s_waitcnt vmcnt(0) lgkmcnt(0)
	v_pk_mul_f32 v[12:13], v[6:7], s[0:1] op_sel_hi:[1,0]
	s_nop 0
	v_pk_fma_f32 v[16:17], v[6:7], s[6:7], v[12:13] op_sel:[0,0,1] op_sel_hi:[1,1,0] neg_lo:[0,0,1] neg_hi:[0,0,1]
	v_pk_fma_f32 v[6:7], v[6:7], s[6:7], v[12:13] op_sel:[0,0,1] op_sel_hi:[1,0,0]
	v_pk_mul_f32 v[12:13], v[80:81], s[2:3] op_sel_hi:[0,1]
	v_mov_b32_e32 v17, v7
	v_pk_add_f32 v[6:7], v[14:15], v[16:17]
	flat_store_dwordx2 v[10:11], v[6:7] offset:128
	flat_load_dwordx2 v[6:7], v[8:9] offset:256
	v_pk_fma_f32 v[14:15], v[78:79], s[2:3], v[12:13] op_sel:[0,1,0] op_sel_hi:[1,0,1] neg_lo:[0,0,1] neg_hi:[0,0,1]
	v_pk_fma_f32 v[12:13], v[78:79], s[2:3], v[12:13] op_sel:[0,1,0] op_sel_hi:[0,0,1]
	v_mov_b32_e32 v15, v13
	s_waitcnt vmcnt(0) lgkmcnt(0)
	v_pk_mul_f32 v[12:13], v[6:7], s[0:1] op_sel_hi:[1,0]
	s_nop 0
	v_pk_fma_f32 v[16:17], v[6:7], s[6:7], v[12:13] op_sel:[0,0,1] op_sel_hi:[1,1,0] neg_lo:[0,0,1] neg_hi:[0,0,1]
	v_pk_fma_f32 v[6:7], v[6:7], s[6:7], v[12:13] op_sel:[0,0,1] op_sel_hi:[1,0,0]
	s_nop 0
	v_mov_b32_e32 v17, v7
	v_pk_add_f32 v[6:7], v[14:15], v[16:17]
	flat_store_dwordx2 v[10:11], v[6:7] offset:256
	flat_load_dwordx2 v[6:7], v[8:9] offset:384
	v_pk_mul_f32 v[8:9], v[76:77], s[2:3] op_sel_hi:[0,1]
	v_pk_fma_f32 v[12:13], v[74:75], s[2:3], v[8:9] op_sel:[0,1,0] op_sel_hi:[1,0,1] neg_lo:[0,0,1] neg_hi:[0,0,1]
	v_pk_fma_f32 v[8:9], v[74:75], s[2:3], v[8:9] op_sel:[0,1,0] op_sel_hi:[0,0,1]
	v_mov_b32_e32 v13, v9
	v_lshl_add_u64 v[8:9], v[4:5], 0, v[0:1]
	v_lshl_add_u64 v[4:5], v[4:5], 0, s[4:5]
	;; [unrolled: 1-line block ×3, first 2 shown]
	s_waitcnt vmcnt(0) lgkmcnt(0)
	v_pk_mul_f32 v[14:15], v[6:7], s[0:1] op_sel_hi:[1,0]
	s_nop 0
	v_pk_fma_f32 v[16:17], v[6:7], s[6:7], v[14:15] op_sel:[0,0,1] op_sel_hi:[1,1,0] neg_lo:[0,0,1] neg_hi:[0,0,1]
	v_pk_fma_f32 v[6:7], v[6:7], s[6:7], v[14:15] op_sel:[0,0,1] op_sel_hi:[1,0,0]
	s_nop 0
	v_mov_b32_e32 v17, v7
	v_pk_add_f32 v[6:7], v[12:13], v[16:17]
	flat_store_dwordx2 v[10:11], v[6:7] offset:384
	flat_load_dwordx2 v[6:7], v[8:9]
	v_pk_mul_f32 v[10:11], v[72:73], s[2:3] op_sel_hi:[0,1]
	v_pk_fma_f32 v[12:13], v[70:71], s[2:3], v[10:11] op_sel:[0,1,0] op_sel_hi:[1,0,1] neg_lo:[0,0,1] neg_hi:[0,0,1]
	v_pk_fma_f32 v[10:11], v[70:71], s[2:3], v[10:11] op_sel:[0,1,0] op_sel_hi:[0,0,1]
	v_mov_b32_e32 v13, v11
	v_lshl_add_u64 v[10:11], v[2:3], 0, v[0:1]
	v_lshl_add_u64 v[2:3], v[2:3], 0, s[8:9]
	;; [unrolled: 1-line block ×3, first 2 shown]
	s_waitcnt vmcnt(0) lgkmcnt(0)
	v_pk_mul_f32 v[14:15], v[6:7], s[0:1] op_sel_hi:[1,0]
	s_nop 0
	v_pk_fma_f32 v[16:17], v[6:7], s[6:7], v[14:15] op_sel:[0,0,1] op_sel_hi:[1,1,0] neg_lo:[0,0,1] neg_hi:[0,0,1]
	v_pk_fma_f32 v[6:7], v[6:7], s[6:7], v[14:15] op_sel:[0,0,1] op_sel_hi:[1,0,0]
	s_nop 0
	v_mov_b32_e32 v17, v7
	v_pk_add_f32 v[6:7], v[12:13], v[16:17]
	flat_store_dwordx2 v[10:11], v[6:7]
	flat_load_dwordx2 v[6:7], v[8:9] offset:128
	v_pk_mul_f32 v[12:13], v[68:69], s[2:3] op_sel_hi:[0,1]
	v_pk_fma_f32 v[14:15], v[66:67], s[2:3], v[12:13] op_sel:[0,1,0] op_sel_hi:[1,0,1] neg_lo:[0,0,1] neg_hi:[0,0,1]
	v_pk_fma_f32 v[12:13], v[66:67], s[2:3], v[12:13] op_sel:[0,1,0] op_sel_hi:[0,0,1]
	v_mov_b32_e32 v15, v13
	s_waitcnt vmcnt(0) lgkmcnt(0)
	v_pk_mul_f32 v[12:13], v[6:7], s[0:1] op_sel_hi:[1,0]
	s_nop 0
	v_pk_fma_f32 v[16:17], v[6:7], s[6:7], v[12:13] op_sel:[0,0,1] op_sel_hi:[1,1,0] neg_lo:[0,0,1] neg_hi:[0,0,1]
	v_pk_fma_f32 v[6:7], v[6:7], s[6:7], v[12:13] op_sel:[0,0,1] op_sel_hi:[1,0,0]
	v_pk_mul_f32 v[12:13], v[64:65], s[2:3] op_sel_hi:[0,1]
	v_mov_b32_e32 v17, v7
	v_pk_add_f32 v[6:7], v[14:15], v[16:17]
	flat_store_dwordx2 v[10:11], v[6:7] offset:128
	flat_load_dwordx2 v[6:7], v[8:9] offset:256
	v_pk_fma_f32 v[14:15], v[62:63], s[2:3], v[12:13] op_sel:[0,1,0] op_sel_hi:[1,0,1] neg_lo:[0,0,1] neg_hi:[0,0,1]
	v_pk_fma_f32 v[12:13], v[62:63], s[2:3], v[12:13] op_sel:[0,1,0] op_sel_hi:[0,0,1]
	v_mov_b32_e32 v15, v13
	s_waitcnt vmcnt(0) lgkmcnt(0)
	v_pk_mul_f32 v[12:13], v[6:7], s[0:1] op_sel_hi:[1,0]
	s_nop 0
	v_pk_fma_f32 v[16:17], v[6:7], s[6:7], v[12:13] op_sel:[0,0,1] op_sel_hi:[1,1,0] neg_lo:[0,0,1] neg_hi:[0,0,1]
	v_pk_fma_f32 v[6:7], v[6:7], s[6:7], v[12:13] op_sel:[0,0,1] op_sel_hi:[1,0,0]
	s_nop 0
	v_mov_b32_e32 v17, v7
	v_pk_add_f32 v[6:7], v[14:15], v[16:17]
	flat_store_dwordx2 v[10:11], v[6:7] offset:256
	flat_load_dwordx2 v[6:7], v[8:9] offset:384
	v_pk_mul_f32 v[8:9], v[60:61], s[2:3] op_sel_hi:[0,1]
	v_pk_fma_f32 v[12:13], v[56:57], s[2:3], v[8:9] op_sel:[0,1,0] op_sel_hi:[1,0,1] neg_lo:[0,0,1] neg_hi:[0,0,1]
	v_pk_fma_f32 v[8:9], v[56:57], s[2:3], v[8:9] op_sel:[0,1,0] op_sel_hi:[0,0,1]
	v_mov_b32_e32 v13, v9
	s_waitcnt vmcnt(0) lgkmcnt(0)
	v_pk_mul_f32 v[8:9], v[6:7], s[0:1] op_sel_hi:[1,0]
	s_nop 0
	v_pk_fma_f32 v[14:15], v[6:7], s[6:7], v[8:9] op_sel:[0,0,1] op_sel_hi:[1,1,0] neg_lo:[0,0,1] neg_hi:[0,0,1]
	v_pk_fma_f32 v[6:7], v[6:7], s[6:7], v[8:9] op_sel:[0,0,1] op_sel_hi:[1,0,0]
	v_pk_mul_f32 v[8:9], v[48:49], s[2:3] op_sel_hi:[0,1]
	v_mov_b32_e32 v15, v7
	v_pk_add_f32 v[6:7], v[12:13], v[14:15]
	flat_store_dwordx2 v[10:11], v[6:7] offset:384
	flat_load_dwordx2 v[6:7], v[4:5]
	v_pk_fma_f32 v[10:11], v[46:47], s[2:3], v[8:9] op_sel:[0,1,0] op_sel_hi:[1,0,1] neg_lo:[0,0,1] neg_hi:[0,0,1]
	v_pk_fma_f32 v[8:9], v[46:47], s[2:3], v[8:9] op_sel:[0,1,0] op_sel_hi:[0,0,1]
	v_mov_b32_e32 v11, v9
	s_waitcnt vmcnt(0) lgkmcnt(0)
	v_pk_mul_f32 v[2:3], v[6:7], s[0:1] op_sel_hi:[1,0]
	s_nop 0
	v_pk_fma_f32 v[8:9], v[6:7], s[6:7], v[2:3] op_sel:[0,0,1] op_sel_hi:[1,1,0] neg_lo:[0,0,1] neg_hi:[0,0,1]
	v_pk_fma_f32 v[2:3], v[6:7], s[6:7], v[2:3] op_sel:[0,0,1] op_sel_hi:[1,0,0]
	v_pk_mul_f32 v[6:7], v[44:45], s[2:3] op_sel_hi:[0,1]
	v_mov_b32_e32 v9, v3
	v_pk_add_f32 v[2:3], v[10:11], v[8:9]
	flat_store_dwordx2 v[0:1], v[2:3]
	flat_load_dwordx2 v[2:3], v[4:5] offset:128
	v_pk_fma_f32 v[8:9], v[42:43], s[2:3], v[6:7] op_sel:[0,1,0] op_sel_hi:[1,0,1] neg_lo:[0,0,1] neg_hi:[0,0,1]
	v_pk_fma_f32 v[6:7], v[42:43], s[2:3], v[6:7] op_sel:[0,1,0] op_sel_hi:[0,0,1]
	v_mov_b32_e32 v9, v7
	s_waitcnt vmcnt(0) lgkmcnt(0)
	v_pk_mul_f32 v[6:7], v[2:3], s[0:1] op_sel_hi:[1,0]
	s_nop 0
	v_pk_fma_f32 v[10:11], v[2:3], s[6:7], v[6:7] op_sel:[0,0,1] op_sel_hi:[1,1,0] neg_lo:[0,0,1] neg_hi:[0,0,1]
	v_pk_fma_f32 v[2:3], v[2:3], s[6:7], v[6:7] op_sel:[0,0,1] op_sel_hi:[1,0,0]
	v_mov_b32_e32 v6, v41
	v_mov_b32_e32 v11, v3
	v_pk_add_f32 v[2:3], v[8:9], v[10:11]
	flat_store_dwordx2 v[0:1], v[2:3] offset:128
	flat_load_dwordx2 v[2:3], v[4:5] offset:256
	v_pk_mul_f32 v[6:7], v[6:7], s[2:3] op_sel_hi:[0,1]
	v_pk_fma_f32 v[8:9], v[40:41], s[2:3], v[6:7] op_sel:[0,1,0] op_sel_hi:[1,0,1] neg_lo:[0,0,1] neg_hi:[0,0,1]
	v_pk_fma_f32 v[6:7], v[40:41], s[2:3], v[6:7] op_sel:[0,1,0] op_sel_hi:[0,0,1]
	v_mov_b32_e32 v9, v7
	s_waitcnt vmcnt(0) lgkmcnt(0)
	v_pk_mul_f32 v[6:7], v[2:3], s[0:1] op_sel_hi:[1,0]
	s_nop 0
	v_pk_fma_f32 v[10:11], v[2:3], s[6:7], v[6:7] op_sel:[0,0,1] op_sel_hi:[1,1,0] neg_lo:[0,0,1] neg_hi:[0,0,1]
	v_pk_fma_f32 v[2:3], v[2:3], s[6:7], v[6:7] op_sel:[0,0,1] op_sel_hi:[1,0,0]
	v_mov_b32_e32 v6, v58
	v_mov_b32_e32 v11, v3
	v_pk_add_f32 v[2:3], v[8:9], v[10:11]
	flat_store_dwordx2 v[0:1], v[2:3] offset:256
	flat_load_dwordx2 v[2:3], v[4:5] offset:384
	v_mul_f32_e32 v4, s3, v58
	s_mov_b32 s3, s7
	s_mov_b64 s[0:1], 0x180
	v_fma_f32 v8, -v59, s2, v4
	v_lshl_add_u64 v[4:5], v[0:1], 0, s[0:1]
	s_waitcnt vmcnt(0) lgkmcnt(0)
	v_mul_f32_e32 v9, s7, v3
	v_mov_b32_e32 v7, v2
	v_fma_f32 v9, v2, s6, -v9
	v_mov_b32_e32 v2, v59
	v_pk_mul_f32 v[2:3], v[2:3], s[10:11]
	v_add_f32_e32 v8, v8, v9
	v_pk_fma_f32 v[2:3], v[6:7], s[2:3], v[2:3]
	flat_store_dword v[0:1], v8 offset:384
	v_add_f32_e32 v6, v2, v3
.LBB240_7:
	flat_store_dword v[4:5], v6 offset:4
	s_endpgm
	.section	.rodata,"a",@progbits
	.p2align	6, 0x0
	.amdhsa_kernel _ZN12_GLOBAL__N_127rocblas_gemm_batched_kernelI19rocblas_complex_numIfELi16ELi16ELi64ELi64ELi4ELi64ELi4ELi4ELi64ELc67ELc84EKPKS2_S5_KPS2_EEvlllT_PT11_llSA_llS8_PT12_llPT13_lli
		.amdhsa_group_segment_fixed_size 4096
		.amdhsa_private_segment_fixed_size 0
		.amdhsa_kernarg_size 140
		.amdhsa_user_sgpr_count 2
		.amdhsa_user_sgpr_dispatch_ptr 0
		.amdhsa_user_sgpr_queue_ptr 0
		.amdhsa_user_sgpr_kernarg_segment_ptr 1
		.amdhsa_user_sgpr_dispatch_id 0
		.amdhsa_user_sgpr_kernarg_preload_length 0
		.amdhsa_user_sgpr_kernarg_preload_offset 0
		.amdhsa_user_sgpr_private_segment_size 0
		.amdhsa_uses_dynamic_stack 0
		.amdhsa_enable_private_segment 0
		.amdhsa_system_sgpr_workgroup_id_x 1
		.amdhsa_system_sgpr_workgroup_id_y 1
		.amdhsa_system_sgpr_workgroup_id_z 1
		.amdhsa_system_sgpr_workgroup_info 0
		.amdhsa_system_vgpr_workitem_id 1
		.amdhsa_next_free_vgpr 108
		.amdhsa_next_free_sgpr 42
		.amdhsa_accum_offset 108
		.amdhsa_reserve_vcc 1
		.amdhsa_float_round_mode_32 0
		.amdhsa_float_round_mode_16_64 0
		.amdhsa_float_denorm_mode_32 3
		.amdhsa_float_denorm_mode_16_64 3
		.amdhsa_dx10_clamp 1
		.amdhsa_ieee_mode 1
		.amdhsa_fp16_overflow 0
		.amdhsa_tg_split 0
		.amdhsa_exception_fp_ieee_invalid_op 0
		.amdhsa_exception_fp_denorm_src 0
		.amdhsa_exception_fp_ieee_div_zero 0
		.amdhsa_exception_fp_ieee_overflow 0
		.amdhsa_exception_fp_ieee_underflow 0
		.amdhsa_exception_fp_ieee_inexact 0
		.amdhsa_exception_int_div_zero 0
	.end_amdhsa_kernel
	.section	.text._ZN12_GLOBAL__N_127rocblas_gemm_batched_kernelI19rocblas_complex_numIfELi16ELi16ELi64ELi64ELi4ELi64ELi4ELi4ELi64ELc67ELc84EKPKS2_S5_KPS2_EEvlllT_PT11_llSA_llS8_PT12_llPT13_lli,"axG",@progbits,_ZN12_GLOBAL__N_127rocblas_gemm_batched_kernelI19rocblas_complex_numIfELi16ELi16ELi64ELi64ELi4ELi64ELi4ELi4ELi64ELc67ELc84EKPKS2_S5_KPS2_EEvlllT_PT11_llSA_llS8_PT12_llPT13_lli,comdat
.Lfunc_end240:
	.size	_ZN12_GLOBAL__N_127rocblas_gemm_batched_kernelI19rocblas_complex_numIfELi16ELi16ELi64ELi64ELi4ELi64ELi4ELi4ELi64ELc67ELc84EKPKS2_S5_KPS2_EEvlllT_PT11_llSA_llS8_PT12_llPT13_lli, .Lfunc_end240-_ZN12_GLOBAL__N_127rocblas_gemm_batched_kernelI19rocblas_complex_numIfELi16ELi16ELi64ELi64ELi4ELi64ELi4ELi4ELi64ELc67ELc84EKPKS2_S5_KPS2_EEvlllT_PT11_llSA_llS8_PT12_llPT13_lli
                                        ; -- End function
	.set _ZN12_GLOBAL__N_127rocblas_gemm_batched_kernelI19rocblas_complex_numIfELi16ELi16ELi64ELi64ELi4ELi64ELi4ELi4ELi64ELc67ELc84EKPKS2_S5_KPS2_EEvlllT_PT11_llSA_llS8_PT12_llPT13_lli.num_vgpr, 108
	.set _ZN12_GLOBAL__N_127rocblas_gemm_batched_kernelI19rocblas_complex_numIfELi16ELi16ELi64ELi64ELi4ELi64ELi4ELi4ELi64ELc67ELc84EKPKS2_S5_KPS2_EEvlllT_PT11_llSA_llS8_PT12_llPT13_lli.num_agpr, 0
	.set _ZN12_GLOBAL__N_127rocblas_gemm_batched_kernelI19rocblas_complex_numIfELi16ELi16ELi64ELi64ELi4ELi64ELi4ELi4ELi64ELc67ELc84EKPKS2_S5_KPS2_EEvlllT_PT11_llSA_llS8_PT12_llPT13_lli.numbered_sgpr, 42
	.set _ZN12_GLOBAL__N_127rocblas_gemm_batched_kernelI19rocblas_complex_numIfELi16ELi16ELi64ELi64ELi4ELi64ELi4ELi4ELi64ELc67ELc84EKPKS2_S5_KPS2_EEvlllT_PT11_llSA_llS8_PT12_llPT13_lli.num_named_barrier, 0
	.set _ZN12_GLOBAL__N_127rocblas_gemm_batched_kernelI19rocblas_complex_numIfELi16ELi16ELi64ELi64ELi4ELi64ELi4ELi4ELi64ELc67ELc84EKPKS2_S5_KPS2_EEvlllT_PT11_llSA_llS8_PT12_llPT13_lli.private_seg_size, 0
	.set _ZN12_GLOBAL__N_127rocblas_gemm_batched_kernelI19rocblas_complex_numIfELi16ELi16ELi64ELi64ELi4ELi64ELi4ELi4ELi64ELc67ELc84EKPKS2_S5_KPS2_EEvlllT_PT11_llSA_llS8_PT12_llPT13_lli.uses_vcc, 1
	.set _ZN12_GLOBAL__N_127rocblas_gemm_batched_kernelI19rocblas_complex_numIfELi16ELi16ELi64ELi64ELi4ELi64ELi4ELi4ELi64ELc67ELc84EKPKS2_S5_KPS2_EEvlllT_PT11_llSA_llS8_PT12_llPT13_lli.uses_flat_scratch, 0
	.set _ZN12_GLOBAL__N_127rocblas_gemm_batched_kernelI19rocblas_complex_numIfELi16ELi16ELi64ELi64ELi4ELi64ELi4ELi4ELi64ELc67ELc84EKPKS2_S5_KPS2_EEvlllT_PT11_llSA_llS8_PT12_llPT13_lli.has_dyn_sized_stack, 0
	.set _ZN12_GLOBAL__N_127rocblas_gemm_batched_kernelI19rocblas_complex_numIfELi16ELi16ELi64ELi64ELi4ELi64ELi4ELi4ELi64ELc67ELc84EKPKS2_S5_KPS2_EEvlllT_PT11_llSA_llS8_PT12_llPT13_lli.has_recursion, 0
	.set _ZN12_GLOBAL__N_127rocblas_gemm_batched_kernelI19rocblas_complex_numIfELi16ELi16ELi64ELi64ELi4ELi64ELi4ELi4ELi64ELc67ELc84EKPKS2_S5_KPS2_EEvlllT_PT11_llSA_llS8_PT12_llPT13_lli.has_indirect_call, 0
	.section	.AMDGPU.csdata,"",@progbits
; Kernel info:
; codeLenInByte = 5212
; TotalNumSgprs: 48
; NumVgprs: 108
; NumAgprs: 0
; TotalNumVgprs: 108
; ScratchSize: 0
; MemoryBound: 0
; FloatMode: 240
; IeeeMode: 1
; LDSByteSize: 4096 bytes/workgroup (compile time only)
; SGPRBlocks: 5
; VGPRBlocks: 13
; NumSGPRsForWavesPerEU: 48
; NumVGPRsForWavesPerEU: 108
; AccumOffset: 108
; Occupancy: 4
; WaveLimiterHint : 1
; COMPUTE_PGM_RSRC2:SCRATCH_EN: 0
; COMPUTE_PGM_RSRC2:USER_SGPR: 2
; COMPUTE_PGM_RSRC2:TRAP_HANDLER: 0
; COMPUTE_PGM_RSRC2:TGID_X_EN: 1
; COMPUTE_PGM_RSRC2:TGID_Y_EN: 1
; COMPUTE_PGM_RSRC2:TGID_Z_EN: 1
; COMPUTE_PGM_RSRC2:TIDIG_COMP_CNT: 1
; COMPUTE_PGM_RSRC3_GFX90A:ACCUM_OFFSET: 26
; COMPUTE_PGM_RSRC3_GFX90A:TG_SPLIT: 0
	.section	.text._ZN12_GLOBAL__N_127rocblas_gemm_batched_kernelI19rocblas_complex_numIfELi16ELi16ELi64ELi64ELi4ELi64ELi4ELi4ELi64ELc78ELc67EKPKS2_S5_KPS2_EEvlllT_PT11_llSA_llS8_PT12_llPT13_lli,"axG",@progbits,_ZN12_GLOBAL__N_127rocblas_gemm_batched_kernelI19rocblas_complex_numIfELi16ELi16ELi64ELi64ELi4ELi64ELi4ELi4ELi64ELc78ELc67EKPKS2_S5_KPS2_EEvlllT_PT11_llSA_llS8_PT12_llPT13_lli,comdat
	.globl	_ZN12_GLOBAL__N_127rocblas_gemm_batched_kernelI19rocblas_complex_numIfELi16ELi16ELi64ELi64ELi4ELi64ELi4ELi4ELi64ELc78ELc67EKPKS2_S5_KPS2_EEvlllT_PT11_llSA_llS8_PT12_llPT13_lli ; -- Begin function _ZN12_GLOBAL__N_127rocblas_gemm_batched_kernelI19rocblas_complex_numIfELi16ELi16ELi64ELi64ELi4ELi64ELi4ELi4ELi64ELc78ELc67EKPKS2_S5_KPS2_EEvlllT_PT11_llSA_llS8_PT12_llPT13_lli
	.p2align	8
	.type	_ZN12_GLOBAL__N_127rocblas_gemm_batched_kernelI19rocblas_complex_numIfELi16ELi16ELi64ELi64ELi4ELi64ELi4ELi4ELi64ELc78ELc67EKPKS2_S5_KPS2_EEvlllT_PT11_llSA_llS8_PT12_llPT13_lli,@function
_ZN12_GLOBAL__N_127rocblas_gemm_batched_kernelI19rocblas_complex_numIfELi16ELi16ELi64ELi64ELi4ELi64ELi4ELi4ELi64ELc78ELc67EKPKS2_S5_KPS2_EEvlllT_PT11_llSA_llS8_PT12_llPT13_lli: ; @_ZN12_GLOBAL__N_127rocblas_gemm_batched_kernelI19rocblas_complex_numIfELi16ELi16ELi64ELi64ELi4ELi64ELi4ELi4ELi64ELc78ELc67EKPKS2_S5_KPS2_EEvlllT_PT11_llSA_llS8_PT12_llPT13_lli
; %bb.0:
	s_load_dwordx16 s[8:23], s[0:1], 0x10
	s_load_dwordx4 s[36:39], s[0:1], 0x78
	s_load_dwordx8 s[24:31], s[0:1], 0x58
	s_load_dwordx2 s[6:7], s[0:1], 0x50
	s_mov_b32 s5, 0
	s_lshl_b64 s[34:35], s[4:5], 3
	s_mov_b32 s40, s3
	s_waitcnt lgkmcnt(0)
	s_add_u32 s0, s24, s34
	s_addc_u32 s1, s25, s35
	s_add_u32 s4, s30, s34
	s_addc_u32 s5, s31, s35
	s_load_dwordx2 s[0:1], s[0:1], 0x0
	v_mov_b32_e32 v39, 0
	s_load_dwordx2 s[4:5], s[4:5], 0x0
	s_ashr_i32 s3, s2, 31
	s_ashr_i32 s41, s40, 31
	v_cmp_lt_i64_e64 s[30:31], s[8:9], 1
	v_bfe_u32 v38, v0, 10, 10
	v_and_b32_e32 v36, 0x3ff, v0
	v_mov_b32_e32 v37, v39
	s_lshl_b64 s[2:3], s[2:3], 6
	s_lshl_b64 s[24:25], s[40:41], 6
	s_and_b64 vcc, exec, s[30:31]
	v_mov_b32_e32 v59, v39
	v_mov_b32_e32 v58, v39
	;; [unrolled: 1-line block ×32, first 2 shown]
	s_cbranch_vccnz .LBB241_3
; %bb.1:
	v_lshl_add_u32 v4, v38, 4, v36
	v_lshrrev_b32_e32 v40, 2, v4
	v_mov_b32_e32 v41, 0
	v_lshl_add_u64 v[0:1], v[40:41], 0, s[24:25]
	v_and_b32_e32 v5, 3, v36
	v_mad_u64_u32 v[0:1], s[30:31], s20, v5, v[0:1]
	v_mov_b32_e32 v2, v1
	v_mad_u64_u32 v[2:3], s[30:31], s21, v5, v[2:3]
	v_mov_b32_e32 v1, v2
	v_and_b32_e32 v2, 63, v4
	v_lshrrev_b32_e32 v7, 6, v4
	v_lshlrev_b32_e32 v4, 3, v2
	s_add_u32 s12, s12, s34
	v_lshl_or_b32 v43, v7, 9, v4
	v_lshlrev_b32_e32 v4, 3, v5
	s_addc_u32 s13, s13, s35
	v_lshl_or_b32 v4, v40, 5, v4
	s_load_dwordx2 s[12:13], s[12:13], 0x0
	v_add_u32_e32 v45, 0x800, v4
	v_mov_b32_e32 v4, 0x800
	s_add_u32 s18, s18, s34
	v_lshl_add_u32 v51, v38, 5, v4
	v_mov_b64_e32 v[4:5], s[2:3]
	s_addc_u32 s19, s19, s35
	v_mad_u64_u32 v[4:5], s[30:31], s14, v7, v[4:5]
	s_load_dwordx2 s[18:19], s[18:19], 0x0
	v_mov_b32_e32 v6, v5
	s_lshl_b64 s[16:17], s[16:17], 3
	v_mad_u64_u32 v[6:7], s[30:31], s15, v7, v[6:7]
	v_mov_b32_e32 v3, v41
	v_mov_b32_e32 v5, v6
	s_waitcnt lgkmcnt(0)
	s_add_u32 s12, s12, s16
	v_lshl_add_u64 v[2:3], v[4:5], 0, v[2:3]
	s_addc_u32 s13, s13, s17
	v_lshl_add_u64 v[48:49], v[2:3], 3, s[12:13]
	s_lshl_b64 s[12:13], s[14:15], 5
	s_lshl_b64 s[14:15], s[22:23], 3
	s_add_u32 s14, s18, s14
	s_addc_u32 s15, s19, s15
	v_lshlrev_b32_e32 v47, 3, v36
	v_lshl_add_u64 v[52:53], v[0:1], 3, s[14:15]
	s_lshl_b64 s[14:15], s[20:21], 5
	s_mov_b64 s[16:17], 0
	v_mov_b64_e32 v[54:55], s[8:9]
	v_mov_b32_e32 v40, v41
	v_mov_b32_e32 v44, v41
	;; [unrolled: 1-line block ×31, first 2 shown]
.LBB241_2:                              ; =>This Inner Loop Header: Depth=1
	flat_load_dwordx2 v[0:1], v[48:49]
	s_add_u32 s16, s16, 4
	s_addc_u32 s17, s17, 0
	v_cmp_lt_i64_e32 vcc, s[16:17], v[54:55]
	v_lshl_add_u64 v[48:49], v[48:49], 0, s[12:13]
	s_and_b64 vcc, exec, vcc
	s_waitcnt vmcnt(0) lgkmcnt(0)
	ds_write_b64 v43, v[0:1]
	flat_load_dwordx2 v[0:1], v[52:53]
	v_lshl_add_u64 v[52:53], v[52:53], 0, s[14:15]
	s_waitcnt vmcnt(0) lgkmcnt(0)
	v_xor_b32_e32 v1, 0x80000000, v1
	ds_write_b64 v45, v[0:1]
	s_waitcnt lgkmcnt(0)
	s_barrier
	ds_read_b128 v[0:3], v51
	ds_read_b128 v[32:35], v51 offset:16
	ds_read2_b64 v[8:11], v47 offset1:16
	ds_read2_b64 v[12:15], v47 offset0:32 offset1:48
	s_waitcnt lgkmcnt(1)
	v_mul_f32_e32 v4, v1, v9
	v_fma_f32 v4, v0, v8, -v4
	v_mul_f32_e32 v5, v0, v9
	v_add_f32_e32 v20, v102, v4
	v_mul_f32_e32 v4, v1, v11
	v_fmac_f32_e32 v5, v1, v8
	v_fma_f32 v4, v0, v10, -v4
	v_add_f32_e32 v21, v104, v5
	v_mul_f32_e32 v5, v0, v11
	v_add_f32_e32 v22, v98, v4
	s_waitcnt lgkmcnt(0)
	v_mul_f32_e32 v4, v1, v13
	v_fmac_f32_e32 v5, v1, v10
	v_fma_f32 v4, v0, v12, -v4
	v_add_f32_e32 v23, v100, v5
	v_mul_f32_e32 v5, v0, v13
	v_add_f32_e32 v57, v94, v4
	v_mul_f32_e32 v4, v1, v15
	v_fmac_f32_e32 v5, v1, v12
	v_fma_f32 v4, v0, v14, -v4
	v_mul_f32_e32 v0, v0, v15
	v_add_f32_e32 v61, v96, v5
	v_fmac_f32_e32 v0, v1, v14
	v_add_f32_e32 v1, v90, v4
	ds_read_b128 v[4:7], v51 offset:512
	ds_read_b128 v[104:107], v51 offset:1040
	v_add_f32_e32 v0, v92, v0
	s_waitcnt lgkmcnt(1)
	v_mul_f32_e32 v16, v5, v9
	v_fma_f32 v16, v4, v8, -v16
	v_mul_f32_e32 v17, v4, v9
	v_add_f32_e32 v63, v86, v16
	v_mul_f32_e32 v16, v5, v11
	v_fmac_f32_e32 v17, v5, v8
	v_fma_f32 v16, v4, v10, -v16
	v_add_f32_e32 v65, v88, v17
	v_mul_f32_e32 v17, v4, v11
	v_add_f32_e32 v67, v82, v16
	v_mul_f32_e32 v16, v5, v13
	v_fmac_f32_e32 v17, v5, v10
	v_fma_f32 v16, v4, v12, -v16
	v_add_f32_e32 v69, v84, v17
	v_mul_f32_e32 v17, v4, v13
	v_add_f32_e32 v71, v78, v16
	v_mul_f32_e32 v16, v5, v15
	v_fmac_f32_e32 v17, v5, v12
	v_fma_f32 v16, v4, v14, -v16
	v_mul_f32_e32 v4, v4, v15
	v_add_f32_e32 v73, v80, v17
	v_fmac_f32_e32 v4, v5, v14
	v_add_f32_e32 v5, v74, v16
	ds_read_b128 v[16:19], v51 offset:1024
	v_add_f32_e32 v4, v76, v4
	s_waitcnt lgkmcnt(0)
	v_mul_f32_e32 v24, v17, v9
	v_fma_f32 v24, v16, v8, -v24
	v_mul_f32_e32 v25, v16, v9
	v_add_f32_e32 v70, v70, v24
	v_mul_f32_e32 v24, v17, v11
	v_fmac_f32_e32 v25, v17, v8
	v_fma_f32 v24, v16, v10, -v24
	v_add_f32_e32 v72, v72, v25
	v_mul_f32_e32 v25, v16, v11
	v_add_f32_e32 v66, v66, v24
	v_mul_f32_e32 v24, v17, v13
	v_fmac_f32_e32 v25, v17, v10
	v_fma_f32 v24, v16, v12, -v24
	v_add_f32_e32 v68, v68, v25
	v_mul_f32_e32 v25, v16, v13
	v_add_f32_e32 v62, v62, v24
	v_mul_f32_e32 v24, v17, v15
	v_fmac_f32_e32 v25, v17, v12
	v_fma_f32 v24, v16, v14, -v24
	v_mul_f32_e32 v16, v16, v15
	v_add_f32_e32 v64, v64, v25
	v_fmac_f32_e32 v16, v17, v14
	v_add_f32_e32 v17, v56, v24
	ds_read2_b64 v[24:27], v47 offset0:64 offset1:80
	v_add_f32_e32 v16, v60, v16
	s_waitcnt lgkmcnt(0)
	v_mul_f32_e32 v28, v3, v25
	v_mul_f32_e32 v29, v2, v25
	v_fma_f32 v28, v2, v24, -v28
	v_fmac_f32_e32 v29, v3, v24
	v_add_f32_e32 v20, v20, v28
	v_add_f32_e32 v21, v21, v29
	v_mul_f32_e32 v28, v3, v27
	v_mul_f32_e32 v29, v2, v27
	v_fma_f32 v28, v2, v26, -v28
	v_fmac_f32_e32 v29, v3, v26
	v_add_f32_e32 v22, v22, v28
	v_add_f32_e32 v23, v23, v29
	ds_read2_b64 v[28:31], v47 offset0:96 offset1:112
	s_waitcnt lgkmcnt(0)
	v_mul_f32_e32 v56, v3, v29
	v_mul_f32_e32 v60, v2, v29
	v_fma_f32 v56, v2, v28, -v56
	v_fmac_f32_e32 v60, v3, v28
	v_add_f32_e32 v56, v57, v56
	v_add_f32_e32 v57, v61, v60
	v_mul_f32_e32 v60, v3, v31
	v_fma_f32 v60, v2, v30, -v60
	v_mul_f32_e32 v2, v2, v31
	v_fmac_f32_e32 v2, v3, v30
	v_add_f32_e32 v60, v1, v60
	v_add_f32_e32 v61, v0, v2
	v_mul_f32_e32 v0, v7, v25
	v_mul_f32_e32 v1, v6, v25
	v_fma_f32 v0, v6, v24, -v0
	v_fmac_f32_e32 v1, v7, v24
	v_add_f32_e32 v74, v63, v0
	v_add_f32_e32 v65, v65, v1
	v_mul_f32_e32 v0, v7, v27
	v_mul_f32_e32 v1, v6, v27
	v_fma_f32 v0, v6, v26, -v0
	;; [unrolled: 6-line block ×6, first 2 shown]
	v_fmac_f32_e32 v1, v19, v26
	ds_read2_b64 v[4:7], v47 offset0:128 offset1:144
	v_add_f32_e32 v66, v66, v0
	v_add_f32_e32 v68, v68, v1
	v_mul_f32_e32 v0, v19, v29
	v_mul_f32_e32 v1, v18, v29
	v_fma_f32 v0, v18, v28, -v0
	v_fmac_f32_e32 v1, v19, v28
	v_add_f32_e32 v77, v62, v0
	v_add_f32_e32 v64, v64, v1
	v_mul_f32_e32 v0, v19, v31
	v_mul_f32_e32 v1, v18, v31
	v_fma_f32 v0, v18, v30, -v0
	v_fmac_f32_e32 v1, v19, v30
	v_add_f32_e32 v17, v17, v0
	v_add_f32_e32 v16, v16, v1
	s_waitcnt lgkmcnt(0)
	v_mul_f32_e32 v0, v33, v5
	v_mul_f32_e32 v1, v32, v5
	v_fma_f32 v0, v32, v4, -v0
	v_fmac_f32_e32 v1, v33, v4
	v_add_f32_e32 v18, v20, v0
	v_add_f32_e32 v19, v21, v1
	v_mul_f32_e32 v0, v33, v7
	v_mul_f32_e32 v1, v32, v7
	v_fma_f32 v0, v32, v6, -v0
	v_fmac_f32_e32 v1, v33, v6
	v_add_f32_e32 v78, v22, v0
	v_add_f32_e32 v79, v23, v1
	ds_read2_b64 v[0:3], v47 offset0:160 offset1:176
	s_waitcnt lgkmcnt(0)
	v_mul_f32_e32 v20, v33, v1
	v_mul_f32_e32 v21, v32, v1
	v_fma_f32 v20, v32, v0, -v20
	v_fmac_f32_e32 v21, v33, v0
	v_add_f32_e32 v56, v56, v20
	v_add_f32_e32 v57, v57, v21
	v_mul_f32_e32 v20, v33, v3
	v_mul_f32_e32 v21, v32, v3
	v_fma_f32 v20, v32, v2, -v20
	v_fmac_f32_e32 v21, v33, v2
	v_add_f32_e32 v32, v60, v20
	v_add_f32_e32 v33, v61, v21
	ds_read_b128 v[60:63], v51 offset:528
	s_waitcnt lgkmcnt(0)
	v_mul_f32_e32 v20, v61, v5
	v_mul_f32_e32 v21, v60, v5
	v_fma_f32 v20, v60, v4, -v20
	v_fmac_f32_e32 v21, v61, v4
	v_add_f32_e32 v74, v74, v20
	v_add_f32_e32 v65, v65, v21
	v_mul_f32_e32 v20, v61, v7
	v_mul_f32_e32 v21, v60, v7
	v_fma_f32 v20, v60, v6, -v20
	v_fmac_f32_e32 v21, v61, v6
	v_add_f32_e32 v67, v67, v20
	v_add_f32_e32 v69, v69, v21
	;; [unrolled: 6-line block ×8, first 2 shown]
	ds_read2_b64 v[20:23], v47 offset0:192 offset1:208
	s_waitcnt lgkmcnt(0)
	v_mul_f32_e32 v16, v35, v21
	v_mul_f32_e32 v17, v34, v21
	v_fma_f32 v16, v34, v20, -v16
	v_fmac_f32_e32 v17, v35, v20
	v_add_f32_e32 v102, v18, v16
	v_add_f32_e32 v104, v19, v17
	v_mul_f32_e32 v16, v35, v23
	v_mul_f32_e32 v17, v34, v23
	v_fma_f32 v16, v34, v22, -v16
	v_fmac_f32_e32 v17, v35, v22
	v_add_f32_e32 v98, v78, v16
	v_add_f32_e32 v100, v79, v17
	ds_read2_b64 v[16:19], v47 offset0:224 offset1:240
	s_waitcnt lgkmcnt(0)
	v_mul_f32_e32 v76, v35, v17
	v_fma_f32 v76, v34, v16, -v76
	v_add_f32_e32 v94, v56, v76
	v_mul_f32_e32 v56, v35, v19
	v_mul_f32_e32 v78, v34, v17
	v_fma_f32 v56, v34, v18, -v56
	v_mul_f32_e32 v34, v34, v19
	v_fmac_f32_e32 v34, v35, v18
	v_add_f32_e32 v90, v32, v56
	v_add_f32_e32 v92, v33, v34
	v_mul_f32_e32 v32, v63, v21
	v_mul_f32_e32 v33, v62, v21
	v_fma_f32 v32, v62, v20, -v32
	v_fmac_f32_e32 v33, v63, v20
	v_add_f32_e32 v86, v74, v32
	v_add_f32_e32 v88, v65, v33
	v_mul_f32_e32 v32, v63, v23
	v_mul_f32_e32 v33, v62, v23
	v_fma_f32 v32, v62, v22, -v32
	v_fmac_f32_e32 v33, v63, v22
	v_add_f32_e32 v82, v67, v32
	v_add_f32_e32 v84, v69, v33
	v_mul_f32_e32 v32, v63, v17
	v_mul_f32_e32 v33, v62, v17
	v_fmac_f32_e32 v78, v35, v16
	v_fma_f32 v32, v62, v16, -v32
	v_fmac_f32_e32 v33, v63, v16
	v_add_f32_e32 v96, v57, v78
	v_add_f32_e32 v78, v71, v32
	;; [unrolled: 1-line block ×3, first 2 shown]
	v_mul_f32_e32 v32, v63, v19
	v_mul_f32_e32 v33, v62, v19
	v_fma_f32 v32, v62, v18, -v32
	v_fmac_f32_e32 v33, v63, v18
	v_add_f32_e32 v74, v60, v32
	v_add_f32_e32 v76, v61, v33
	v_mul_f32_e32 v32, v107, v21
	v_mul_f32_e32 v33, v106, v21
	v_fma_f32 v32, v106, v20, -v32
	v_fmac_f32_e32 v33, v107, v20
	v_add_f32_e32 v70, v70, v32
	v_add_f32_e32 v72, v72, v33
	;; [unrolled: 6-line block ×5, first 2 shown]
	ds_read_b128 v[32:35], v51 offset:1536
	s_waitcnt lgkmcnt(0)
	v_mul_f32_e32 v57, v33, v9
	v_mul_f32_e32 v9, v32, v9
	v_fmac_f32_e32 v9, v33, v8
	v_fma_f32 v57, v32, v8, -v57
	v_add_f32_e32 v50, v50, v9
	v_mul_f32_e32 v8, v33, v11
	v_mul_f32_e32 v9, v32, v11
	v_fma_f32 v8, v32, v10, -v8
	v_fmac_f32_e32 v9, v33, v10
	v_add_f32_e32 v42, v42, v8
	v_add_f32_e32 v44, v44, v9
	v_mul_f32_e32 v8, v33, v13
	v_mul_f32_e32 v9, v32, v13
	v_fma_f32 v8, v32, v12, -v8
	v_fmac_f32_e32 v9, v33, v12
	v_add_f32_e32 v12, v40, v8
	v_add_f32_e32 v13, v41, v9
	v_pk_mul_f32 v[8:9], v[32:33], v[14:15] op_sel:[1,1] op_sel_hi:[0,1]
	v_pk_fma_f32 v[10:11], v[32:33], v[14:15], v[8:9] neg_lo:[0,0,1] neg_hi:[0,0,1]
	v_pk_fma_f32 v[8:9], v[32:33], v[14:15], v[8:9] op_sel_hi:[1,0,1]
	v_add_f32_e32 v46, v46, v57
	v_mov_b32_e32 v11, v9
	v_pk_add_f32 v[8:9], v[58:59], v[10:11]
	v_mul_f32_e32 v10, v35, v25
	v_mul_f32_e32 v11, v34, v25
	v_fma_f32 v10, v34, v24, -v10
	v_fmac_f32_e32 v11, v35, v24
	v_add_f32_e32 v32, v46, v10
	v_add_f32_e32 v33, v50, v11
	v_mul_f32_e32 v10, v35, v27
	v_mul_f32_e32 v11, v34, v27
	v_fma_f32 v10, v34, v26, -v10
	v_fmac_f32_e32 v11, v35, v26
	v_add_f32_e32 v24, v42, v10
	v_add_f32_e32 v25, v44, v11
	;; [unrolled: 6-line block ×3, first 2 shown]
	v_pk_mul_f32 v[10:11], v[34:35], v[30:31] op_sel:[1,1] op_sel_hi:[0,1]
	v_pk_fma_f32 v[12:13], v[34:35], v[30:31], v[10:11] neg_lo:[0,0,1] neg_hi:[0,0,1]
	v_pk_fma_f32 v[10:11], v[34:35], v[30:31], v[10:11] op_sel_hi:[1,0,1]
	s_nop 0
	v_mov_b32_e32 v13, v11
	v_pk_add_f32 v[12:13], v[8:9], v[12:13]
	ds_read_b128 v[8:11], v51 offset:1552
	s_waitcnt lgkmcnt(0)
	s_barrier
	v_mul_f32_e32 v26, v9, v5
	v_mul_f32_e32 v5, v8, v5
	v_fma_f32 v26, v8, v4, -v26
	v_fmac_f32_e32 v5, v9, v4
	v_mul_f32_e32 v4, v9, v7
	v_add_f32_e32 v27, v33, v5
	v_fma_f32 v4, v8, v6, -v4
	v_mul_f32_e32 v5, v8, v7
	v_fmac_f32_e32 v5, v9, v6
	v_add_f32_e32 v6, v24, v4
	v_mul_f32_e32 v4, v9, v1
	v_mul_f32_e32 v1, v8, v1
	v_fmac_f32_e32 v1, v9, v0
	v_fma_f32 v4, v8, v0, -v4
	v_add_f32_e32 v15, v15, v1
	v_pk_mul_f32 v[0:1], v[8:9], v[2:3] op_sel:[1,1] op_sel_hi:[0,1]
	v_add_f32_e32 v7, v25, v5
	v_add_f32_e32 v14, v14, v4
	v_pk_fma_f32 v[4:5], v[8:9], v[2:3], v[0:1] neg_lo:[0,0,1] neg_hi:[0,0,1]
	v_pk_fma_f32 v[0:1], v[8:9], v[2:3], v[0:1] op_sel_hi:[1,0,1]
	v_mul_f32_e32 v2, v11, v21
	v_mul_f32_e32 v3, v10, v21
	v_add_f32_e32 v26, v32, v26
	v_fma_f32 v2, v10, v20, -v2
	v_fmac_f32_e32 v3, v11, v20
	v_add_f32_e32 v46, v26, v2
	v_add_f32_e32 v50, v27, v3
	v_mul_f32_e32 v2, v11, v23
	v_mul_f32_e32 v3, v10, v23
	v_fma_f32 v2, v10, v22, -v2
	v_fmac_f32_e32 v3, v11, v22
	v_add_f32_e32 v42, v6, v2
	v_add_f32_e32 v44, v7, v3
	v_mul_f32_e32 v2, v11, v17
	v_mul_f32_e32 v3, v10, v17
	v_fma_f32 v2, v10, v16, -v2
	v_fmac_f32_e32 v3, v11, v16
	v_mov_b32_e32 v5, v1
	v_add_f32_e32 v40, v14, v2
	v_add_f32_e32 v41, v15, v3
	v_pk_mul_f32 v[2:3], v[10:11], v[18:19] op_sel:[1,1] op_sel_hi:[0,1]
	v_pk_add_f32 v[0:1], v[12:13], v[4:5]
	v_pk_fma_f32 v[4:5], v[10:11], v[18:19], v[2:3] neg_lo:[0,0,1] neg_hi:[0,0,1]
	v_pk_fma_f32 v[2:3], v[10:11], v[18:19], v[2:3] op_sel_hi:[1,0,1]
	s_nop 0
	v_mov_b32_e32 v5, v3
	v_pk_add_f32 v[58:59], v[0:1], v[4:5]
	s_cbranch_vccnz .LBB241_2
.LBB241_3:
	s_lshl_b64 s[8:9], s[38:39], 3
	s_waitcnt lgkmcnt(0)
	s_add_u32 s4, s4, s8
	s_addc_u32 s5, s5, s9
	s_or_b32 s8, s6, s7
	s_bitset0_b32 s8, 31
	v_lshl_add_u64 v[2:3], s[24:25], 0, v[38:39]
	s_cmp_lg_u32 s8, 0
	v_lshl_add_u64 v[0:1], s[2:3], 0, v[36:37]
	s_mov_b32 s2, s11
	s_mov_b32 s3, s10
	s_cbranch_scc1 .LBB241_5
; %bb.4:
	v_mul_lo_u32 v6, v3, s36
	v_mul_lo_u32 v7, v2, s37
	v_mad_u64_u32 v[4:5], s[8:9], v2, s36, 0
	v_add3_u32 v5, v5, v7, v6
	v_pk_mul_f32 v[6:7], v[104:105], s[2:3] op_sel_hi:[0,1]
	v_lshl_add_u64 v[4:5], v[4:5], 3, s[4:5]
	v_lshlrev_b64 v[8:9], 3, v[0:1]
	v_pk_fma_f32 v[12:13], v[102:103], s[2:3], v[6:7] op_sel:[0,1,0] op_sel_hi:[1,0,1] neg_lo:[0,0,1] neg_hi:[0,0,1]
	v_pk_fma_f32 v[6:7], v[102:103], s[2:3], v[6:7] op_sel:[0,1,0] op_sel_hi:[0,0,1]
	v_lshl_add_u64 v[10:11], v[4:5], 0, v[8:9]
	v_mov_b32_e32 v13, v7
	v_pk_mul_f32 v[6:7], v[100:101], s[2:3] op_sel_hi:[0,1]
	flat_store_dwordx2 v[10:11], v[12:13]
	v_pk_fma_f32 v[12:13], v[98:99], s[2:3], v[6:7] op_sel:[0,1,0] op_sel_hi:[1,0,1] neg_lo:[0,0,1] neg_hi:[0,0,1]
	v_pk_fma_f32 v[6:7], v[98:99], s[2:3], v[6:7] op_sel:[0,1,0] op_sel_hi:[0,0,1]
	v_mov_b32_e32 v13, v7
	v_pk_mul_f32 v[6:7], v[96:97], s[2:3] op_sel_hi:[0,1]
	flat_store_dwordx2 v[10:11], v[12:13] offset:128
	v_pk_fma_f32 v[12:13], v[94:95], s[2:3], v[6:7] op_sel:[0,1,0] op_sel_hi:[1,0,1] neg_lo:[0,0,1] neg_hi:[0,0,1]
	v_pk_fma_f32 v[6:7], v[94:95], s[2:3], v[6:7] op_sel:[0,1,0] op_sel_hi:[0,0,1]
	v_mov_b32_e32 v13, v7
	v_pk_mul_f32 v[6:7], v[92:93], s[2:3] op_sel_hi:[0,1]
	flat_store_dwordx2 v[10:11], v[12:13] offset:256
	v_pk_fma_f32 v[12:13], v[90:91], s[2:3], v[6:7] op_sel:[0,1,0] op_sel_hi:[1,0,1] neg_lo:[0,0,1] neg_hi:[0,0,1]
	v_pk_fma_f32 v[6:7], v[90:91], s[2:3], v[6:7] op_sel:[0,1,0] op_sel_hi:[0,0,1]
	v_mov_b32_e32 v13, v7
	s_lshl_b64 s[8:9], s[36:37], 7
	v_pk_mul_f32 v[6:7], v[88:89], s[2:3] op_sel_hi:[0,1]
	flat_store_dwordx2 v[10:11], v[12:13] offset:384
	v_lshl_add_u64 v[4:5], v[4:5], 0, s[8:9]
	v_pk_fma_f32 v[12:13], v[86:87], s[2:3], v[6:7] op_sel:[0,1,0] op_sel_hi:[1,0,1] neg_lo:[0,0,1] neg_hi:[0,0,1]
	v_pk_fma_f32 v[6:7], v[86:87], s[2:3], v[6:7] op_sel:[0,1,0] op_sel_hi:[0,0,1]
	v_lshl_add_u64 v[10:11], v[4:5], 0, v[8:9]
	v_mov_b32_e32 v13, v7
	v_pk_mul_f32 v[6:7], v[84:85], s[2:3] op_sel_hi:[0,1]
	flat_store_dwordx2 v[10:11], v[12:13]
	v_pk_fma_f32 v[12:13], v[82:83], s[2:3], v[6:7] op_sel:[0,1,0] op_sel_hi:[1,0,1] neg_lo:[0,0,1] neg_hi:[0,0,1]
	v_pk_fma_f32 v[6:7], v[82:83], s[2:3], v[6:7] op_sel:[0,1,0] op_sel_hi:[0,0,1]
	v_mov_b32_e32 v13, v7
	v_pk_mul_f32 v[6:7], v[80:81], s[2:3] op_sel_hi:[0,1]
	flat_store_dwordx2 v[10:11], v[12:13] offset:128
	v_pk_fma_f32 v[12:13], v[78:79], s[2:3], v[6:7] op_sel:[0,1,0] op_sel_hi:[1,0,1] neg_lo:[0,0,1] neg_hi:[0,0,1]
	v_pk_fma_f32 v[6:7], v[78:79], s[2:3], v[6:7] op_sel:[0,1,0] op_sel_hi:[0,0,1]
	v_mov_b32_e32 v13, v7
	v_pk_mul_f32 v[6:7], v[76:77], s[2:3] op_sel_hi:[0,1]
	flat_store_dwordx2 v[10:11], v[12:13] offset:256
	;; [unrolled: 5-line block ×3, first 2 shown]
	v_lshl_add_u64 v[4:5], v[4:5], 0, s[8:9]
	v_pk_fma_f32 v[12:13], v[70:71], s[2:3], v[6:7] op_sel:[0,1,0] op_sel_hi:[1,0,1] neg_lo:[0,0,1] neg_hi:[0,0,1]
	v_pk_fma_f32 v[6:7], v[70:71], s[2:3], v[6:7] op_sel:[0,1,0] op_sel_hi:[0,0,1]
	v_lshl_add_u64 v[10:11], v[4:5], 0, v[8:9]
	v_mov_b32_e32 v13, v7
	v_pk_mul_f32 v[6:7], v[68:69], s[2:3] op_sel_hi:[0,1]
	flat_store_dwordx2 v[10:11], v[12:13]
	v_pk_fma_f32 v[12:13], v[66:67], s[2:3], v[6:7] op_sel:[0,1,0] op_sel_hi:[1,0,1] neg_lo:[0,0,1] neg_hi:[0,0,1]
	v_pk_fma_f32 v[6:7], v[66:67], s[2:3], v[6:7] op_sel:[0,1,0] op_sel_hi:[0,0,1]
	v_mov_b32_e32 v13, v7
	v_pk_mul_f32 v[6:7], v[64:65], s[2:3] op_sel_hi:[0,1]
	flat_store_dwordx2 v[10:11], v[12:13] offset:128
	v_pk_fma_f32 v[12:13], v[62:63], s[2:3], v[6:7] op_sel:[0,1,0] op_sel_hi:[1,0,1] neg_lo:[0,0,1] neg_hi:[0,0,1]
	v_pk_fma_f32 v[6:7], v[62:63], s[2:3], v[6:7] op_sel:[0,1,0] op_sel_hi:[0,0,1]
	v_mov_b32_e32 v13, v7
	v_pk_mul_f32 v[6:7], v[60:61], s[2:3] op_sel_hi:[0,1]
	flat_store_dwordx2 v[10:11], v[12:13] offset:256
	v_pk_fma_f32 v[12:13], v[56:57], s[2:3], v[6:7] op_sel:[0,1,0] op_sel_hi:[1,0,1] neg_lo:[0,0,1] neg_hi:[0,0,1]
	v_pk_fma_f32 v[6:7], v[56:57], s[2:3], v[6:7] op_sel:[0,1,0] op_sel_hi:[0,0,1]
	v_mov_b32_e32 v13, v7
	v_lshl_add_u64 v[4:5], v[4:5], 0, s[8:9]
	v_pk_mul_f32 v[6:7], v[50:51], s[2:3] op_sel_hi:[0,1]
	v_lshl_add_u64 v[8:9], v[4:5], 0, v[8:9]
	v_pk_fma_f32 v[4:5], v[46:47], s[2:3], v[6:7] op_sel:[0,1,0] op_sel_hi:[1,0,1] neg_lo:[0,0,1] neg_hi:[0,0,1]
	v_pk_fma_f32 v[6:7], v[46:47], s[2:3], v[6:7] op_sel:[0,1,0] op_sel_hi:[0,0,1]
	v_mov_b32_e32 v5, v7
	flat_store_dwordx2 v[10:11], v[12:13] offset:384
	flat_store_dwordx2 v[8:9], v[4:5]
	v_pk_mul_f32 v[4:5], v[44:45], s[2:3] op_sel_hi:[0,1]
	v_pk_fma_f32 v[6:7], v[42:43], s[2:3], v[4:5] op_sel:[0,1,0] op_sel_hi:[1,0,1] neg_lo:[0,0,1] neg_hi:[0,0,1]
	v_pk_fma_f32 v[4:5], v[42:43], s[2:3], v[4:5] op_sel:[0,1,0] op_sel_hi:[0,0,1]
	v_mov_b32_e32 v4, v41
	v_mov_b32_e32 v7, v5
	v_pk_mul_f32 v[4:5], v[4:5], s[2:3] op_sel_hi:[0,1]
	flat_store_dwordx2 v[8:9], v[6:7] offset:128
	v_pk_fma_f32 v[6:7], v[40:41], s[2:3], v[4:5] op_sel:[0,1,0] op_sel_hi:[1,0,1] neg_lo:[0,0,1] neg_hi:[0,0,1]
	v_pk_fma_f32 v[4:5], v[40:41], s[2:3], v[4:5] op_sel:[0,1,0] op_sel_hi:[0,0,1]
	v_mov_b32_e32 v7, v5
	v_mul_f32_e32 v4, s3, v58
	flat_store_dwordx2 v[8:9], v[6:7] offset:256
	v_fma_f32 v7, -v59, s2, v4
	v_pk_mul_f32 v[4:5], v[58:59], s[2:3]
	s_mov_b64 s[8:9], 0x180
	v_add_f32_e32 v6, v4, v5
	v_lshl_add_u64 v[4:5], v[8:9], 0, s[8:9]
	flat_store_dword v[8:9], v7 offset:384
	s_cbranch_execz .LBB241_6
	s_branch .LBB241_7
.LBB241_5:
                                        ; implicit-def: $vgpr6
                                        ; implicit-def: $vgpr4_vgpr5
.LBB241_6:
	s_lshl_b64 s[8:9], s[28:29], 3
	s_add_u32 s0, s0, s8
	s_addc_u32 s1, s1, s9
	v_mul_lo_u32 v6, v3, s26
	v_mul_lo_u32 v7, v2, s27
	v_mad_u64_u32 v[4:5], s[8:9], v2, s26, 0
	v_add3_u32 v5, v5, v7, v6
	v_lshl_add_u64 v[4:5], v[4:5], 3, s[0:1]
	v_lshlrev_b64 v[0:1], 3, v[0:1]
	v_lshl_add_u64 v[6:7], v[4:5], 0, v[0:1]
	flat_load_dwordx2 v[8:9], v[6:7]
	v_mul_lo_u32 v12, v3, s36
	v_mul_lo_u32 v13, v2, s37
	v_mad_u64_u32 v[2:3], s[0:1], v2, s36, 0
	s_mov_b32 s0, s7
	v_pk_mul_f32 v[10:11], v[104:105], s[2:3] op_sel_hi:[0,1]
	v_add3_u32 v3, v3, v13, v12
	v_pk_fma_f32 v[12:13], v[102:103], s[2:3], v[10:11] op_sel:[0,1,0] op_sel_hi:[1,0,1] neg_lo:[0,0,1] neg_hi:[0,0,1]
	v_pk_fma_f32 v[10:11], v[102:103], s[2:3], v[10:11] op_sel:[0,1,0] op_sel_hi:[0,0,1]
	v_lshl_add_u64 v[2:3], v[2:3], 3, s[4:5]
	v_mov_b32_e32 v13, v11
	v_lshl_add_u64 v[10:11], v[2:3], 0, v[0:1]
	s_lshl_b64 s[4:5], s[26:27], 7
	v_lshl_add_u64 v[4:5], v[4:5], 0, s[4:5]
	s_lshl_b64 s[8:9], s[36:37], 7
	v_lshl_add_u64 v[2:3], v[2:3], 0, s[8:9]
	s_mov_b32 s11, s6
	s_waitcnt vmcnt(0) lgkmcnt(0)
	v_pk_mul_f32 v[14:15], v[8:9], s[0:1] op_sel_hi:[1,0]
	s_nop 0
	v_pk_fma_f32 v[16:17], v[8:9], s[6:7], v[14:15] op_sel:[0,0,1] op_sel_hi:[1,1,0] neg_lo:[0,0,1] neg_hi:[0,0,1]
	v_pk_fma_f32 v[8:9], v[8:9], s[6:7], v[14:15] op_sel:[0,0,1] op_sel_hi:[1,0,0]
	s_nop 0
	v_mov_b32_e32 v17, v9
	v_pk_add_f32 v[8:9], v[12:13], v[16:17]
	flat_store_dwordx2 v[10:11], v[8:9]
	flat_load_dwordx2 v[8:9], v[6:7] offset:128
	v_pk_mul_f32 v[12:13], v[100:101], s[2:3] op_sel_hi:[0,1]
	v_pk_fma_f32 v[14:15], v[98:99], s[2:3], v[12:13] op_sel:[0,1,0] op_sel_hi:[1,0,1] neg_lo:[0,0,1] neg_hi:[0,0,1]
	v_pk_fma_f32 v[12:13], v[98:99], s[2:3], v[12:13] op_sel:[0,1,0] op_sel_hi:[0,0,1]
	v_mov_b32_e32 v15, v13
	s_waitcnt vmcnt(0) lgkmcnt(0)
	v_pk_mul_f32 v[12:13], v[8:9], s[0:1] op_sel_hi:[1,0]
	s_nop 0
	v_pk_fma_f32 v[16:17], v[8:9], s[6:7], v[12:13] op_sel:[0,0,1] op_sel_hi:[1,1,0] neg_lo:[0,0,1] neg_hi:[0,0,1]
	v_pk_fma_f32 v[8:9], v[8:9], s[6:7], v[12:13] op_sel:[0,0,1] op_sel_hi:[1,0,0]
	v_pk_mul_f32 v[12:13], v[96:97], s[2:3] op_sel_hi:[0,1]
	v_mov_b32_e32 v17, v9
	v_pk_add_f32 v[8:9], v[14:15], v[16:17]
	flat_store_dwordx2 v[10:11], v[8:9] offset:128
	flat_load_dwordx2 v[8:9], v[6:7] offset:256
	v_pk_fma_f32 v[14:15], v[94:95], s[2:3], v[12:13] op_sel:[0,1,0] op_sel_hi:[1,0,1] neg_lo:[0,0,1] neg_hi:[0,0,1]
	v_pk_fma_f32 v[12:13], v[94:95], s[2:3], v[12:13] op_sel:[0,1,0] op_sel_hi:[0,0,1]
	v_mov_b32_e32 v15, v13
	s_waitcnt vmcnt(0) lgkmcnt(0)
	v_pk_mul_f32 v[12:13], v[8:9], s[0:1] op_sel_hi:[1,0]
	s_nop 0
	v_pk_fma_f32 v[16:17], v[8:9], s[6:7], v[12:13] op_sel:[0,0,1] op_sel_hi:[1,1,0] neg_lo:[0,0,1] neg_hi:[0,0,1]
	v_pk_fma_f32 v[8:9], v[8:9], s[6:7], v[12:13] op_sel:[0,0,1] op_sel_hi:[1,0,0]
	s_nop 0
	v_mov_b32_e32 v17, v9
	v_pk_add_f32 v[8:9], v[14:15], v[16:17]
	flat_store_dwordx2 v[10:11], v[8:9] offset:256
	flat_load_dwordx2 v[6:7], v[6:7] offset:384
	v_pk_mul_f32 v[8:9], v[92:93], s[2:3] op_sel_hi:[0,1]
	v_pk_fma_f32 v[12:13], v[90:91], s[2:3], v[8:9] op_sel:[0,1,0] op_sel_hi:[1,0,1] neg_lo:[0,0,1] neg_hi:[0,0,1]
	v_pk_fma_f32 v[8:9], v[90:91], s[2:3], v[8:9] op_sel:[0,1,0] op_sel_hi:[0,0,1]
	v_mov_b32_e32 v13, v9
	v_lshl_add_u64 v[8:9], v[4:5], 0, v[0:1]
	v_lshl_add_u64 v[4:5], v[4:5], 0, s[4:5]
	s_waitcnt vmcnt(0) lgkmcnt(0)
	v_pk_mul_f32 v[14:15], v[6:7], s[0:1] op_sel_hi:[1,0]
	s_nop 0
	v_pk_fma_f32 v[16:17], v[6:7], s[6:7], v[14:15] op_sel:[0,0,1] op_sel_hi:[1,1,0] neg_lo:[0,0,1] neg_hi:[0,0,1]
	v_pk_fma_f32 v[6:7], v[6:7], s[6:7], v[14:15] op_sel:[0,0,1] op_sel_hi:[1,0,0]
	s_nop 0
	v_mov_b32_e32 v17, v7
	v_pk_add_f32 v[6:7], v[12:13], v[16:17]
	flat_store_dwordx2 v[10:11], v[6:7] offset:384
	flat_load_dwordx2 v[6:7], v[8:9]
	v_pk_mul_f32 v[10:11], v[88:89], s[2:3] op_sel_hi:[0,1]
	v_pk_fma_f32 v[12:13], v[86:87], s[2:3], v[10:11] op_sel:[0,1,0] op_sel_hi:[1,0,1] neg_lo:[0,0,1] neg_hi:[0,0,1]
	v_pk_fma_f32 v[10:11], v[86:87], s[2:3], v[10:11] op_sel:[0,1,0] op_sel_hi:[0,0,1]
	v_mov_b32_e32 v13, v11
	v_lshl_add_u64 v[10:11], v[2:3], 0, v[0:1]
	v_lshl_add_u64 v[2:3], v[2:3], 0, s[8:9]
	s_waitcnt vmcnt(0) lgkmcnt(0)
	v_pk_mul_f32 v[14:15], v[6:7], s[0:1] op_sel_hi:[1,0]
	s_nop 0
	v_pk_fma_f32 v[16:17], v[6:7], s[6:7], v[14:15] op_sel:[0,0,1] op_sel_hi:[1,1,0] neg_lo:[0,0,1] neg_hi:[0,0,1]
	v_pk_fma_f32 v[6:7], v[6:7], s[6:7], v[14:15] op_sel:[0,0,1] op_sel_hi:[1,0,0]
	s_nop 0
	v_mov_b32_e32 v17, v7
	v_pk_add_f32 v[6:7], v[12:13], v[16:17]
	flat_store_dwordx2 v[10:11], v[6:7]
	flat_load_dwordx2 v[6:7], v[8:9] offset:128
	v_pk_mul_f32 v[12:13], v[84:85], s[2:3] op_sel_hi:[0,1]
	v_pk_fma_f32 v[14:15], v[82:83], s[2:3], v[12:13] op_sel:[0,1,0] op_sel_hi:[1,0,1] neg_lo:[0,0,1] neg_hi:[0,0,1]
	v_pk_fma_f32 v[12:13], v[82:83], s[2:3], v[12:13] op_sel:[0,1,0] op_sel_hi:[0,0,1]
	v_mov_b32_e32 v15, v13
	s_waitcnt vmcnt(0) lgkmcnt(0)
	v_pk_mul_f32 v[12:13], v[6:7], s[0:1] op_sel_hi:[1,0]
	s_nop 0
	v_pk_fma_f32 v[16:17], v[6:7], s[6:7], v[12:13] op_sel:[0,0,1] op_sel_hi:[1,1,0] neg_lo:[0,0,1] neg_hi:[0,0,1]
	v_pk_fma_f32 v[6:7], v[6:7], s[6:7], v[12:13] op_sel:[0,0,1] op_sel_hi:[1,0,0]
	v_pk_mul_f32 v[12:13], v[80:81], s[2:3] op_sel_hi:[0,1]
	v_mov_b32_e32 v17, v7
	v_pk_add_f32 v[6:7], v[14:15], v[16:17]
	flat_store_dwordx2 v[10:11], v[6:7] offset:128
	flat_load_dwordx2 v[6:7], v[8:9] offset:256
	v_pk_fma_f32 v[14:15], v[78:79], s[2:3], v[12:13] op_sel:[0,1,0] op_sel_hi:[1,0,1] neg_lo:[0,0,1] neg_hi:[0,0,1]
	v_pk_fma_f32 v[12:13], v[78:79], s[2:3], v[12:13] op_sel:[0,1,0] op_sel_hi:[0,0,1]
	v_mov_b32_e32 v15, v13
	s_waitcnt vmcnt(0) lgkmcnt(0)
	v_pk_mul_f32 v[12:13], v[6:7], s[0:1] op_sel_hi:[1,0]
	s_nop 0
	v_pk_fma_f32 v[16:17], v[6:7], s[6:7], v[12:13] op_sel:[0,0,1] op_sel_hi:[1,1,0] neg_lo:[0,0,1] neg_hi:[0,0,1]
	v_pk_fma_f32 v[6:7], v[6:7], s[6:7], v[12:13] op_sel:[0,0,1] op_sel_hi:[1,0,0]
	s_nop 0
	v_mov_b32_e32 v17, v7
	v_pk_add_f32 v[6:7], v[14:15], v[16:17]
	flat_store_dwordx2 v[10:11], v[6:7] offset:256
	flat_load_dwordx2 v[6:7], v[8:9] offset:384
	v_pk_mul_f32 v[8:9], v[76:77], s[2:3] op_sel_hi:[0,1]
	v_pk_fma_f32 v[12:13], v[74:75], s[2:3], v[8:9] op_sel:[0,1,0] op_sel_hi:[1,0,1] neg_lo:[0,0,1] neg_hi:[0,0,1]
	v_pk_fma_f32 v[8:9], v[74:75], s[2:3], v[8:9] op_sel:[0,1,0] op_sel_hi:[0,0,1]
	v_mov_b32_e32 v13, v9
	v_lshl_add_u64 v[8:9], v[4:5], 0, v[0:1]
	v_lshl_add_u64 v[4:5], v[4:5], 0, s[4:5]
	v_lshl_add_u64 v[4:5], v[4:5], 0, v[0:1]
	s_waitcnt vmcnt(0) lgkmcnt(0)
	v_pk_mul_f32 v[14:15], v[6:7], s[0:1] op_sel_hi:[1,0]
	s_nop 0
	v_pk_fma_f32 v[16:17], v[6:7], s[6:7], v[14:15] op_sel:[0,0,1] op_sel_hi:[1,1,0] neg_lo:[0,0,1] neg_hi:[0,0,1]
	v_pk_fma_f32 v[6:7], v[6:7], s[6:7], v[14:15] op_sel:[0,0,1] op_sel_hi:[1,0,0]
	s_nop 0
	v_mov_b32_e32 v17, v7
	v_pk_add_f32 v[6:7], v[12:13], v[16:17]
	flat_store_dwordx2 v[10:11], v[6:7] offset:384
	flat_load_dwordx2 v[6:7], v[8:9]
	v_pk_mul_f32 v[10:11], v[72:73], s[2:3] op_sel_hi:[0,1]
	v_pk_fma_f32 v[12:13], v[70:71], s[2:3], v[10:11] op_sel:[0,1,0] op_sel_hi:[1,0,1] neg_lo:[0,0,1] neg_hi:[0,0,1]
	v_pk_fma_f32 v[10:11], v[70:71], s[2:3], v[10:11] op_sel:[0,1,0] op_sel_hi:[0,0,1]
	v_mov_b32_e32 v13, v11
	v_lshl_add_u64 v[10:11], v[2:3], 0, v[0:1]
	v_lshl_add_u64 v[2:3], v[2:3], 0, s[8:9]
	;; [unrolled: 1-line block ×3, first 2 shown]
	s_waitcnt vmcnt(0) lgkmcnt(0)
	v_pk_mul_f32 v[14:15], v[6:7], s[0:1] op_sel_hi:[1,0]
	s_nop 0
	v_pk_fma_f32 v[16:17], v[6:7], s[6:7], v[14:15] op_sel:[0,0,1] op_sel_hi:[1,1,0] neg_lo:[0,0,1] neg_hi:[0,0,1]
	v_pk_fma_f32 v[6:7], v[6:7], s[6:7], v[14:15] op_sel:[0,0,1] op_sel_hi:[1,0,0]
	s_nop 0
	v_mov_b32_e32 v17, v7
	v_pk_add_f32 v[6:7], v[12:13], v[16:17]
	flat_store_dwordx2 v[10:11], v[6:7]
	flat_load_dwordx2 v[6:7], v[8:9] offset:128
	v_pk_mul_f32 v[12:13], v[68:69], s[2:3] op_sel_hi:[0,1]
	v_pk_fma_f32 v[14:15], v[66:67], s[2:3], v[12:13] op_sel:[0,1,0] op_sel_hi:[1,0,1] neg_lo:[0,0,1] neg_hi:[0,0,1]
	v_pk_fma_f32 v[12:13], v[66:67], s[2:3], v[12:13] op_sel:[0,1,0] op_sel_hi:[0,0,1]
	v_mov_b32_e32 v15, v13
	s_waitcnt vmcnt(0) lgkmcnt(0)
	v_pk_mul_f32 v[12:13], v[6:7], s[0:1] op_sel_hi:[1,0]
	s_nop 0
	v_pk_fma_f32 v[16:17], v[6:7], s[6:7], v[12:13] op_sel:[0,0,1] op_sel_hi:[1,1,0] neg_lo:[0,0,1] neg_hi:[0,0,1]
	v_pk_fma_f32 v[6:7], v[6:7], s[6:7], v[12:13] op_sel:[0,0,1] op_sel_hi:[1,0,0]
	v_pk_mul_f32 v[12:13], v[64:65], s[2:3] op_sel_hi:[0,1]
	v_mov_b32_e32 v17, v7
	v_pk_add_f32 v[6:7], v[14:15], v[16:17]
	flat_store_dwordx2 v[10:11], v[6:7] offset:128
	flat_load_dwordx2 v[6:7], v[8:9] offset:256
	v_pk_fma_f32 v[14:15], v[62:63], s[2:3], v[12:13] op_sel:[0,1,0] op_sel_hi:[1,0,1] neg_lo:[0,0,1] neg_hi:[0,0,1]
	v_pk_fma_f32 v[12:13], v[62:63], s[2:3], v[12:13] op_sel:[0,1,0] op_sel_hi:[0,0,1]
	v_mov_b32_e32 v15, v13
	s_waitcnt vmcnt(0) lgkmcnt(0)
	v_pk_mul_f32 v[12:13], v[6:7], s[0:1] op_sel_hi:[1,0]
	s_nop 0
	v_pk_fma_f32 v[16:17], v[6:7], s[6:7], v[12:13] op_sel:[0,0,1] op_sel_hi:[1,1,0] neg_lo:[0,0,1] neg_hi:[0,0,1]
	v_pk_fma_f32 v[6:7], v[6:7], s[6:7], v[12:13] op_sel:[0,0,1] op_sel_hi:[1,0,0]
	s_nop 0
	v_mov_b32_e32 v17, v7
	v_pk_add_f32 v[6:7], v[14:15], v[16:17]
	flat_store_dwordx2 v[10:11], v[6:7] offset:256
	flat_load_dwordx2 v[6:7], v[8:9] offset:384
	v_pk_mul_f32 v[8:9], v[60:61], s[2:3] op_sel_hi:[0,1]
	v_pk_fma_f32 v[12:13], v[56:57], s[2:3], v[8:9] op_sel:[0,1,0] op_sel_hi:[1,0,1] neg_lo:[0,0,1] neg_hi:[0,0,1]
	v_pk_fma_f32 v[8:9], v[56:57], s[2:3], v[8:9] op_sel:[0,1,0] op_sel_hi:[0,0,1]
	v_mov_b32_e32 v13, v9
	s_waitcnt vmcnt(0) lgkmcnt(0)
	v_pk_mul_f32 v[8:9], v[6:7], s[0:1] op_sel_hi:[1,0]
	s_nop 0
	v_pk_fma_f32 v[14:15], v[6:7], s[6:7], v[8:9] op_sel:[0,0,1] op_sel_hi:[1,1,0] neg_lo:[0,0,1] neg_hi:[0,0,1]
	v_pk_fma_f32 v[6:7], v[6:7], s[6:7], v[8:9] op_sel:[0,0,1] op_sel_hi:[1,0,0]
	v_pk_mul_f32 v[8:9], v[50:51], s[2:3] op_sel_hi:[0,1]
	v_mov_b32_e32 v15, v7
	v_pk_add_f32 v[6:7], v[12:13], v[14:15]
	flat_store_dwordx2 v[10:11], v[6:7] offset:384
	flat_load_dwordx2 v[6:7], v[4:5]
	v_pk_fma_f32 v[10:11], v[46:47], s[2:3], v[8:9] op_sel:[0,1,0] op_sel_hi:[1,0,1] neg_lo:[0,0,1] neg_hi:[0,0,1]
	v_pk_fma_f32 v[8:9], v[46:47], s[2:3], v[8:9] op_sel:[0,1,0] op_sel_hi:[0,0,1]
	v_mov_b32_e32 v11, v9
	s_waitcnt vmcnt(0) lgkmcnt(0)
	v_pk_mul_f32 v[2:3], v[6:7], s[0:1] op_sel_hi:[1,0]
	s_nop 0
	v_pk_fma_f32 v[8:9], v[6:7], s[6:7], v[2:3] op_sel:[0,0,1] op_sel_hi:[1,1,0] neg_lo:[0,0,1] neg_hi:[0,0,1]
	v_pk_fma_f32 v[2:3], v[6:7], s[6:7], v[2:3] op_sel:[0,0,1] op_sel_hi:[1,0,0]
	v_pk_mul_f32 v[6:7], v[44:45], s[2:3] op_sel_hi:[0,1]
	v_mov_b32_e32 v9, v3
	v_pk_add_f32 v[2:3], v[10:11], v[8:9]
	flat_store_dwordx2 v[0:1], v[2:3]
	flat_load_dwordx2 v[2:3], v[4:5] offset:128
	v_pk_fma_f32 v[8:9], v[42:43], s[2:3], v[6:7] op_sel:[0,1,0] op_sel_hi:[1,0,1] neg_lo:[0,0,1] neg_hi:[0,0,1]
	v_pk_fma_f32 v[6:7], v[42:43], s[2:3], v[6:7] op_sel:[0,1,0] op_sel_hi:[0,0,1]
	v_mov_b32_e32 v9, v7
	s_waitcnt vmcnt(0) lgkmcnt(0)
	v_pk_mul_f32 v[6:7], v[2:3], s[0:1] op_sel_hi:[1,0]
	s_nop 0
	v_pk_fma_f32 v[10:11], v[2:3], s[6:7], v[6:7] op_sel:[0,0,1] op_sel_hi:[1,1,0] neg_lo:[0,0,1] neg_hi:[0,0,1]
	v_pk_fma_f32 v[2:3], v[2:3], s[6:7], v[6:7] op_sel:[0,0,1] op_sel_hi:[1,0,0]
	v_mov_b32_e32 v6, v41
	v_mov_b32_e32 v11, v3
	v_pk_add_f32 v[2:3], v[8:9], v[10:11]
	flat_store_dwordx2 v[0:1], v[2:3] offset:128
	flat_load_dwordx2 v[2:3], v[4:5] offset:256
	v_pk_mul_f32 v[6:7], v[6:7], s[2:3] op_sel_hi:[0,1]
	v_pk_fma_f32 v[8:9], v[40:41], s[2:3], v[6:7] op_sel:[0,1,0] op_sel_hi:[1,0,1] neg_lo:[0,0,1] neg_hi:[0,0,1]
	v_pk_fma_f32 v[6:7], v[40:41], s[2:3], v[6:7] op_sel:[0,1,0] op_sel_hi:[0,0,1]
	v_mov_b32_e32 v9, v7
	s_waitcnt vmcnt(0) lgkmcnt(0)
	v_pk_mul_f32 v[6:7], v[2:3], s[0:1] op_sel_hi:[1,0]
	s_nop 0
	v_pk_fma_f32 v[10:11], v[2:3], s[6:7], v[6:7] op_sel:[0,0,1] op_sel_hi:[1,1,0] neg_lo:[0,0,1] neg_hi:[0,0,1]
	v_pk_fma_f32 v[2:3], v[2:3], s[6:7], v[6:7] op_sel:[0,0,1] op_sel_hi:[1,0,0]
	v_mov_b32_e32 v6, v58
	v_mov_b32_e32 v11, v3
	v_pk_add_f32 v[2:3], v[8:9], v[10:11]
	flat_store_dwordx2 v[0:1], v[2:3] offset:256
	flat_load_dwordx2 v[2:3], v[4:5] offset:384
	v_mul_f32_e32 v4, s3, v58
	s_mov_b32 s3, s7
	s_mov_b64 s[0:1], 0x180
	v_fma_f32 v8, -v59, s2, v4
	v_lshl_add_u64 v[4:5], v[0:1], 0, s[0:1]
	s_waitcnt vmcnt(0) lgkmcnt(0)
	v_mul_f32_e32 v9, s7, v3
	v_mov_b32_e32 v7, v2
	v_fma_f32 v9, v2, s6, -v9
	v_mov_b32_e32 v2, v59
	v_pk_mul_f32 v[2:3], v[2:3], s[10:11]
	v_add_f32_e32 v8, v8, v9
	v_pk_fma_f32 v[2:3], v[6:7], s[2:3], v[2:3]
	flat_store_dword v[0:1], v8 offset:384
	v_add_f32_e32 v6, v2, v3
.LBB241_7:
	flat_store_dword v[4:5], v6 offset:4
	s_endpgm
	.section	.rodata,"a",@progbits
	.p2align	6, 0x0
	.amdhsa_kernel _ZN12_GLOBAL__N_127rocblas_gemm_batched_kernelI19rocblas_complex_numIfELi16ELi16ELi64ELi64ELi4ELi64ELi4ELi4ELi64ELc78ELc67EKPKS2_S5_KPS2_EEvlllT_PT11_llSA_llS8_PT12_llPT13_lli
		.amdhsa_group_segment_fixed_size 4096
		.amdhsa_private_segment_fixed_size 0
		.amdhsa_kernarg_size 140
		.amdhsa_user_sgpr_count 2
		.amdhsa_user_sgpr_dispatch_ptr 0
		.amdhsa_user_sgpr_queue_ptr 0
		.amdhsa_user_sgpr_kernarg_segment_ptr 1
		.amdhsa_user_sgpr_dispatch_id 0
		.amdhsa_user_sgpr_kernarg_preload_length 0
		.amdhsa_user_sgpr_kernarg_preload_offset 0
		.amdhsa_user_sgpr_private_segment_size 0
		.amdhsa_uses_dynamic_stack 0
		.amdhsa_enable_private_segment 0
		.amdhsa_system_sgpr_workgroup_id_x 1
		.amdhsa_system_sgpr_workgroup_id_y 1
		.amdhsa_system_sgpr_workgroup_id_z 1
		.amdhsa_system_sgpr_workgroup_info 0
		.amdhsa_system_vgpr_workitem_id 1
		.amdhsa_next_free_vgpr 108
		.amdhsa_next_free_sgpr 42
		.amdhsa_accum_offset 108
		.amdhsa_reserve_vcc 1
		.amdhsa_float_round_mode_32 0
		.amdhsa_float_round_mode_16_64 0
		.amdhsa_float_denorm_mode_32 3
		.amdhsa_float_denorm_mode_16_64 3
		.amdhsa_dx10_clamp 1
		.amdhsa_ieee_mode 1
		.amdhsa_fp16_overflow 0
		.amdhsa_tg_split 0
		.amdhsa_exception_fp_ieee_invalid_op 0
		.amdhsa_exception_fp_denorm_src 0
		.amdhsa_exception_fp_ieee_div_zero 0
		.amdhsa_exception_fp_ieee_overflow 0
		.amdhsa_exception_fp_ieee_underflow 0
		.amdhsa_exception_fp_ieee_inexact 0
		.amdhsa_exception_int_div_zero 0
	.end_amdhsa_kernel
	.section	.text._ZN12_GLOBAL__N_127rocblas_gemm_batched_kernelI19rocblas_complex_numIfELi16ELi16ELi64ELi64ELi4ELi64ELi4ELi4ELi64ELc78ELc67EKPKS2_S5_KPS2_EEvlllT_PT11_llSA_llS8_PT12_llPT13_lli,"axG",@progbits,_ZN12_GLOBAL__N_127rocblas_gemm_batched_kernelI19rocblas_complex_numIfELi16ELi16ELi64ELi64ELi4ELi64ELi4ELi4ELi64ELc78ELc67EKPKS2_S5_KPS2_EEvlllT_PT11_llSA_llS8_PT12_llPT13_lli,comdat
.Lfunc_end241:
	.size	_ZN12_GLOBAL__N_127rocblas_gemm_batched_kernelI19rocblas_complex_numIfELi16ELi16ELi64ELi64ELi4ELi64ELi4ELi4ELi64ELc78ELc67EKPKS2_S5_KPS2_EEvlllT_PT11_llSA_llS8_PT12_llPT13_lli, .Lfunc_end241-_ZN12_GLOBAL__N_127rocblas_gemm_batched_kernelI19rocblas_complex_numIfELi16ELi16ELi64ELi64ELi4ELi64ELi4ELi4ELi64ELc78ELc67EKPKS2_S5_KPS2_EEvlllT_PT11_llSA_llS8_PT12_llPT13_lli
                                        ; -- End function
	.set _ZN12_GLOBAL__N_127rocblas_gemm_batched_kernelI19rocblas_complex_numIfELi16ELi16ELi64ELi64ELi4ELi64ELi4ELi4ELi64ELc78ELc67EKPKS2_S5_KPS2_EEvlllT_PT11_llSA_llS8_PT12_llPT13_lli.num_vgpr, 108
	.set _ZN12_GLOBAL__N_127rocblas_gemm_batched_kernelI19rocblas_complex_numIfELi16ELi16ELi64ELi64ELi4ELi64ELi4ELi4ELi64ELc78ELc67EKPKS2_S5_KPS2_EEvlllT_PT11_llSA_llS8_PT12_llPT13_lli.num_agpr, 0
	.set _ZN12_GLOBAL__N_127rocblas_gemm_batched_kernelI19rocblas_complex_numIfELi16ELi16ELi64ELi64ELi4ELi64ELi4ELi4ELi64ELc78ELc67EKPKS2_S5_KPS2_EEvlllT_PT11_llSA_llS8_PT12_llPT13_lli.numbered_sgpr, 42
	.set _ZN12_GLOBAL__N_127rocblas_gemm_batched_kernelI19rocblas_complex_numIfELi16ELi16ELi64ELi64ELi4ELi64ELi4ELi4ELi64ELc78ELc67EKPKS2_S5_KPS2_EEvlllT_PT11_llSA_llS8_PT12_llPT13_lli.num_named_barrier, 0
	.set _ZN12_GLOBAL__N_127rocblas_gemm_batched_kernelI19rocblas_complex_numIfELi16ELi16ELi64ELi64ELi4ELi64ELi4ELi4ELi64ELc78ELc67EKPKS2_S5_KPS2_EEvlllT_PT11_llSA_llS8_PT12_llPT13_lli.private_seg_size, 0
	.set _ZN12_GLOBAL__N_127rocblas_gemm_batched_kernelI19rocblas_complex_numIfELi16ELi16ELi64ELi64ELi4ELi64ELi4ELi4ELi64ELc78ELc67EKPKS2_S5_KPS2_EEvlllT_PT11_llSA_llS8_PT12_llPT13_lli.uses_vcc, 1
	.set _ZN12_GLOBAL__N_127rocblas_gemm_batched_kernelI19rocblas_complex_numIfELi16ELi16ELi64ELi64ELi4ELi64ELi4ELi4ELi64ELc78ELc67EKPKS2_S5_KPS2_EEvlllT_PT11_llSA_llS8_PT12_llPT13_lli.uses_flat_scratch, 0
	.set _ZN12_GLOBAL__N_127rocblas_gemm_batched_kernelI19rocblas_complex_numIfELi16ELi16ELi64ELi64ELi4ELi64ELi4ELi4ELi64ELc78ELc67EKPKS2_S5_KPS2_EEvlllT_PT11_llSA_llS8_PT12_llPT13_lli.has_dyn_sized_stack, 0
	.set _ZN12_GLOBAL__N_127rocblas_gemm_batched_kernelI19rocblas_complex_numIfELi16ELi16ELi64ELi64ELi4ELi64ELi4ELi4ELi64ELc78ELc67EKPKS2_S5_KPS2_EEvlllT_PT11_llSA_llS8_PT12_llPT13_lli.has_recursion, 0
	.set _ZN12_GLOBAL__N_127rocblas_gemm_batched_kernelI19rocblas_complex_numIfELi16ELi16ELi64ELi64ELi4ELi64ELi4ELi4ELi64ELc78ELc67EKPKS2_S5_KPS2_EEvlllT_PT11_llSA_llS8_PT12_llPT13_lli.has_indirect_call, 0
	.section	.AMDGPU.csdata,"",@progbits
; Kernel info:
; codeLenInByte = 5200
; TotalNumSgprs: 48
; NumVgprs: 108
; NumAgprs: 0
; TotalNumVgprs: 108
; ScratchSize: 0
; MemoryBound: 0
; FloatMode: 240
; IeeeMode: 1
; LDSByteSize: 4096 bytes/workgroup (compile time only)
; SGPRBlocks: 5
; VGPRBlocks: 13
; NumSGPRsForWavesPerEU: 48
; NumVGPRsForWavesPerEU: 108
; AccumOffset: 108
; Occupancy: 4
; WaveLimiterHint : 1
; COMPUTE_PGM_RSRC2:SCRATCH_EN: 0
; COMPUTE_PGM_RSRC2:USER_SGPR: 2
; COMPUTE_PGM_RSRC2:TRAP_HANDLER: 0
; COMPUTE_PGM_RSRC2:TGID_X_EN: 1
; COMPUTE_PGM_RSRC2:TGID_Y_EN: 1
; COMPUTE_PGM_RSRC2:TGID_Z_EN: 1
; COMPUTE_PGM_RSRC2:TIDIG_COMP_CNT: 1
; COMPUTE_PGM_RSRC3_GFX90A:ACCUM_OFFSET: 26
; COMPUTE_PGM_RSRC3_GFX90A:TG_SPLIT: 0
	.section	.text._ZN12_GLOBAL__N_127rocblas_gemm_batched_kernelI19rocblas_complex_numIfELi16ELi16ELi64ELi64ELi4ELi64ELi4ELi4ELi64ELc84ELc67EKPKS2_S5_KPS2_EEvlllT_PT11_llSA_llS8_PT12_llPT13_lli,"axG",@progbits,_ZN12_GLOBAL__N_127rocblas_gemm_batched_kernelI19rocblas_complex_numIfELi16ELi16ELi64ELi64ELi4ELi64ELi4ELi4ELi64ELc84ELc67EKPKS2_S5_KPS2_EEvlllT_PT11_llSA_llS8_PT12_llPT13_lli,comdat
	.globl	_ZN12_GLOBAL__N_127rocblas_gemm_batched_kernelI19rocblas_complex_numIfELi16ELi16ELi64ELi64ELi4ELi64ELi4ELi4ELi64ELc84ELc67EKPKS2_S5_KPS2_EEvlllT_PT11_llSA_llS8_PT12_llPT13_lli ; -- Begin function _ZN12_GLOBAL__N_127rocblas_gemm_batched_kernelI19rocblas_complex_numIfELi16ELi16ELi64ELi64ELi4ELi64ELi4ELi4ELi64ELc84ELc67EKPKS2_S5_KPS2_EEvlllT_PT11_llSA_llS8_PT12_llPT13_lli
	.p2align	8
	.type	_ZN12_GLOBAL__N_127rocblas_gemm_batched_kernelI19rocblas_complex_numIfELi16ELi16ELi64ELi64ELi4ELi64ELi4ELi4ELi64ELc84ELc67EKPKS2_S5_KPS2_EEvlllT_PT11_llSA_llS8_PT12_llPT13_lli,@function
_ZN12_GLOBAL__N_127rocblas_gemm_batched_kernelI19rocblas_complex_numIfELi16ELi16ELi64ELi64ELi4ELi64ELi4ELi4ELi64ELc84ELc67EKPKS2_S5_KPS2_EEvlllT_PT11_llSA_llS8_PT12_llPT13_lli: ; @_ZN12_GLOBAL__N_127rocblas_gemm_batched_kernelI19rocblas_complex_numIfELi16ELi16ELi64ELi64ELi4ELi64ELi4ELi4ELi64ELc84ELc67EKPKS2_S5_KPS2_EEvlllT_PT11_llSA_llS8_PT12_llPT13_lli
; %bb.0:
	s_load_dwordx16 s[8:23], s[0:1], 0x10
	s_load_dwordx4 s[36:39], s[0:1], 0x78
	s_load_dwordx8 s[24:31], s[0:1], 0x58
	s_load_dwordx2 s[6:7], s[0:1], 0x50
	s_mov_b32 s5, 0
	s_lshl_b64 s[34:35], s[4:5], 3
	s_mov_b32 s40, s3
	s_waitcnt lgkmcnt(0)
	s_add_u32 s0, s24, s34
	s_addc_u32 s1, s25, s35
	s_add_u32 s4, s30, s34
	s_addc_u32 s5, s31, s35
	s_load_dwordx2 s[0:1], s[0:1], 0x0
	v_mov_b32_e32 v39, 0
	s_load_dwordx2 s[4:5], s[4:5], 0x0
	s_ashr_i32 s3, s2, 31
	s_ashr_i32 s41, s40, 31
	v_cmp_lt_i64_e64 s[30:31], s[8:9], 1
	v_bfe_u32 v38, v0, 10, 10
	v_and_b32_e32 v36, 0x3ff, v0
	v_mov_b32_e32 v37, v39
	s_lshl_b64 s[2:3], s[2:3], 6
	s_lshl_b64 s[24:25], s[40:41], 6
	s_and_b64 vcc, exec, s[30:31]
	v_mov_b32_e32 v59, v39
	v_mov_b32_e32 v58, v39
	;; [unrolled: 1-line block ×32, first 2 shown]
	s_cbranch_vccnz .LBB242_3
; %bb.1:
	v_lshl_add_u32 v4, v38, 4, v36
	v_lshrrev_b32_e32 v40, 2, v4
	v_mov_b32_e32 v41, 0
	v_lshl_add_u64 v[0:1], v[40:41], 0, s[24:25]
	v_and_b32_e32 v5, 3, v36
	v_mad_u64_u32 v[0:1], s[30:31], s20, v5, v[0:1]
	s_add_u32 s12, s12, s34
	v_mov_b32_e32 v2, v1
	s_addc_u32 s13, s13, s35
	v_mad_u64_u32 v[2:3], s[30:31], s21, v5, v[2:3]
	v_lshlrev_b32_e32 v5, 3, v5
	s_add_u32 s18, s18, s34
	v_mov_b32_e32 v1, v2
	v_and_b32_e32 v2, 63, v4
	v_mov_b32_e32 v3, v41
	v_lshl_or_b32 v5, v40, 5, v5
	s_load_dwordx2 s[12:13], s[12:13], 0x0
	s_addc_u32 s19, s19, s35
	v_lshrrev_b32_e32 v4, 6, v4
	v_lshlrev_b32_e32 v6, 3, v2
	v_add_u32_e32 v45, 0x800, v5
	v_mov_b32_e32 v5, 0x800
	v_lshl_add_u64 v[2:3], s[2:3], 0, v[2:3]
	s_load_dwordx2 s[18:19], s[18:19], 0x0
	v_lshl_or_b32 v43, v4, 9, v6
	v_lshl_add_u32 v49, v38, 5, v5
	v_mul_lo_u32 v5, s15, v2
	v_mul_lo_u32 v6, s14, v3
	v_mad_u64_u32 v[2:3], s[14:15], s14, v2, 0
	v_add3_u32 v3, v3, v6, v5
	s_lshl_b64 s[14:15], s[16:17], 3
	v_lshl_add_u64 v[2:3], v[2:3], 3, s[14:15]
	v_lshlrev_b32_e32 v40, 3, v4
	v_lshl_add_u64 v[2:3], v[2:3], 0, v[40:41]
	s_waitcnt lgkmcnt(0)
	v_lshl_add_u64 v[50:51], s[12:13], 0, v[2:3]
	s_lshl_b64 s[12:13], s[22:23], 3
	s_add_u32 s12, s18, s12
	s_addc_u32 s13, s19, s13
	v_lshlrev_b32_e32 v47, 3, v36
	v_lshl_add_u64 v[52:53], v[0:1], 3, s[12:13]
	s_lshl_b64 s[12:13], s[20:21], 5
	s_mov_b64 s[14:15], 0
	v_mov_b64_e32 v[54:55], s[8:9]
	v_mov_b32_e32 v40, v41
	v_mov_b32_e32 v44, v41
	;; [unrolled: 1-line block ×31, first 2 shown]
.LBB242_2:                              ; =>This Inner Loop Header: Depth=1
	flat_load_dwordx2 v[0:1], v[50:51]
	s_add_u32 s14, s14, 4
	s_addc_u32 s15, s15, 0
	v_cmp_lt_i64_e32 vcc, s[14:15], v[54:55]
	v_lshl_add_u64 v[50:51], v[50:51], 0, 32
	s_and_b64 vcc, exec, vcc
	s_waitcnt vmcnt(0) lgkmcnt(0)
	ds_write_b64 v43, v[0:1]
	flat_load_dwordx2 v[0:1], v[52:53]
	v_lshl_add_u64 v[52:53], v[52:53], 0, s[12:13]
	s_waitcnt vmcnt(0) lgkmcnt(0)
	v_xor_b32_e32 v1, 0x80000000, v1
	ds_write_b64 v45, v[0:1]
	s_waitcnt lgkmcnt(0)
	s_barrier
	ds_read_b128 v[0:3], v49
	ds_read_b128 v[32:35], v49 offset:16
	ds_read2_b64 v[8:11], v47 offset1:16
	ds_read2_b64 v[12:15], v47 offset0:32 offset1:48
	s_waitcnt lgkmcnt(1)
	v_mul_f32_e32 v4, v1, v9
	v_fma_f32 v4, v0, v8, -v4
	v_mul_f32_e32 v5, v0, v9
	v_add_f32_e32 v20, v102, v4
	v_mul_f32_e32 v4, v1, v11
	v_fmac_f32_e32 v5, v1, v8
	v_fma_f32 v4, v0, v10, -v4
	v_add_f32_e32 v21, v104, v5
	v_mul_f32_e32 v5, v0, v11
	v_add_f32_e32 v22, v98, v4
	s_waitcnt lgkmcnt(0)
	v_mul_f32_e32 v4, v1, v13
	v_fmac_f32_e32 v5, v1, v10
	v_fma_f32 v4, v0, v12, -v4
	v_add_f32_e32 v23, v100, v5
	v_mul_f32_e32 v5, v0, v13
	v_add_f32_e32 v57, v94, v4
	v_mul_f32_e32 v4, v1, v15
	v_fmac_f32_e32 v5, v1, v12
	v_fma_f32 v4, v0, v14, -v4
	v_mul_f32_e32 v0, v0, v15
	v_add_f32_e32 v61, v96, v5
	v_fmac_f32_e32 v0, v1, v14
	v_add_f32_e32 v1, v90, v4
	ds_read_b128 v[4:7], v49 offset:512
	ds_read_b128 v[104:107], v49 offset:1040
	v_add_f32_e32 v0, v92, v0
	s_waitcnt lgkmcnt(1)
	v_mul_f32_e32 v16, v5, v9
	v_fma_f32 v16, v4, v8, -v16
	v_mul_f32_e32 v17, v4, v9
	v_add_f32_e32 v63, v86, v16
	v_mul_f32_e32 v16, v5, v11
	v_fmac_f32_e32 v17, v5, v8
	v_fma_f32 v16, v4, v10, -v16
	v_add_f32_e32 v65, v88, v17
	v_mul_f32_e32 v17, v4, v11
	v_add_f32_e32 v67, v82, v16
	v_mul_f32_e32 v16, v5, v13
	v_fmac_f32_e32 v17, v5, v10
	v_fma_f32 v16, v4, v12, -v16
	v_add_f32_e32 v69, v84, v17
	v_mul_f32_e32 v17, v4, v13
	v_add_f32_e32 v71, v78, v16
	v_mul_f32_e32 v16, v5, v15
	v_fmac_f32_e32 v17, v5, v12
	v_fma_f32 v16, v4, v14, -v16
	v_mul_f32_e32 v4, v4, v15
	v_add_f32_e32 v73, v80, v17
	v_fmac_f32_e32 v4, v5, v14
	v_add_f32_e32 v5, v74, v16
	ds_read_b128 v[16:19], v49 offset:1024
	v_add_f32_e32 v4, v76, v4
	s_waitcnt lgkmcnt(0)
	v_mul_f32_e32 v24, v17, v9
	v_fma_f32 v24, v16, v8, -v24
	v_mul_f32_e32 v25, v16, v9
	v_add_f32_e32 v70, v70, v24
	v_mul_f32_e32 v24, v17, v11
	v_fmac_f32_e32 v25, v17, v8
	v_fma_f32 v24, v16, v10, -v24
	v_add_f32_e32 v72, v72, v25
	v_mul_f32_e32 v25, v16, v11
	v_add_f32_e32 v66, v66, v24
	v_mul_f32_e32 v24, v17, v13
	v_fmac_f32_e32 v25, v17, v10
	v_fma_f32 v24, v16, v12, -v24
	v_add_f32_e32 v68, v68, v25
	v_mul_f32_e32 v25, v16, v13
	v_add_f32_e32 v62, v62, v24
	v_mul_f32_e32 v24, v17, v15
	v_fmac_f32_e32 v25, v17, v12
	v_fma_f32 v24, v16, v14, -v24
	v_mul_f32_e32 v16, v16, v15
	v_add_f32_e32 v64, v64, v25
	v_fmac_f32_e32 v16, v17, v14
	v_add_f32_e32 v17, v56, v24
	ds_read2_b64 v[24:27], v47 offset0:64 offset1:80
	v_add_f32_e32 v16, v60, v16
	s_waitcnt lgkmcnt(0)
	v_mul_f32_e32 v28, v3, v25
	v_mul_f32_e32 v29, v2, v25
	v_fma_f32 v28, v2, v24, -v28
	v_fmac_f32_e32 v29, v3, v24
	v_add_f32_e32 v20, v20, v28
	v_add_f32_e32 v21, v21, v29
	v_mul_f32_e32 v28, v3, v27
	v_mul_f32_e32 v29, v2, v27
	v_fma_f32 v28, v2, v26, -v28
	v_fmac_f32_e32 v29, v3, v26
	v_add_f32_e32 v22, v22, v28
	v_add_f32_e32 v23, v23, v29
	ds_read2_b64 v[28:31], v47 offset0:96 offset1:112
	s_waitcnt lgkmcnt(0)
	v_mul_f32_e32 v56, v3, v29
	v_mul_f32_e32 v60, v2, v29
	v_fma_f32 v56, v2, v28, -v56
	v_fmac_f32_e32 v60, v3, v28
	v_add_f32_e32 v56, v57, v56
	v_add_f32_e32 v57, v61, v60
	v_mul_f32_e32 v60, v3, v31
	v_fma_f32 v60, v2, v30, -v60
	v_mul_f32_e32 v2, v2, v31
	v_fmac_f32_e32 v2, v3, v30
	v_add_f32_e32 v60, v1, v60
	v_add_f32_e32 v61, v0, v2
	v_mul_f32_e32 v0, v7, v25
	v_mul_f32_e32 v1, v6, v25
	v_fma_f32 v0, v6, v24, -v0
	v_fmac_f32_e32 v1, v7, v24
	v_add_f32_e32 v74, v63, v0
	v_add_f32_e32 v65, v65, v1
	v_mul_f32_e32 v0, v7, v27
	v_mul_f32_e32 v1, v6, v27
	v_fma_f32 v0, v6, v26, -v0
	;; [unrolled: 6-line block ×6, first 2 shown]
	v_fmac_f32_e32 v1, v19, v26
	ds_read2_b64 v[4:7], v47 offset0:128 offset1:144
	v_add_f32_e32 v66, v66, v0
	v_add_f32_e32 v68, v68, v1
	v_mul_f32_e32 v0, v19, v29
	v_mul_f32_e32 v1, v18, v29
	v_fma_f32 v0, v18, v28, -v0
	v_fmac_f32_e32 v1, v19, v28
	v_add_f32_e32 v77, v62, v0
	v_add_f32_e32 v64, v64, v1
	v_mul_f32_e32 v0, v19, v31
	v_mul_f32_e32 v1, v18, v31
	v_fma_f32 v0, v18, v30, -v0
	v_fmac_f32_e32 v1, v19, v30
	v_add_f32_e32 v17, v17, v0
	v_add_f32_e32 v16, v16, v1
	s_waitcnt lgkmcnt(0)
	v_mul_f32_e32 v0, v33, v5
	v_mul_f32_e32 v1, v32, v5
	v_fma_f32 v0, v32, v4, -v0
	v_fmac_f32_e32 v1, v33, v4
	v_add_f32_e32 v18, v20, v0
	v_add_f32_e32 v19, v21, v1
	v_mul_f32_e32 v0, v33, v7
	v_mul_f32_e32 v1, v32, v7
	v_fma_f32 v0, v32, v6, -v0
	v_fmac_f32_e32 v1, v33, v6
	v_add_f32_e32 v78, v22, v0
	v_add_f32_e32 v79, v23, v1
	ds_read2_b64 v[0:3], v47 offset0:160 offset1:176
	s_waitcnt lgkmcnt(0)
	v_mul_f32_e32 v20, v33, v1
	v_mul_f32_e32 v21, v32, v1
	v_fma_f32 v20, v32, v0, -v20
	v_fmac_f32_e32 v21, v33, v0
	v_add_f32_e32 v56, v56, v20
	v_add_f32_e32 v57, v57, v21
	v_mul_f32_e32 v20, v33, v3
	v_mul_f32_e32 v21, v32, v3
	v_fma_f32 v20, v32, v2, -v20
	v_fmac_f32_e32 v21, v33, v2
	v_add_f32_e32 v32, v60, v20
	v_add_f32_e32 v33, v61, v21
	ds_read_b128 v[60:63], v49 offset:528
	s_waitcnt lgkmcnt(0)
	v_mul_f32_e32 v20, v61, v5
	v_mul_f32_e32 v21, v60, v5
	v_fma_f32 v20, v60, v4, -v20
	v_fmac_f32_e32 v21, v61, v4
	v_add_f32_e32 v74, v74, v20
	v_add_f32_e32 v65, v65, v21
	v_mul_f32_e32 v20, v61, v7
	v_mul_f32_e32 v21, v60, v7
	v_fma_f32 v20, v60, v6, -v20
	v_fmac_f32_e32 v21, v61, v6
	v_add_f32_e32 v67, v67, v20
	v_add_f32_e32 v69, v69, v21
	;; [unrolled: 6-line block ×8, first 2 shown]
	ds_read2_b64 v[20:23], v47 offset0:192 offset1:208
	s_waitcnt lgkmcnt(0)
	v_mul_f32_e32 v16, v35, v21
	v_mul_f32_e32 v17, v34, v21
	v_fma_f32 v16, v34, v20, -v16
	v_fmac_f32_e32 v17, v35, v20
	v_add_f32_e32 v102, v18, v16
	v_add_f32_e32 v104, v19, v17
	v_mul_f32_e32 v16, v35, v23
	v_mul_f32_e32 v17, v34, v23
	v_fma_f32 v16, v34, v22, -v16
	v_fmac_f32_e32 v17, v35, v22
	v_add_f32_e32 v98, v78, v16
	v_add_f32_e32 v100, v79, v17
	ds_read2_b64 v[16:19], v47 offset0:224 offset1:240
	s_waitcnt lgkmcnt(0)
	v_mul_f32_e32 v76, v35, v17
	v_fma_f32 v76, v34, v16, -v76
	v_add_f32_e32 v94, v56, v76
	v_mul_f32_e32 v56, v35, v19
	v_mul_f32_e32 v78, v34, v17
	v_fma_f32 v56, v34, v18, -v56
	v_mul_f32_e32 v34, v34, v19
	v_fmac_f32_e32 v34, v35, v18
	v_add_f32_e32 v90, v32, v56
	v_add_f32_e32 v92, v33, v34
	v_mul_f32_e32 v32, v63, v21
	v_mul_f32_e32 v33, v62, v21
	v_fma_f32 v32, v62, v20, -v32
	v_fmac_f32_e32 v33, v63, v20
	v_add_f32_e32 v86, v74, v32
	v_add_f32_e32 v88, v65, v33
	v_mul_f32_e32 v32, v63, v23
	v_mul_f32_e32 v33, v62, v23
	v_fma_f32 v32, v62, v22, -v32
	v_fmac_f32_e32 v33, v63, v22
	v_add_f32_e32 v82, v67, v32
	v_add_f32_e32 v84, v69, v33
	v_mul_f32_e32 v32, v63, v17
	v_mul_f32_e32 v33, v62, v17
	v_fmac_f32_e32 v78, v35, v16
	v_fma_f32 v32, v62, v16, -v32
	v_fmac_f32_e32 v33, v63, v16
	v_add_f32_e32 v96, v57, v78
	v_add_f32_e32 v78, v71, v32
	;; [unrolled: 1-line block ×3, first 2 shown]
	v_mul_f32_e32 v32, v63, v19
	v_mul_f32_e32 v33, v62, v19
	v_fma_f32 v32, v62, v18, -v32
	v_fmac_f32_e32 v33, v63, v18
	v_add_f32_e32 v74, v60, v32
	v_add_f32_e32 v76, v61, v33
	v_mul_f32_e32 v32, v107, v21
	v_mul_f32_e32 v33, v106, v21
	v_fma_f32 v32, v106, v20, -v32
	v_fmac_f32_e32 v33, v107, v20
	v_add_f32_e32 v70, v70, v32
	v_add_f32_e32 v72, v72, v33
	;; [unrolled: 6-line block ×5, first 2 shown]
	ds_read_b128 v[32:35], v49 offset:1536
	s_waitcnt lgkmcnt(0)
	v_mul_f32_e32 v57, v33, v9
	v_mul_f32_e32 v9, v32, v9
	v_fmac_f32_e32 v9, v33, v8
	v_fma_f32 v57, v32, v8, -v57
	v_add_f32_e32 v48, v48, v9
	v_mul_f32_e32 v8, v33, v11
	v_mul_f32_e32 v9, v32, v11
	v_fma_f32 v8, v32, v10, -v8
	v_fmac_f32_e32 v9, v33, v10
	v_add_f32_e32 v42, v42, v8
	v_add_f32_e32 v44, v44, v9
	v_mul_f32_e32 v8, v33, v13
	v_mul_f32_e32 v9, v32, v13
	v_fma_f32 v8, v32, v12, -v8
	v_fmac_f32_e32 v9, v33, v12
	v_add_f32_e32 v12, v40, v8
	v_add_f32_e32 v13, v41, v9
	v_pk_mul_f32 v[8:9], v[32:33], v[14:15] op_sel:[1,1] op_sel_hi:[0,1]
	v_pk_fma_f32 v[10:11], v[32:33], v[14:15], v[8:9] neg_lo:[0,0,1] neg_hi:[0,0,1]
	v_pk_fma_f32 v[8:9], v[32:33], v[14:15], v[8:9] op_sel_hi:[1,0,1]
	v_add_f32_e32 v46, v46, v57
	v_mov_b32_e32 v11, v9
	v_pk_add_f32 v[8:9], v[58:59], v[10:11]
	v_mul_f32_e32 v10, v35, v25
	v_mul_f32_e32 v11, v34, v25
	v_fma_f32 v10, v34, v24, -v10
	v_fmac_f32_e32 v11, v35, v24
	v_add_f32_e32 v32, v46, v10
	v_add_f32_e32 v33, v48, v11
	v_mul_f32_e32 v10, v35, v27
	v_mul_f32_e32 v11, v34, v27
	v_fma_f32 v10, v34, v26, -v10
	v_fmac_f32_e32 v11, v35, v26
	v_add_f32_e32 v24, v42, v10
	v_add_f32_e32 v25, v44, v11
	;; [unrolled: 6-line block ×3, first 2 shown]
	v_pk_mul_f32 v[10:11], v[34:35], v[30:31] op_sel:[1,1] op_sel_hi:[0,1]
	v_pk_fma_f32 v[12:13], v[34:35], v[30:31], v[10:11] neg_lo:[0,0,1] neg_hi:[0,0,1]
	v_pk_fma_f32 v[10:11], v[34:35], v[30:31], v[10:11] op_sel_hi:[1,0,1]
	s_nop 0
	v_mov_b32_e32 v13, v11
	v_pk_add_f32 v[12:13], v[8:9], v[12:13]
	ds_read_b128 v[8:11], v49 offset:1552
	s_waitcnt lgkmcnt(0)
	s_barrier
	v_mul_f32_e32 v26, v9, v5
	v_mul_f32_e32 v5, v8, v5
	v_fma_f32 v26, v8, v4, -v26
	v_fmac_f32_e32 v5, v9, v4
	v_mul_f32_e32 v4, v9, v7
	v_add_f32_e32 v27, v33, v5
	v_fma_f32 v4, v8, v6, -v4
	v_mul_f32_e32 v5, v8, v7
	v_fmac_f32_e32 v5, v9, v6
	v_add_f32_e32 v6, v24, v4
	v_mul_f32_e32 v4, v9, v1
	v_mul_f32_e32 v1, v8, v1
	v_fmac_f32_e32 v1, v9, v0
	v_fma_f32 v4, v8, v0, -v4
	v_add_f32_e32 v15, v15, v1
	v_pk_mul_f32 v[0:1], v[8:9], v[2:3] op_sel:[1,1] op_sel_hi:[0,1]
	v_add_f32_e32 v7, v25, v5
	v_add_f32_e32 v14, v14, v4
	v_pk_fma_f32 v[4:5], v[8:9], v[2:3], v[0:1] neg_lo:[0,0,1] neg_hi:[0,0,1]
	v_pk_fma_f32 v[0:1], v[8:9], v[2:3], v[0:1] op_sel_hi:[1,0,1]
	v_mul_f32_e32 v2, v11, v21
	v_mul_f32_e32 v3, v10, v21
	v_add_f32_e32 v26, v32, v26
	v_fma_f32 v2, v10, v20, -v2
	v_fmac_f32_e32 v3, v11, v20
	v_add_f32_e32 v46, v26, v2
	v_add_f32_e32 v48, v27, v3
	v_mul_f32_e32 v2, v11, v23
	v_mul_f32_e32 v3, v10, v23
	v_fma_f32 v2, v10, v22, -v2
	v_fmac_f32_e32 v3, v11, v22
	v_add_f32_e32 v42, v6, v2
	v_add_f32_e32 v44, v7, v3
	v_mul_f32_e32 v2, v11, v17
	v_mul_f32_e32 v3, v10, v17
	v_fma_f32 v2, v10, v16, -v2
	v_fmac_f32_e32 v3, v11, v16
	v_mov_b32_e32 v5, v1
	v_add_f32_e32 v40, v14, v2
	v_add_f32_e32 v41, v15, v3
	v_pk_mul_f32 v[2:3], v[10:11], v[18:19] op_sel:[1,1] op_sel_hi:[0,1]
	v_pk_add_f32 v[0:1], v[12:13], v[4:5]
	v_pk_fma_f32 v[4:5], v[10:11], v[18:19], v[2:3] neg_lo:[0,0,1] neg_hi:[0,0,1]
	v_pk_fma_f32 v[2:3], v[10:11], v[18:19], v[2:3] op_sel_hi:[1,0,1]
	s_nop 0
	v_mov_b32_e32 v5, v3
	v_pk_add_f32 v[58:59], v[0:1], v[4:5]
	s_cbranch_vccnz .LBB242_2
.LBB242_3:
	s_lshl_b64 s[8:9], s[38:39], 3
	s_waitcnt lgkmcnt(0)
	s_add_u32 s4, s4, s8
	s_addc_u32 s5, s5, s9
	s_or_b32 s8, s6, s7
	s_bitset0_b32 s8, 31
	v_lshl_add_u64 v[2:3], s[24:25], 0, v[38:39]
	s_cmp_lg_u32 s8, 0
	v_lshl_add_u64 v[0:1], s[2:3], 0, v[36:37]
	s_mov_b32 s2, s11
	s_mov_b32 s3, s10
	s_cbranch_scc1 .LBB242_5
; %bb.4:
	v_mul_lo_u32 v6, v3, s36
	v_mul_lo_u32 v7, v2, s37
	v_mad_u64_u32 v[4:5], s[8:9], v2, s36, 0
	v_add3_u32 v5, v5, v7, v6
	v_pk_mul_f32 v[6:7], v[104:105], s[2:3] op_sel_hi:[0,1]
	v_lshl_add_u64 v[4:5], v[4:5], 3, s[4:5]
	v_lshlrev_b64 v[8:9], 3, v[0:1]
	v_pk_fma_f32 v[12:13], v[102:103], s[2:3], v[6:7] op_sel:[0,1,0] op_sel_hi:[1,0,1] neg_lo:[0,0,1] neg_hi:[0,0,1]
	v_pk_fma_f32 v[6:7], v[102:103], s[2:3], v[6:7] op_sel:[0,1,0] op_sel_hi:[0,0,1]
	v_lshl_add_u64 v[10:11], v[4:5], 0, v[8:9]
	v_mov_b32_e32 v13, v7
	v_pk_mul_f32 v[6:7], v[100:101], s[2:3] op_sel_hi:[0,1]
	flat_store_dwordx2 v[10:11], v[12:13]
	v_pk_fma_f32 v[12:13], v[98:99], s[2:3], v[6:7] op_sel:[0,1,0] op_sel_hi:[1,0,1] neg_lo:[0,0,1] neg_hi:[0,0,1]
	v_pk_fma_f32 v[6:7], v[98:99], s[2:3], v[6:7] op_sel:[0,1,0] op_sel_hi:[0,0,1]
	v_mov_b32_e32 v13, v7
	v_pk_mul_f32 v[6:7], v[96:97], s[2:3] op_sel_hi:[0,1]
	flat_store_dwordx2 v[10:11], v[12:13] offset:128
	v_pk_fma_f32 v[12:13], v[94:95], s[2:3], v[6:7] op_sel:[0,1,0] op_sel_hi:[1,0,1] neg_lo:[0,0,1] neg_hi:[0,0,1]
	v_pk_fma_f32 v[6:7], v[94:95], s[2:3], v[6:7] op_sel:[0,1,0] op_sel_hi:[0,0,1]
	v_mov_b32_e32 v13, v7
	v_pk_mul_f32 v[6:7], v[92:93], s[2:3] op_sel_hi:[0,1]
	flat_store_dwordx2 v[10:11], v[12:13] offset:256
	v_pk_fma_f32 v[12:13], v[90:91], s[2:3], v[6:7] op_sel:[0,1,0] op_sel_hi:[1,0,1] neg_lo:[0,0,1] neg_hi:[0,0,1]
	v_pk_fma_f32 v[6:7], v[90:91], s[2:3], v[6:7] op_sel:[0,1,0] op_sel_hi:[0,0,1]
	v_mov_b32_e32 v13, v7
	s_lshl_b64 s[8:9], s[36:37], 7
	v_pk_mul_f32 v[6:7], v[88:89], s[2:3] op_sel_hi:[0,1]
	flat_store_dwordx2 v[10:11], v[12:13] offset:384
	v_lshl_add_u64 v[4:5], v[4:5], 0, s[8:9]
	v_pk_fma_f32 v[12:13], v[86:87], s[2:3], v[6:7] op_sel:[0,1,0] op_sel_hi:[1,0,1] neg_lo:[0,0,1] neg_hi:[0,0,1]
	v_pk_fma_f32 v[6:7], v[86:87], s[2:3], v[6:7] op_sel:[0,1,0] op_sel_hi:[0,0,1]
	v_lshl_add_u64 v[10:11], v[4:5], 0, v[8:9]
	v_mov_b32_e32 v13, v7
	v_pk_mul_f32 v[6:7], v[84:85], s[2:3] op_sel_hi:[0,1]
	flat_store_dwordx2 v[10:11], v[12:13]
	v_pk_fma_f32 v[12:13], v[82:83], s[2:3], v[6:7] op_sel:[0,1,0] op_sel_hi:[1,0,1] neg_lo:[0,0,1] neg_hi:[0,0,1]
	v_pk_fma_f32 v[6:7], v[82:83], s[2:3], v[6:7] op_sel:[0,1,0] op_sel_hi:[0,0,1]
	v_mov_b32_e32 v13, v7
	v_pk_mul_f32 v[6:7], v[80:81], s[2:3] op_sel_hi:[0,1]
	flat_store_dwordx2 v[10:11], v[12:13] offset:128
	v_pk_fma_f32 v[12:13], v[78:79], s[2:3], v[6:7] op_sel:[0,1,0] op_sel_hi:[1,0,1] neg_lo:[0,0,1] neg_hi:[0,0,1]
	v_pk_fma_f32 v[6:7], v[78:79], s[2:3], v[6:7] op_sel:[0,1,0] op_sel_hi:[0,0,1]
	v_mov_b32_e32 v13, v7
	v_pk_mul_f32 v[6:7], v[76:77], s[2:3] op_sel_hi:[0,1]
	flat_store_dwordx2 v[10:11], v[12:13] offset:256
	v_pk_fma_f32 v[12:13], v[74:75], s[2:3], v[6:7] op_sel:[0,1,0] op_sel_hi:[1,0,1] neg_lo:[0,0,1] neg_hi:[0,0,1]
	v_pk_fma_f32 v[6:7], v[74:75], s[2:3], v[6:7] op_sel:[0,1,0] op_sel_hi:[0,0,1]
	v_mov_b32_e32 v13, v7
	v_pk_mul_f32 v[6:7], v[72:73], s[2:3] op_sel_hi:[0,1]
	flat_store_dwordx2 v[10:11], v[12:13] offset:384
	v_lshl_add_u64 v[4:5], v[4:5], 0, s[8:9]
	v_pk_fma_f32 v[12:13], v[70:71], s[2:3], v[6:7] op_sel:[0,1,0] op_sel_hi:[1,0,1] neg_lo:[0,0,1] neg_hi:[0,0,1]
	v_pk_fma_f32 v[6:7], v[70:71], s[2:3], v[6:7] op_sel:[0,1,0] op_sel_hi:[0,0,1]
	v_lshl_add_u64 v[10:11], v[4:5], 0, v[8:9]
	v_mov_b32_e32 v13, v7
	v_pk_mul_f32 v[6:7], v[68:69], s[2:3] op_sel_hi:[0,1]
	flat_store_dwordx2 v[10:11], v[12:13]
	v_pk_fma_f32 v[12:13], v[66:67], s[2:3], v[6:7] op_sel:[0,1,0] op_sel_hi:[1,0,1] neg_lo:[0,0,1] neg_hi:[0,0,1]
	v_pk_fma_f32 v[6:7], v[66:67], s[2:3], v[6:7] op_sel:[0,1,0] op_sel_hi:[0,0,1]
	v_mov_b32_e32 v13, v7
	v_pk_mul_f32 v[6:7], v[64:65], s[2:3] op_sel_hi:[0,1]
	flat_store_dwordx2 v[10:11], v[12:13] offset:128
	v_pk_fma_f32 v[12:13], v[62:63], s[2:3], v[6:7] op_sel:[0,1,0] op_sel_hi:[1,0,1] neg_lo:[0,0,1] neg_hi:[0,0,1]
	v_pk_fma_f32 v[6:7], v[62:63], s[2:3], v[6:7] op_sel:[0,1,0] op_sel_hi:[0,0,1]
	v_mov_b32_e32 v13, v7
	v_pk_mul_f32 v[6:7], v[60:61], s[2:3] op_sel_hi:[0,1]
	flat_store_dwordx2 v[10:11], v[12:13] offset:256
	v_pk_fma_f32 v[12:13], v[56:57], s[2:3], v[6:7] op_sel:[0,1,0] op_sel_hi:[1,0,1] neg_lo:[0,0,1] neg_hi:[0,0,1]
	v_pk_fma_f32 v[6:7], v[56:57], s[2:3], v[6:7] op_sel:[0,1,0] op_sel_hi:[0,0,1]
	v_mov_b32_e32 v13, v7
	v_lshl_add_u64 v[4:5], v[4:5], 0, s[8:9]
	v_pk_mul_f32 v[6:7], v[48:49], s[2:3] op_sel_hi:[0,1]
	v_lshl_add_u64 v[8:9], v[4:5], 0, v[8:9]
	v_pk_fma_f32 v[4:5], v[46:47], s[2:3], v[6:7] op_sel:[0,1,0] op_sel_hi:[1,0,1] neg_lo:[0,0,1] neg_hi:[0,0,1]
	v_pk_fma_f32 v[6:7], v[46:47], s[2:3], v[6:7] op_sel:[0,1,0] op_sel_hi:[0,0,1]
	v_mov_b32_e32 v5, v7
	flat_store_dwordx2 v[10:11], v[12:13] offset:384
	flat_store_dwordx2 v[8:9], v[4:5]
	v_pk_mul_f32 v[4:5], v[44:45], s[2:3] op_sel_hi:[0,1]
	v_pk_fma_f32 v[6:7], v[42:43], s[2:3], v[4:5] op_sel:[0,1,0] op_sel_hi:[1,0,1] neg_lo:[0,0,1] neg_hi:[0,0,1]
	v_pk_fma_f32 v[4:5], v[42:43], s[2:3], v[4:5] op_sel:[0,1,0] op_sel_hi:[0,0,1]
	v_mov_b32_e32 v4, v41
	v_mov_b32_e32 v7, v5
	v_pk_mul_f32 v[4:5], v[4:5], s[2:3] op_sel_hi:[0,1]
	flat_store_dwordx2 v[8:9], v[6:7] offset:128
	v_pk_fma_f32 v[6:7], v[40:41], s[2:3], v[4:5] op_sel:[0,1,0] op_sel_hi:[1,0,1] neg_lo:[0,0,1] neg_hi:[0,0,1]
	v_pk_fma_f32 v[4:5], v[40:41], s[2:3], v[4:5] op_sel:[0,1,0] op_sel_hi:[0,0,1]
	v_mov_b32_e32 v7, v5
	v_mul_f32_e32 v4, s3, v58
	flat_store_dwordx2 v[8:9], v[6:7] offset:256
	v_fma_f32 v7, -v59, s2, v4
	v_pk_mul_f32 v[4:5], v[58:59], s[2:3]
	s_mov_b64 s[8:9], 0x180
	v_add_f32_e32 v6, v4, v5
	v_lshl_add_u64 v[4:5], v[8:9], 0, s[8:9]
	flat_store_dword v[8:9], v7 offset:384
	s_cbranch_execz .LBB242_6
	s_branch .LBB242_7
.LBB242_5:
                                        ; implicit-def: $vgpr6
                                        ; implicit-def: $vgpr4_vgpr5
.LBB242_6:
	s_lshl_b64 s[8:9], s[28:29], 3
	s_add_u32 s0, s0, s8
	s_addc_u32 s1, s1, s9
	v_mul_lo_u32 v6, v3, s26
	v_mul_lo_u32 v7, v2, s27
	v_mad_u64_u32 v[4:5], s[8:9], v2, s26, 0
	v_add3_u32 v5, v5, v7, v6
	v_lshl_add_u64 v[4:5], v[4:5], 3, s[0:1]
	v_lshlrev_b64 v[0:1], 3, v[0:1]
	v_lshl_add_u64 v[6:7], v[4:5], 0, v[0:1]
	flat_load_dwordx2 v[8:9], v[6:7]
	v_mul_lo_u32 v12, v3, s36
	v_mul_lo_u32 v13, v2, s37
	v_mad_u64_u32 v[2:3], s[0:1], v2, s36, 0
	s_mov_b32 s0, s7
	v_pk_mul_f32 v[10:11], v[104:105], s[2:3] op_sel_hi:[0,1]
	v_add3_u32 v3, v3, v13, v12
	v_pk_fma_f32 v[12:13], v[102:103], s[2:3], v[10:11] op_sel:[0,1,0] op_sel_hi:[1,0,1] neg_lo:[0,0,1] neg_hi:[0,0,1]
	v_pk_fma_f32 v[10:11], v[102:103], s[2:3], v[10:11] op_sel:[0,1,0] op_sel_hi:[0,0,1]
	v_lshl_add_u64 v[2:3], v[2:3], 3, s[4:5]
	v_mov_b32_e32 v13, v11
	v_lshl_add_u64 v[10:11], v[2:3], 0, v[0:1]
	s_lshl_b64 s[4:5], s[26:27], 7
	v_lshl_add_u64 v[4:5], v[4:5], 0, s[4:5]
	s_lshl_b64 s[8:9], s[36:37], 7
	v_lshl_add_u64 v[2:3], v[2:3], 0, s[8:9]
	s_mov_b32 s11, s6
	s_waitcnt vmcnt(0) lgkmcnt(0)
	v_pk_mul_f32 v[14:15], v[8:9], s[0:1] op_sel_hi:[1,0]
	s_nop 0
	v_pk_fma_f32 v[16:17], v[8:9], s[6:7], v[14:15] op_sel:[0,0,1] op_sel_hi:[1,1,0] neg_lo:[0,0,1] neg_hi:[0,0,1]
	v_pk_fma_f32 v[8:9], v[8:9], s[6:7], v[14:15] op_sel:[0,0,1] op_sel_hi:[1,0,0]
	s_nop 0
	v_mov_b32_e32 v17, v9
	v_pk_add_f32 v[8:9], v[12:13], v[16:17]
	flat_store_dwordx2 v[10:11], v[8:9]
	flat_load_dwordx2 v[8:9], v[6:7] offset:128
	v_pk_mul_f32 v[12:13], v[100:101], s[2:3] op_sel_hi:[0,1]
	v_pk_fma_f32 v[14:15], v[98:99], s[2:3], v[12:13] op_sel:[0,1,0] op_sel_hi:[1,0,1] neg_lo:[0,0,1] neg_hi:[0,0,1]
	v_pk_fma_f32 v[12:13], v[98:99], s[2:3], v[12:13] op_sel:[0,1,0] op_sel_hi:[0,0,1]
	v_mov_b32_e32 v15, v13
	s_waitcnt vmcnt(0) lgkmcnt(0)
	v_pk_mul_f32 v[12:13], v[8:9], s[0:1] op_sel_hi:[1,0]
	s_nop 0
	v_pk_fma_f32 v[16:17], v[8:9], s[6:7], v[12:13] op_sel:[0,0,1] op_sel_hi:[1,1,0] neg_lo:[0,0,1] neg_hi:[0,0,1]
	v_pk_fma_f32 v[8:9], v[8:9], s[6:7], v[12:13] op_sel:[0,0,1] op_sel_hi:[1,0,0]
	v_pk_mul_f32 v[12:13], v[96:97], s[2:3] op_sel_hi:[0,1]
	v_mov_b32_e32 v17, v9
	v_pk_add_f32 v[8:9], v[14:15], v[16:17]
	flat_store_dwordx2 v[10:11], v[8:9] offset:128
	flat_load_dwordx2 v[8:9], v[6:7] offset:256
	v_pk_fma_f32 v[14:15], v[94:95], s[2:3], v[12:13] op_sel:[0,1,0] op_sel_hi:[1,0,1] neg_lo:[0,0,1] neg_hi:[0,0,1]
	v_pk_fma_f32 v[12:13], v[94:95], s[2:3], v[12:13] op_sel:[0,1,0] op_sel_hi:[0,0,1]
	v_mov_b32_e32 v15, v13
	s_waitcnt vmcnt(0) lgkmcnt(0)
	v_pk_mul_f32 v[12:13], v[8:9], s[0:1] op_sel_hi:[1,0]
	s_nop 0
	v_pk_fma_f32 v[16:17], v[8:9], s[6:7], v[12:13] op_sel:[0,0,1] op_sel_hi:[1,1,0] neg_lo:[0,0,1] neg_hi:[0,0,1]
	v_pk_fma_f32 v[8:9], v[8:9], s[6:7], v[12:13] op_sel:[0,0,1] op_sel_hi:[1,0,0]
	s_nop 0
	v_mov_b32_e32 v17, v9
	v_pk_add_f32 v[8:9], v[14:15], v[16:17]
	flat_store_dwordx2 v[10:11], v[8:9] offset:256
	flat_load_dwordx2 v[6:7], v[6:7] offset:384
	v_pk_mul_f32 v[8:9], v[92:93], s[2:3] op_sel_hi:[0,1]
	v_pk_fma_f32 v[12:13], v[90:91], s[2:3], v[8:9] op_sel:[0,1,0] op_sel_hi:[1,0,1] neg_lo:[0,0,1] neg_hi:[0,0,1]
	v_pk_fma_f32 v[8:9], v[90:91], s[2:3], v[8:9] op_sel:[0,1,0] op_sel_hi:[0,0,1]
	v_mov_b32_e32 v13, v9
	v_lshl_add_u64 v[8:9], v[4:5], 0, v[0:1]
	v_lshl_add_u64 v[4:5], v[4:5], 0, s[4:5]
	s_waitcnt vmcnt(0) lgkmcnt(0)
	v_pk_mul_f32 v[14:15], v[6:7], s[0:1] op_sel_hi:[1,0]
	s_nop 0
	v_pk_fma_f32 v[16:17], v[6:7], s[6:7], v[14:15] op_sel:[0,0,1] op_sel_hi:[1,1,0] neg_lo:[0,0,1] neg_hi:[0,0,1]
	v_pk_fma_f32 v[6:7], v[6:7], s[6:7], v[14:15] op_sel:[0,0,1] op_sel_hi:[1,0,0]
	s_nop 0
	v_mov_b32_e32 v17, v7
	v_pk_add_f32 v[6:7], v[12:13], v[16:17]
	flat_store_dwordx2 v[10:11], v[6:7] offset:384
	flat_load_dwordx2 v[6:7], v[8:9]
	v_pk_mul_f32 v[10:11], v[88:89], s[2:3] op_sel_hi:[0,1]
	v_pk_fma_f32 v[12:13], v[86:87], s[2:3], v[10:11] op_sel:[0,1,0] op_sel_hi:[1,0,1] neg_lo:[0,0,1] neg_hi:[0,0,1]
	v_pk_fma_f32 v[10:11], v[86:87], s[2:3], v[10:11] op_sel:[0,1,0] op_sel_hi:[0,0,1]
	v_mov_b32_e32 v13, v11
	v_lshl_add_u64 v[10:11], v[2:3], 0, v[0:1]
	v_lshl_add_u64 v[2:3], v[2:3], 0, s[8:9]
	s_waitcnt vmcnt(0) lgkmcnt(0)
	v_pk_mul_f32 v[14:15], v[6:7], s[0:1] op_sel_hi:[1,0]
	s_nop 0
	v_pk_fma_f32 v[16:17], v[6:7], s[6:7], v[14:15] op_sel:[0,0,1] op_sel_hi:[1,1,0] neg_lo:[0,0,1] neg_hi:[0,0,1]
	v_pk_fma_f32 v[6:7], v[6:7], s[6:7], v[14:15] op_sel:[0,0,1] op_sel_hi:[1,0,0]
	s_nop 0
	v_mov_b32_e32 v17, v7
	v_pk_add_f32 v[6:7], v[12:13], v[16:17]
	flat_store_dwordx2 v[10:11], v[6:7]
	flat_load_dwordx2 v[6:7], v[8:9] offset:128
	v_pk_mul_f32 v[12:13], v[84:85], s[2:3] op_sel_hi:[0,1]
	v_pk_fma_f32 v[14:15], v[82:83], s[2:3], v[12:13] op_sel:[0,1,0] op_sel_hi:[1,0,1] neg_lo:[0,0,1] neg_hi:[0,0,1]
	v_pk_fma_f32 v[12:13], v[82:83], s[2:3], v[12:13] op_sel:[0,1,0] op_sel_hi:[0,0,1]
	v_mov_b32_e32 v15, v13
	s_waitcnt vmcnt(0) lgkmcnt(0)
	v_pk_mul_f32 v[12:13], v[6:7], s[0:1] op_sel_hi:[1,0]
	s_nop 0
	v_pk_fma_f32 v[16:17], v[6:7], s[6:7], v[12:13] op_sel:[0,0,1] op_sel_hi:[1,1,0] neg_lo:[0,0,1] neg_hi:[0,0,1]
	v_pk_fma_f32 v[6:7], v[6:7], s[6:7], v[12:13] op_sel:[0,0,1] op_sel_hi:[1,0,0]
	v_pk_mul_f32 v[12:13], v[80:81], s[2:3] op_sel_hi:[0,1]
	v_mov_b32_e32 v17, v7
	v_pk_add_f32 v[6:7], v[14:15], v[16:17]
	flat_store_dwordx2 v[10:11], v[6:7] offset:128
	flat_load_dwordx2 v[6:7], v[8:9] offset:256
	v_pk_fma_f32 v[14:15], v[78:79], s[2:3], v[12:13] op_sel:[0,1,0] op_sel_hi:[1,0,1] neg_lo:[0,0,1] neg_hi:[0,0,1]
	v_pk_fma_f32 v[12:13], v[78:79], s[2:3], v[12:13] op_sel:[0,1,0] op_sel_hi:[0,0,1]
	v_mov_b32_e32 v15, v13
	s_waitcnt vmcnt(0) lgkmcnt(0)
	v_pk_mul_f32 v[12:13], v[6:7], s[0:1] op_sel_hi:[1,0]
	s_nop 0
	v_pk_fma_f32 v[16:17], v[6:7], s[6:7], v[12:13] op_sel:[0,0,1] op_sel_hi:[1,1,0] neg_lo:[0,0,1] neg_hi:[0,0,1]
	v_pk_fma_f32 v[6:7], v[6:7], s[6:7], v[12:13] op_sel:[0,0,1] op_sel_hi:[1,0,0]
	s_nop 0
	v_mov_b32_e32 v17, v7
	v_pk_add_f32 v[6:7], v[14:15], v[16:17]
	flat_store_dwordx2 v[10:11], v[6:7] offset:256
	flat_load_dwordx2 v[6:7], v[8:9] offset:384
	v_pk_mul_f32 v[8:9], v[76:77], s[2:3] op_sel_hi:[0,1]
	v_pk_fma_f32 v[12:13], v[74:75], s[2:3], v[8:9] op_sel:[0,1,0] op_sel_hi:[1,0,1] neg_lo:[0,0,1] neg_hi:[0,0,1]
	v_pk_fma_f32 v[8:9], v[74:75], s[2:3], v[8:9] op_sel:[0,1,0] op_sel_hi:[0,0,1]
	v_mov_b32_e32 v13, v9
	v_lshl_add_u64 v[8:9], v[4:5], 0, v[0:1]
	v_lshl_add_u64 v[4:5], v[4:5], 0, s[4:5]
	;; [unrolled: 1-line block ×3, first 2 shown]
	s_waitcnt vmcnt(0) lgkmcnt(0)
	v_pk_mul_f32 v[14:15], v[6:7], s[0:1] op_sel_hi:[1,0]
	s_nop 0
	v_pk_fma_f32 v[16:17], v[6:7], s[6:7], v[14:15] op_sel:[0,0,1] op_sel_hi:[1,1,0] neg_lo:[0,0,1] neg_hi:[0,0,1]
	v_pk_fma_f32 v[6:7], v[6:7], s[6:7], v[14:15] op_sel:[0,0,1] op_sel_hi:[1,0,0]
	s_nop 0
	v_mov_b32_e32 v17, v7
	v_pk_add_f32 v[6:7], v[12:13], v[16:17]
	flat_store_dwordx2 v[10:11], v[6:7] offset:384
	flat_load_dwordx2 v[6:7], v[8:9]
	v_pk_mul_f32 v[10:11], v[72:73], s[2:3] op_sel_hi:[0,1]
	v_pk_fma_f32 v[12:13], v[70:71], s[2:3], v[10:11] op_sel:[0,1,0] op_sel_hi:[1,0,1] neg_lo:[0,0,1] neg_hi:[0,0,1]
	v_pk_fma_f32 v[10:11], v[70:71], s[2:3], v[10:11] op_sel:[0,1,0] op_sel_hi:[0,0,1]
	v_mov_b32_e32 v13, v11
	v_lshl_add_u64 v[10:11], v[2:3], 0, v[0:1]
	v_lshl_add_u64 v[2:3], v[2:3], 0, s[8:9]
	;; [unrolled: 1-line block ×3, first 2 shown]
	s_waitcnt vmcnt(0) lgkmcnt(0)
	v_pk_mul_f32 v[14:15], v[6:7], s[0:1] op_sel_hi:[1,0]
	s_nop 0
	v_pk_fma_f32 v[16:17], v[6:7], s[6:7], v[14:15] op_sel:[0,0,1] op_sel_hi:[1,1,0] neg_lo:[0,0,1] neg_hi:[0,0,1]
	v_pk_fma_f32 v[6:7], v[6:7], s[6:7], v[14:15] op_sel:[0,0,1] op_sel_hi:[1,0,0]
	s_nop 0
	v_mov_b32_e32 v17, v7
	v_pk_add_f32 v[6:7], v[12:13], v[16:17]
	flat_store_dwordx2 v[10:11], v[6:7]
	flat_load_dwordx2 v[6:7], v[8:9] offset:128
	v_pk_mul_f32 v[12:13], v[68:69], s[2:3] op_sel_hi:[0,1]
	v_pk_fma_f32 v[14:15], v[66:67], s[2:3], v[12:13] op_sel:[0,1,0] op_sel_hi:[1,0,1] neg_lo:[0,0,1] neg_hi:[0,0,1]
	v_pk_fma_f32 v[12:13], v[66:67], s[2:3], v[12:13] op_sel:[0,1,0] op_sel_hi:[0,0,1]
	v_mov_b32_e32 v15, v13
	s_waitcnt vmcnt(0) lgkmcnt(0)
	v_pk_mul_f32 v[12:13], v[6:7], s[0:1] op_sel_hi:[1,0]
	s_nop 0
	v_pk_fma_f32 v[16:17], v[6:7], s[6:7], v[12:13] op_sel:[0,0,1] op_sel_hi:[1,1,0] neg_lo:[0,0,1] neg_hi:[0,0,1]
	v_pk_fma_f32 v[6:7], v[6:7], s[6:7], v[12:13] op_sel:[0,0,1] op_sel_hi:[1,0,0]
	v_pk_mul_f32 v[12:13], v[64:65], s[2:3] op_sel_hi:[0,1]
	v_mov_b32_e32 v17, v7
	v_pk_add_f32 v[6:7], v[14:15], v[16:17]
	flat_store_dwordx2 v[10:11], v[6:7] offset:128
	flat_load_dwordx2 v[6:7], v[8:9] offset:256
	v_pk_fma_f32 v[14:15], v[62:63], s[2:3], v[12:13] op_sel:[0,1,0] op_sel_hi:[1,0,1] neg_lo:[0,0,1] neg_hi:[0,0,1]
	v_pk_fma_f32 v[12:13], v[62:63], s[2:3], v[12:13] op_sel:[0,1,0] op_sel_hi:[0,0,1]
	v_mov_b32_e32 v15, v13
	s_waitcnt vmcnt(0) lgkmcnt(0)
	v_pk_mul_f32 v[12:13], v[6:7], s[0:1] op_sel_hi:[1,0]
	s_nop 0
	v_pk_fma_f32 v[16:17], v[6:7], s[6:7], v[12:13] op_sel:[0,0,1] op_sel_hi:[1,1,0] neg_lo:[0,0,1] neg_hi:[0,0,1]
	v_pk_fma_f32 v[6:7], v[6:7], s[6:7], v[12:13] op_sel:[0,0,1] op_sel_hi:[1,0,0]
	s_nop 0
	v_mov_b32_e32 v17, v7
	v_pk_add_f32 v[6:7], v[14:15], v[16:17]
	flat_store_dwordx2 v[10:11], v[6:7] offset:256
	flat_load_dwordx2 v[6:7], v[8:9] offset:384
	v_pk_mul_f32 v[8:9], v[60:61], s[2:3] op_sel_hi:[0,1]
	v_pk_fma_f32 v[12:13], v[56:57], s[2:3], v[8:9] op_sel:[0,1,0] op_sel_hi:[1,0,1] neg_lo:[0,0,1] neg_hi:[0,0,1]
	v_pk_fma_f32 v[8:9], v[56:57], s[2:3], v[8:9] op_sel:[0,1,0] op_sel_hi:[0,0,1]
	v_mov_b32_e32 v13, v9
	s_waitcnt vmcnt(0) lgkmcnt(0)
	v_pk_mul_f32 v[8:9], v[6:7], s[0:1] op_sel_hi:[1,0]
	s_nop 0
	v_pk_fma_f32 v[14:15], v[6:7], s[6:7], v[8:9] op_sel:[0,0,1] op_sel_hi:[1,1,0] neg_lo:[0,0,1] neg_hi:[0,0,1]
	v_pk_fma_f32 v[6:7], v[6:7], s[6:7], v[8:9] op_sel:[0,0,1] op_sel_hi:[1,0,0]
	v_pk_mul_f32 v[8:9], v[48:49], s[2:3] op_sel_hi:[0,1]
	v_mov_b32_e32 v15, v7
	v_pk_add_f32 v[6:7], v[12:13], v[14:15]
	flat_store_dwordx2 v[10:11], v[6:7] offset:384
	flat_load_dwordx2 v[6:7], v[4:5]
	v_pk_fma_f32 v[10:11], v[46:47], s[2:3], v[8:9] op_sel:[0,1,0] op_sel_hi:[1,0,1] neg_lo:[0,0,1] neg_hi:[0,0,1]
	v_pk_fma_f32 v[8:9], v[46:47], s[2:3], v[8:9] op_sel:[0,1,0] op_sel_hi:[0,0,1]
	v_mov_b32_e32 v11, v9
	s_waitcnt vmcnt(0) lgkmcnt(0)
	v_pk_mul_f32 v[2:3], v[6:7], s[0:1] op_sel_hi:[1,0]
	s_nop 0
	v_pk_fma_f32 v[8:9], v[6:7], s[6:7], v[2:3] op_sel:[0,0,1] op_sel_hi:[1,1,0] neg_lo:[0,0,1] neg_hi:[0,0,1]
	v_pk_fma_f32 v[2:3], v[6:7], s[6:7], v[2:3] op_sel:[0,0,1] op_sel_hi:[1,0,0]
	v_pk_mul_f32 v[6:7], v[44:45], s[2:3] op_sel_hi:[0,1]
	v_mov_b32_e32 v9, v3
	v_pk_add_f32 v[2:3], v[10:11], v[8:9]
	flat_store_dwordx2 v[0:1], v[2:3]
	flat_load_dwordx2 v[2:3], v[4:5] offset:128
	v_pk_fma_f32 v[8:9], v[42:43], s[2:3], v[6:7] op_sel:[0,1,0] op_sel_hi:[1,0,1] neg_lo:[0,0,1] neg_hi:[0,0,1]
	v_pk_fma_f32 v[6:7], v[42:43], s[2:3], v[6:7] op_sel:[0,1,0] op_sel_hi:[0,0,1]
	v_mov_b32_e32 v9, v7
	s_waitcnt vmcnt(0) lgkmcnt(0)
	v_pk_mul_f32 v[6:7], v[2:3], s[0:1] op_sel_hi:[1,0]
	s_nop 0
	v_pk_fma_f32 v[10:11], v[2:3], s[6:7], v[6:7] op_sel:[0,0,1] op_sel_hi:[1,1,0] neg_lo:[0,0,1] neg_hi:[0,0,1]
	v_pk_fma_f32 v[2:3], v[2:3], s[6:7], v[6:7] op_sel:[0,0,1] op_sel_hi:[1,0,0]
	v_mov_b32_e32 v6, v41
	v_mov_b32_e32 v11, v3
	v_pk_add_f32 v[2:3], v[8:9], v[10:11]
	flat_store_dwordx2 v[0:1], v[2:3] offset:128
	flat_load_dwordx2 v[2:3], v[4:5] offset:256
	v_pk_mul_f32 v[6:7], v[6:7], s[2:3] op_sel_hi:[0,1]
	v_pk_fma_f32 v[8:9], v[40:41], s[2:3], v[6:7] op_sel:[0,1,0] op_sel_hi:[1,0,1] neg_lo:[0,0,1] neg_hi:[0,0,1]
	v_pk_fma_f32 v[6:7], v[40:41], s[2:3], v[6:7] op_sel:[0,1,0] op_sel_hi:[0,0,1]
	v_mov_b32_e32 v9, v7
	s_waitcnt vmcnt(0) lgkmcnt(0)
	v_pk_mul_f32 v[6:7], v[2:3], s[0:1] op_sel_hi:[1,0]
	s_nop 0
	v_pk_fma_f32 v[10:11], v[2:3], s[6:7], v[6:7] op_sel:[0,0,1] op_sel_hi:[1,1,0] neg_lo:[0,0,1] neg_hi:[0,0,1]
	v_pk_fma_f32 v[2:3], v[2:3], s[6:7], v[6:7] op_sel:[0,0,1] op_sel_hi:[1,0,0]
	v_mov_b32_e32 v6, v58
	v_mov_b32_e32 v11, v3
	v_pk_add_f32 v[2:3], v[8:9], v[10:11]
	flat_store_dwordx2 v[0:1], v[2:3] offset:256
	flat_load_dwordx2 v[2:3], v[4:5] offset:384
	v_mul_f32_e32 v4, s3, v58
	s_mov_b32 s3, s7
	s_mov_b64 s[0:1], 0x180
	v_fma_f32 v8, -v59, s2, v4
	v_lshl_add_u64 v[4:5], v[0:1], 0, s[0:1]
	s_waitcnt vmcnt(0) lgkmcnt(0)
	v_mul_f32_e32 v9, s7, v3
	v_mov_b32_e32 v7, v2
	v_fma_f32 v9, v2, s6, -v9
	v_mov_b32_e32 v2, v59
	v_pk_mul_f32 v[2:3], v[2:3], s[10:11]
	v_add_f32_e32 v8, v8, v9
	v_pk_fma_f32 v[2:3], v[6:7], s[2:3], v[2:3]
	flat_store_dword v[0:1], v8 offset:384
	v_add_f32_e32 v6, v2, v3
.LBB242_7:
	flat_store_dword v[4:5], v6 offset:4
	s_endpgm
	.section	.rodata,"a",@progbits
	.p2align	6, 0x0
	.amdhsa_kernel _ZN12_GLOBAL__N_127rocblas_gemm_batched_kernelI19rocblas_complex_numIfELi16ELi16ELi64ELi64ELi4ELi64ELi4ELi4ELi64ELc84ELc67EKPKS2_S5_KPS2_EEvlllT_PT11_llSA_llS8_PT12_llPT13_lli
		.amdhsa_group_segment_fixed_size 4096
		.amdhsa_private_segment_fixed_size 0
		.amdhsa_kernarg_size 140
		.amdhsa_user_sgpr_count 2
		.amdhsa_user_sgpr_dispatch_ptr 0
		.amdhsa_user_sgpr_queue_ptr 0
		.amdhsa_user_sgpr_kernarg_segment_ptr 1
		.amdhsa_user_sgpr_dispatch_id 0
		.amdhsa_user_sgpr_kernarg_preload_length 0
		.amdhsa_user_sgpr_kernarg_preload_offset 0
		.amdhsa_user_sgpr_private_segment_size 0
		.amdhsa_uses_dynamic_stack 0
		.amdhsa_enable_private_segment 0
		.amdhsa_system_sgpr_workgroup_id_x 1
		.amdhsa_system_sgpr_workgroup_id_y 1
		.amdhsa_system_sgpr_workgroup_id_z 1
		.amdhsa_system_sgpr_workgroup_info 0
		.amdhsa_system_vgpr_workitem_id 1
		.amdhsa_next_free_vgpr 108
		.amdhsa_next_free_sgpr 42
		.amdhsa_accum_offset 108
		.amdhsa_reserve_vcc 1
		.amdhsa_float_round_mode_32 0
		.amdhsa_float_round_mode_16_64 0
		.amdhsa_float_denorm_mode_32 3
		.amdhsa_float_denorm_mode_16_64 3
		.amdhsa_dx10_clamp 1
		.amdhsa_ieee_mode 1
		.amdhsa_fp16_overflow 0
		.amdhsa_tg_split 0
		.amdhsa_exception_fp_ieee_invalid_op 0
		.amdhsa_exception_fp_denorm_src 0
		.amdhsa_exception_fp_ieee_div_zero 0
		.amdhsa_exception_fp_ieee_overflow 0
		.amdhsa_exception_fp_ieee_underflow 0
		.amdhsa_exception_fp_ieee_inexact 0
		.amdhsa_exception_int_div_zero 0
	.end_amdhsa_kernel
	.section	.text._ZN12_GLOBAL__N_127rocblas_gemm_batched_kernelI19rocblas_complex_numIfELi16ELi16ELi64ELi64ELi4ELi64ELi4ELi4ELi64ELc84ELc67EKPKS2_S5_KPS2_EEvlllT_PT11_llSA_llS8_PT12_llPT13_lli,"axG",@progbits,_ZN12_GLOBAL__N_127rocblas_gemm_batched_kernelI19rocblas_complex_numIfELi16ELi16ELi64ELi64ELi4ELi64ELi4ELi4ELi64ELc84ELc67EKPKS2_S5_KPS2_EEvlllT_PT11_llSA_llS8_PT12_llPT13_lli,comdat
.Lfunc_end242:
	.size	_ZN12_GLOBAL__N_127rocblas_gemm_batched_kernelI19rocblas_complex_numIfELi16ELi16ELi64ELi64ELi4ELi64ELi4ELi4ELi64ELc84ELc67EKPKS2_S5_KPS2_EEvlllT_PT11_llSA_llS8_PT12_llPT13_lli, .Lfunc_end242-_ZN12_GLOBAL__N_127rocblas_gemm_batched_kernelI19rocblas_complex_numIfELi16ELi16ELi64ELi64ELi4ELi64ELi4ELi4ELi64ELc84ELc67EKPKS2_S5_KPS2_EEvlllT_PT11_llSA_llS8_PT12_llPT13_lli
                                        ; -- End function
	.set _ZN12_GLOBAL__N_127rocblas_gemm_batched_kernelI19rocblas_complex_numIfELi16ELi16ELi64ELi64ELi4ELi64ELi4ELi4ELi64ELc84ELc67EKPKS2_S5_KPS2_EEvlllT_PT11_llSA_llS8_PT12_llPT13_lli.num_vgpr, 108
	.set _ZN12_GLOBAL__N_127rocblas_gemm_batched_kernelI19rocblas_complex_numIfELi16ELi16ELi64ELi64ELi4ELi64ELi4ELi4ELi64ELc84ELc67EKPKS2_S5_KPS2_EEvlllT_PT11_llSA_llS8_PT12_llPT13_lli.num_agpr, 0
	.set _ZN12_GLOBAL__N_127rocblas_gemm_batched_kernelI19rocblas_complex_numIfELi16ELi16ELi64ELi64ELi4ELi64ELi4ELi4ELi64ELc84ELc67EKPKS2_S5_KPS2_EEvlllT_PT11_llSA_llS8_PT12_llPT13_lli.numbered_sgpr, 42
	.set _ZN12_GLOBAL__N_127rocblas_gemm_batched_kernelI19rocblas_complex_numIfELi16ELi16ELi64ELi64ELi4ELi64ELi4ELi4ELi64ELc84ELc67EKPKS2_S5_KPS2_EEvlllT_PT11_llSA_llS8_PT12_llPT13_lli.num_named_barrier, 0
	.set _ZN12_GLOBAL__N_127rocblas_gemm_batched_kernelI19rocblas_complex_numIfELi16ELi16ELi64ELi64ELi4ELi64ELi4ELi4ELi64ELc84ELc67EKPKS2_S5_KPS2_EEvlllT_PT11_llSA_llS8_PT12_llPT13_lli.private_seg_size, 0
	.set _ZN12_GLOBAL__N_127rocblas_gemm_batched_kernelI19rocblas_complex_numIfELi16ELi16ELi64ELi64ELi4ELi64ELi4ELi4ELi64ELc84ELc67EKPKS2_S5_KPS2_EEvlllT_PT11_llSA_llS8_PT12_llPT13_lli.uses_vcc, 1
	.set _ZN12_GLOBAL__N_127rocblas_gemm_batched_kernelI19rocblas_complex_numIfELi16ELi16ELi64ELi64ELi4ELi64ELi4ELi4ELi64ELc84ELc67EKPKS2_S5_KPS2_EEvlllT_PT11_llSA_llS8_PT12_llPT13_lli.uses_flat_scratch, 0
	.set _ZN12_GLOBAL__N_127rocblas_gemm_batched_kernelI19rocblas_complex_numIfELi16ELi16ELi64ELi64ELi4ELi64ELi4ELi4ELi64ELc84ELc67EKPKS2_S5_KPS2_EEvlllT_PT11_llSA_llS8_PT12_llPT13_lli.has_dyn_sized_stack, 0
	.set _ZN12_GLOBAL__N_127rocblas_gemm_batched_kernelI19rocblas_complex_numIfELi16ELi16ELi64ELi64ELi4ELi64ELi4ELi4ELi64ELc84ELc67EKPKS2_S5_KPS2_EEvlllT_PT11_llSA_llS8_PT12_llPT13_lli.has_recursion, 0
	.set _ZN12_GLOBAL__N_127rocblas_gemm_batched_kernelI19rocblas_complex_numIfELi16ELi16ELi64ELi64ELi4ELi64ELi4ELi4ELi64ELc84ELc67EKPKS2_S5_KPS2_EEvlllT_PT11_llSA_llS8_PT12_llPT13_lli.has_indirect_call, 0
	.section	.AMDGPU.csdata,"",@progbits
; Kernel info:
; codeLenInByte = 5212
; TotalNumSgprs: 48
; NumVgprs: 108
; NumAgprs: 0
; TotalNumVgprs: 108
; ScratchSize: 0
; MemoryBound: 0
; FloatMode: 240
; IeeeMode: 1
; LDSByteSize: 4096 bytes/workgroup (compile time only)
; SGPRBlocks: 5
; VGPRBlocks: 13
; NumSGPRsForWavesPerEU: 48
; NumVGPRsForWavesPerEU: 108
; AccumOffset: 108
; Occupancy: 4
; WaveLimiterHint : 1
; COMPUTE_PGM_RSRC2:SCRATCH_EN: 0
; COMPUTE_PGM_RSRC2:USER_SGPR: 2
; COMPUTE_PGM_RSRC2:TRAP_HANDLER: 0
; COMPUTE_PGM_RSRC2:TGID_X_EN: 1
; COMPUTE_PGM_RSRC2:TGID_Y_EN: 1
; COMPUTE_PGM_RSRC2:TGID_Z_EN: 1
; COMPUTE_PGM_RSRC2:TIDIG_COMP_CNT: 1
; COMPUTE_PGM_RSRC3_GFX90A:ACCUM_OFFSET: 26
; COMPUTE_PGM_RSRC3_GFX90A:TG_SPLIT: 0
	.section	.text._ZN12_GLOBAL__N_127rocblas_gemm_batched_kernelI19rocblas_complex_numIfELi16ELi16ELi32ELi32ELi8ELi32ELi8ELi8ELi32ELc78ELc78EKPKS2_S5_KPS2_EEvlllT_PT11_llSA_llS8_PT12_llPT13_lli,"axG",@progbits,_ZN12_GLOBAL__N_127rocblas_gemm_batched_kernelI19rocblas_complex_numIfELi16ELi16ELi32ELi32ELi8ELi32ELi8ELi8ELi32ELc78ELc78EKPKS2_S5_KPS2_EEvlllT_PT11_llSA_llS8_PT12_llPT13_lli,comdat
	.globl	_ZN12_GLOBAL__N_127rocblas_gemm_batched_kernelI19rocblas_complex_numIfELi16ELi16ELi32ELi32ELi8ELi32ELi8ELi8ELi32ELc78ELc78EKPKS2_S5_KPS2_EEvlllT_PT11_llSA_llS8_PT12_llPT13_lli ; -- Begin function _ZN12_GLOBAL__N_127rocblas_gemm_batched_kernelI19rocblas_complex_numIfELi16ELi16ELi32ELi32ELi8ELi32ELi8ELi8ELi32ELc78ELc78EKPKS2_S5_KPS2_EEvlllT_PT11_llSA_llS8_PT12_llPT13_lli
	.p2align	8
	.type	_ZN12_GLOBAL__N_127rocblas_gemm_batched_kernelI19rocblas_complex_numIfELi16ELi16ELi32ELi32ELi8ELi32ELi8ELi8ELi32ELc78ELc78EKPKS2_S5_KPS2_EEvlllT_PT11_llSA_llS8_PT12_llPT13_lli,@function
_ZN12_GLOBAL__N_127rocblas_gemm_batched_kernelI19rocblas_complex_numIfELi16ELi16ELi32ELi32ELi8ELi32ELi8ELi8ELi32ELc78ELc78EKPKS2_S5_KPS2_EEvlllT_PT11_llSA_llS8_PT12_llPT13_lli: ; @_ZN12_GLOBAL__N_127rocblas_gemm_batched_kernelI19rocblas_complex_numIfELi16ELi16ELi32ELi32ELi8ELi32ELi8ELi8ELi32ELc78ELc78EKPKS2_S5_KPS2_EEvlllT_PT11_llSA_llS8_PT12_llPT13_lli
; %bb.0:
	s_load_dwordx16 s[8:23], s[0:1], 0x10
	s_load_dwordx4 s[36:39], s[0:1], 0x78
	s_load_dwordx8 s[24:31], s[0:1], 0x58
	s_load_dwordx2 s[6:7], s[0:1], 0x50
	s_mov_b32 s5, 0
	s_lshl_b64 s[34:35], s[4:5], 3
	s_mov_b32 s40, s3
	s_waitcnt lgkmcnt(0)
	s_add_u32 s0, s24, s34
	s_addc_u32 s1, s25, s35
	s_add_u32 s4, s30, s34
	s_addc_u32 s5, s31, s35
	s_load_dwordx2 s[0:1], s[0:1], 0x0
	v_mov_b32_e32 v27, 0
	s_load_dwordx2 s[4:5], s[4:5], 0x0
	s_ashr_i32 s3, s2, 31
	s_ashr_i32 s41, s40, 31
	v_cmp_lt_i64_e64 s[30:31], s[8:9], 1
	v_bfe_u32 v26, v0, 10, 10
	v_and_b32_e32 v24, 0x3ff, v0
	v_mov_b32_e32 v25, v27
	s_lshl_b64 s[2:3], s[2:3], 5
	s_lshl_b64 s[24:25], s[40:41], 5
	s_and_b64 vcc, exec, s[30:31]
	v_mov_b32_e32 v21, v27
	v_mov_b32_e32 v20, v27
	;; [unrolled: 1-line block ×8, first 2 shown]
	s_cbranch_vccnz .LBB243_3
; %bb.1:
	s_add_u32 s12, s12, s34
	s_addc_u32 s13, s13, s35
	s_load_dwordx2 s[12:13], s[12:13], 0x0
	v_lshl_add_u32 v4, v26, 4, v24
	v_lshrrev_b32_e32 v9, 5, v4
	v_mov_b64_e32 v[6:7], s[2:3]
	v_and_b32_e32 v2, 31, v4
	v_mad_u64_u32 v[6:7], s[30:31], s14, v9, v[6:7]
	s_add_u32 s18, s18, s34
	v_lshrrev_b32_e32 v22, 3, v4
	v_lshlrev_b32_e32 v4, 3, v2
	v_mov_b32_e32 v8, v7
	s_addc_u32 s19, s19, s35
	v_mov_b32_e32 v23, 0
	v_lshl_or_b32 v29, v9, 8, v4
	s_lshl_b64 s[16:17], s[16:17], 3
	v_mad_u64_u32 v[8:9], s[30:31], s15, v9, v[8:9]
	v_and_b32_e32 v5, 7, v24
	v_mov_b32_e32 v3, v23
	v_mov_b32_e32 v7, v8
	s_waitcnt lgkmcnt(0)
	s_add_u32 s12, s12, s16
	s_load_dwordx2 s[18:19], s[18:19], 0x0
	v_lshl_add_u64 v[0:1], v[22:23], 0, s[24:25]
	v_lshlrev_b32_e32 v4, 3, v5
	v_lshl_add_u64 v[2:3], v[6:7], 0, v[2:3]
	s_addc_u32 s13, s13, s17
	v_lshl_or_b32 v5, v22, 6, v4
	v_lshl_add_u64 v[36:37], v[2:3], 3, s[12:13]
	s_lshl_b64 s[12:13], s[14:15], 6
	v_mul_lo_u32 v2, s21, v0
	v_mul_lo_u32 v3, s20, v1
	v_mad_u64_u32 v[0:1], s[14:15], s20, v0, 0
	v_add_u32_e32 v31, 0x800, v5
	v_mov_b32_e32 v5, 0x800
	v_add3_u32 v1, v1, v3, v2
	s_lshl_b64 s[14:15], s[22:23], 3
	v_lshl_add_u32 v35, v26, 6, v5
	v_lshl_add_u64 v[0:1], v[0:1], 3, s[14:15]
	v_mov_b32_e32 v5, v23
	v_lshl_add_u64 v[0:1], v[0:1], 0, v[4:5]
	v_lshlrev_b32_e32 v33, 3, v24
	s_waitcnt lgkmcnt(0)
	v_lshl_add_u64 v[38:39], s[18:19], 0, v[0:1]
	s_mov_b64 s[14:15], 0
	v_mov_b64_e32 v[40:41], s[8:9]
	v_mov_b32_e32 v22, v23
	v_mov_b32_e32 v30, v23
	;; [unrolled: 1-line block ×7, first 2 shown]
.LBB243_2:                              ; =>This Inner Loop Header: Depth=1
	flat_load_dwordx2 v[0:1], v[36:37]
	s_add_u32 s14, s14, 8
	s_addc_u32 s15, s15, 0
	v_cmp_lt_i64_e32 vcc, s[14:15], v[40:41]
	v_lshl_add_u64 v[36:37], v[36:37], 0, s[12:13]
	s_and_b64 vcc, exec, vcc
	s_waitcnt vmcnt(0) lgkmcnt(0)
	ds_write_b64 v29, v[0:1]
	flat_load_dwordx2 v[0:1], v[38:39]
	v_lshl_add_u64 v[38:39], v[38:39], 0, 64
	s_waitcnt vmcnt(0) lgkmcnt(0)
	ds_write_b64 v31, v[0:1]
	s_waitcnt lgkmcnt(0)
	s_barrier
	ds_read2_b64 v[4:7], v33 offset1:16
	ds_read_b128 v[8:11], v35
	ds_read_b128 v[0:3], v35 offset:16
	ds_read2_b64 v[12:15], v33 offset0:32 offset1:48
	ds_read_b128 v[16:19], v35 offset:1024
	ds_read_b128 v[42:45], v35 offset:1040
	ds_read2_b64 v[46:49], v33 offset0:64 offset1:80
	ds_read2_b64 v[50:53], v33 offset0:96 offset1:112
	;; [unrolled: 1-line block ×4, first 2 shown]
	ds_read_b128 v[62:65], v35 offset:1056
	ds_read_b128 v[66:69], v35 offset:32
	;; [unrolled: 1-line block ×3, first 2 shown]
	s_waitcnt lgkmcnt(11)
	v_mul_f32_e32 v78, v9, v5
	v_mul_f32_e32 v80, v8, v5
	;; [unrolled: 1-line block ×4, first 2 shown]
	s_waitcnt lgkmcnt(9)
	v_mul_f32_e32 v82, v11, v13
	v_mul_f32_e32 v83, v10, v13
	;; [unrolled: 1-line block ×4, first 2 shown]
	s_waitcnt lgkmcnt(8)
	v_mul_f32_e32 v86, v17, v5
	v_mul_f32_e32 v87, v16, v5
	v_pk_mul_f32 v[74:75], v[16:17], v[6:7] op_sel:[1,1] op_sel_hi:[0,1]
	v_mul_f32_e32 v5, v19, v13
	v_mul_f32_e32 v88, v18, v13
	v_pk_mul_f32 v[76:77], v[18:19], v[14:15] op_sel:[1,1] op_sel_hi:[0,1]
	v_fma_f32 v89, v8, v4, -v78
	v_fmac_f32_e32 v80, v9, v4
	v_fma_f32 v90, v8, v6, -v79
	v_fmac_f32_e32 v81, v9, v6
	;; [unrolled: 2-line block ×5, first 2 shown]
	v_pk_fma_f32 v[78:79], v[16:17], v[6:7], v[74:75] neg_lo:[0,0,1] neg_hi:[0,0,1]
	v_pk_fma_f32 v[16:17], v[16:17], v[6:7], v[74:75] op_sel_hi:[1,0,1]
	v_fma_f32 v74, v18, v12, -v5
	v_fmac_f32_e32 v88, v19, v12
	v_pk_fma_f32 v[12:13], v[18:19], v[14:15], v[76:77] neg_lo:[0,0,1] neg_hi:[0,0,1]
	v_pk_fma_f32 v[14:15], v[18:19], v[14:15], v[76:77] op_sel_hi:[1,0,1]
	s_waitcnt lgkmcnt(5)
	v_mul_f32_e32 v7, v3, v51
	v_mul_f32_e32 v9, v3, v53
	;; [unrolled: 1-line block ×4, first 2 shown]
	v_pk_mul_f32 v[4:5], v[42:43], v[48:49] op_sel:[1,1] op_sel_hi:[0,1]
	v_mul_f32_e32 v8, v1, v47
	v_mul_f32_e32 v91, v0, v47
	;; [unrolled: 1-line block ×6, first 2 shown]
	v_fma_f32 v93, v2, v50, -v7
	v_fma_f32 v94, v2, v52, -v9
	v_mul_f32_e32 v2, v45, v51
	v_fma_f32 v96, v42, v46, -v10
	v_fmac_f32_e32 v76, v43, v46
	v_pk_fma_f32 v[18:19], v[42:43], v[48:49], v[4:5] neg_lo:[0,0,1] neg_hi:[0,0,1]
	v_pk_fma_f32 v[42:43], v[42:43], v[48:49], v[4:5] op_sel_hi:[1,0,1]
	s_waitcnt lgkmcnt(1)
	v_mul_f32_e32 v98, v68, v59
	v_mul_f32_e32 v99, v68, v61
	;; [unrolled: 1-line block ×3, first 2 shown]
	v_fma_f32 v77, v0, v46, -v8
	v_fmac_f32_e32 v91, v1, v46
	v_fma_f32 v92, v0, v48, -v6
	v_fmac_f32_e32 v16, v1, v48
	v_fmac_f32_e32 v14, v3, v50
	;; [unrolled: 1-line block ×3, first 2 shown]
	v_mul_f32_e32 v95, v44, v51
	v_pk_mul_f32 v[0:1], v[44:45], v[52:53] op_sel:[1,1] op_sel_hi:[0,1]
	v_fma_f32 v42, v44, v50, -v2
	v_mul_f32_e32 v2, v69, v59
	v_mul_f32_e32 v3, v69, v61
	v_fmac_f32_e32 v98, v69, v58
	v_fmac_f32_e32 v99, v69, v60
	v_fma_f32 v69, v62, v54, -v4
	v_pk_mul_f32 v[4:5], v[62:63], v[56:57] op_sel:[1,1] op_sel_hi:[0,1]
	v_fmac_f32_e32 v95, v45, v50
	v_pk_fma_f32 v[46:47], v[44:45], v[52:53], v[0:1] neg_lo:[0,0,1] neg_hi:[0,0,1]
	v_pk_fma_f32 v[44:45], v[44:45], v[52:53], v[0:1] op_sel_hi:[1,0,1]
	v_pk_fma_f32 v[48:49], v[62:63], v[56:57], v[4:5] neg_lo:[0,0,1] neg_hi:[0,0,1]
	v_pk_fma_f32 v[50:51], v[62:63], v[56:57], v[4:5] op_sel_hi:[1,0,1]
	v_mul_f32_e32 v4, v65, v59
	v_mul_f32_e32 v0, v67, v55
	;; [unrolled: 1-line block ×4, first 2 shown]
	v_fma_f32 v50, v64, v58, -v4
	v_pk_mul_f32 v[4:5], v[64:65], v[60:61] op_sel:[1,1] op_sel_hi:[0,1]
	v_fma_f32 v100, v66, v54, -v0
	v_fmac_f32_e32 v44, v67, v54
	v_fmac_f32_e32 v101, v63, v54
	v_pk_fma_f32 v[52:53], v[64:65], v[60:61], v[4:5] neg_lo:[0,0,1] neg_hi:[0,0,1]
	v_pk_fma_f32 v[54:55], v[64:65], v[60:61], v[4:5] op_sel_hi:[1,0,1]
	ds_read2_b64 v[4:7], v33 offset0:192 offset1:208
	v_mul_f32_e32 v97, v66, v57
	v_mul_f32_e32 v1, v67, v57
	v_fmac_f32_e32 v97, v67, v56
	v_fma_f32 v67, v68, v58, -v2
	s_waitcnt lgkmcnt(0)
	v_mul_f32_e32 v8, v71, v5
	v_fma_f32 v54, v70, v4, -v8
	v_mul_f32_e32 v8, v71, v7
	v_fma_f32 v68, v68, v60, -v3
	v_fma_f32 v60, v70, v6, -v8
	ds_read2_b64 v[8:11], v33 offset0:224 offset1:240
	v_fma_f32 v66, v66, v56, -v1
	ds_read_b128 v[0:3], v35 offset:1072
	v_mul_f32_e32 v59, v64, v59
	v_fmac_f32_e32 v59, v65, v58
	s_waitcnt lgkmcnt(1)
	v_mul_f32_e32 v13, v73, v9
	v_mul_f32_e32 v58, v70, v5
	;; [unrolled: 1-line block ×3, first 2 shown]
	v_fma_f32 v62, v72, v8, -v13
	v_mul_f32_e32 v13, v73, v11
	v_fmac_f32_e32 v58, v71, v4
	v_fmac_f32_e32 v61, v71, v6
	v_fma_f32 v64, v72, v10, -v13
	s_waitcnt lgkmcnt(0)
	v_mul_f32_e32 v13, v1, v5
	v_mul_f32_e32 v71, v0, v5
	v_fma_f32 v70, v0, v4, -v13
	v_fmac_f32_e32 v71, v1, v4
	v_pk_mul_f32 v[4:5], v[0:1], v[6:7] op_sel:[1,1] op_sel_hi:[0,1]
	v_pk_fma_f32 v[56:57], v[0:1], v[6:7], v[4:5] neg_lo:[0,0,1] neg_hi:[0,0,1]
	v_pk_fma_f32 v[0:1], v[0:1], v[6:7], v[4:5] op_sel_hi:[1,0,1]
	v_mul_f32_e32 v63, v72, v9
	v_mul_f32_e32 v0, v3, v9
	v_mul_f32_e32 v9, v2, v9
	v_pk_mul_f32 v[4:5], v[2:3], v[10:11] op_sel:[1,1] op_sel_hi:[0,1]
	v_mul_f32_e32 v65, v72, v11
	v_fma_f32 v72, v2, v8, -v0
	v_fmac_f32_e32 v9, v3, v8
	v_pk_fma_f32 v[6:7], v[2:3], v[10:11], v[4:5] neg_lo:[0,0,1] neg_hi:[0,0,1]
	v_pk_fma_f32 v[2:3], v[2:3], v[10:11], v[4:5] op_sel_hi:[1,0,1]
	v_mov_b32_e32 v79, v17
	v_fmac_f32_e32 v63, v73, v8
	v_fmac_f32_e32 v65, v73, v10
	v_add_f32_e32 v2, v32, v89
	v_add_f32_e32 v4, v34, v80
	;; [unrolled: 1-line block ×6, first 2 shown]
	v_mov_b32_e32 v13, v15
	v_mov_b32_e32 v57, v1
	v_pk_add_f32 v[0:1], v[20:21], v[78:79]
	v_mov_b32_e32 v19, v43
	v_mov_b32_e32 v7, v3
	v_add_f32_e32 v2, v2, v82
	v_add_f32_e32 v3, v4, v83
	v_add_f32_e32 v4, v5, v84
	v_add_f32_e32 v5, v8, v85
	v_add_f32_e32 v8, v10, v74
	v_add_f32_e32 v10, v11, v88
	v_pk_add_f32 v[0:1], v[0:1], v[12:13]
	v_mov_b32_e32 v47, v45
	v_add_f32_e32 v2, v2, v77
	v_add_f32_e32 v3, v3, v91
	v_add_f32_e32 v4, v4, v92
	v_add_f32_e32 v5, v5, v16
	v_add_f32_e32 v8, v8, v96
	v_add_f32_e32 v10, v10, v76
	v_pk_add_f32 v[0:1], v[0:1], v[18:19]
	;; [unrolled: 8-line block ×4, first 2 shown]
	v_add_f32_e32 v2, v2, v67
	v_add_f32_e32 v3, v3, v98
	v_add_f32_e32 v4, v4, v68
	v_add_f32_e32 v5, v5, v99
	v_add_f32_e32 v8, v8, v50
	v_add_f32_e32 v10, v10, v59
	v_pk_add_f32 v[0:1], v[0:1], v[52:53]
	v_add_f32_e32 v2, v2, v54
	v_add_f32_e32 v3, v3, v58
	v_add_f32_e32 v4, v4, v60
	v_add_f32_e32 v5, v5, v61
	v_add_f32_e32 v8, v8, v70
	v_add_f32_e32 v10, v10, v71
	v_pk_add_f32 v[0:1], v[0:1], v[56:57]
	;; [unrolled: 7-line block ×3, first 2 shown]
	s_barrier
	s_cbranch_vccnz .LBB243_2
.LBB243_3:
	s_lshl_b64 s[8:9], s[38:39], 3
	s_waitcnt lgkmcnt(0)
	s_add_u32 s4, s4, s8
	s_addc_u32 s5, s5, s9
	s_or_b32 s8, s6, s7
	s_bitset0_b32 s8, 31
	v_lshl_add_u64 v[0:1], s[24:25], 0, v[26:27]
	s_cmp_lg_u32 s8, 0
	v_lshl_add_u64 v[2:3], s[2:3], 0, v[24:25]
	s_mov_b32 s2, s11
	s_mov_b32 s3, s10
	s_cbranch_scc1 .LBB243_5
; %bb.4:
	v_mul_lo_u32 v6, v1, s36
	v_mul_lo_u32 v7, v0, s37
	v_mad_u64_u32 v[4:5], s[8:9], v0, s36, 0
	v_add3_u32 v5, v5, v7, v6
	v_pk_mul_f32 v[10:11], v[34:35], s[2:3] op_sel_hi:[0,1]
	v_lshl_add_u64 v[4:5], v[4:5], 3, s[4:5]
	v_lshlrev_b64 v[6:7], 3, v[2:3]
	v_pk_fma_f32 v[12:13], v[32:33], s[2:3], v[10:11] op_sel:[0,1,0] op_sel_hi:[1,0,1] neg_lo:[0,0,1] neg_hi:[0,0,1]
	v_pk_fma_f32 v[10:11], v[32:33], s[2:3], v[10:11] op_sel:[0,1,0] op_sel_hi:[0,0,1]
	v_lshl_add_u64 v[8:9], v[4:5], 0, v[6:7]
	v_mov_b32_e32 v13, v11
	v_pk_mul_f32 v[10:11], v[30:31], s[2:3] op_sel_hi:[0,1]
	flat_store_dwordx2 v[8:9], v[12:13]
	v_pk_fma_f32 v[12:13], v[28:29], s[2:3], v[10:11] op_sel:[0,1,0] op_sel_hi:[1,0,1] neg_lo:[0,0,1] neg_hi:[0,0,1]
	v_pk_fma_f32 v[10:11], v[28:29], s[2:3], v[10:11] op_sel:[0,1,0] op_sel_hi:[0,0,1]
	s_lshl_b64 s[8:9], s[36:37], 7
	v_mov_b32_e32 v13, v11
	v_lshl_add_u64 v[4:5], v[4:5], 0, s[8:9]
	flat_store_dwordx2 v[8:9], v[12:13] offset:128
	v_lshl_add_u64 v[8:9], v[4:5], 0, v[6:7]
	v_mov_b32_e32 v4, v23
	v_pk_mul_f32 v[4:5], v[4:5], s[2:3] op_sel_hi:[0,1]
	v_pk_fma_f32 v[6:7], v[22:23], s[2:3], v[4:5] op_sel:[0,1,0] op_sel_hi:[1,0,1] neg_lo:[0,0,1] neg_hi:[0,0,1]
	v_pk_fma_f32 v[4:5], v[22:23], s[2:3], v[4:5] op_sel:[0,1,0] op_sel_hi:[0,0,1]
	v_mov_b32_e32 v7, v5
	v_mul_f32_e32 v4, s3, v20
	flat_store_dwordx2 v[8:9], v[6:7]
	v_fma_f32 v7, -v21, s2, v4
	v_pk_mul_f32 v[4:5], v[20:21], s[2:3]
	s_mov_b64 s[8:9], 0x80
	v_add_f32_e32 v6, v4, v5
	v_lshl_add_u64 v[4:5], v[8:9], 0, s[8:9]
	flat_store_dword v[8:9], v7 offset:128
	s_cbranch_execz .LBB243_6
	s_branch .LBB243_7
.LBB243_5:
                                        ; implicit-def: $vgpr6
                                        ; implicit-def: $vgpr4_vgpr5
.LBB243_6:
	s_lshl_b64 s[8:9], s[28:29], 3
	s_add_u32 s0, s0, s8
	s_addc_u32 s1, s1, s9
	v_mul_lo_u32 v6, v1, s26
	v_mul_lo_u32 v7, v0, s27
	v_mad_u64_u32 v[4:5], s[8:9], v0, s26, 0
	v_add3_u32 v5, v5, v7, v6
	v_lshl_add_u64 v[4:5], v[4:5], 3, s[0:1]
	v_lshlrev_b64 v[2:3], 3, v[2:3]
	v_lshl_add_u64 v[6:7], v[4:5], 0, v[2:3]
	flat_load_dwordx2 v[8:9], v[6:7]
	v_mul_lo_u32 v12, v1, s36
	v_mul_lo_u32 v13, v0, s37
	v_mad_u64_u32 v[0:1], s[0:1], v0, s36, 0
	s_mov_b32 s0, s7
	v_pk_mul_f32 v[10:11], v[34:35], s[2:3] op_sel_hi:[0,1]
	v_add3_u32 v1, v1, v13, v12
	v_pk_fma_f32 v[12:13], v[32:33], s[2:3], v[10:11] op_sel:[0,1,0] op_sel_hi:[1,0,1] neg_lo:[0,0,1] neg_hi:[0,0,1]
	v_pk_fma_f32 v[10:11], v[32:33], s[2:3], v[10:11] op_sel:[0,1,0] op_sel_hi:[0,0,1]
	v_lshl_add_u64 v[0:1], v[0:1], 3, s[4:5]
	v_mov_b32_e32 v13, v11
	v_lshl_add_u64 v[10:11], v[0:1], 0, v[2:3]
	s_lshl_b64 s[4:5], s[26:27], 7
	v_lshl_add_u64 v[4:5], v[4:5], 0, s[4:5]
	v_lshl_add_u64 v[4:5], v[4:5], 0, v[2:3]
	s_lshl_b64 s[4:5], s[36:37], 7
	v_lshl_add_u64 v[0:1], v[0:1], 0, s[4:5]
	v_lshl_add_u64 v[0:1], v[0:1], 0, v[2:3]
	s_mov_b32 s11, s6
	s_waitcnt vmcnt(0) lgkmcnt(0)
	v_pk_mul_f32 v[14:15], v[8:9], s[0:1] op_sel_hi:[1,0]
	s_nop 0
	v_pk_fma_f32 v[16:17], v[8:9], s[6:7], v[14:15] op_sel:[0,0,1] op_sel_hi:[1,1,0] neg_lo:[0,0,1] neg_hi:[0,0,1]
	v_pk_fma_f32 v[8:9], v[8:9], s[6:7], v[14:15] op_sel:[0,0,1] op_sel_hi:[1,0,0]
	s_nop 0
	v_mov_b32_e32 v17, v9
	v_pk_add_f32 v[8:9], v[12:13], v[16:17]
	flat_store_dwordx2 v[10:11], v[8:9]
	flat_load_dwordx2 v[6:7], v[6:7] offset:128
	v_pk_mul_f32 v[8:9], v[30:31], s[2:3] op_sel_hi:[0,1]
	v_pk_fma_f32 v[12:13], v[28:29], s[2:3], v[8:9] op_sel:[0,1,0] op_sel_hi:[1,0,1] neg_lo:[0,0,1] neg_hi:[0,0,1]
	v_pk_fma_f32 v[8:9], v[28:29], s[2:3], v[8:9] op_sel:[0,1,0] op_sel_hi:[0,0,1]
	v_mov_b32_e32 v13, v9
	s_waitcnt vmcnt(0) lgkmcnt(0)
	v_pk_mul_f32 v[8:9], v[6:7], s[0:1] op_sel_hi:[1,0]
	s_nop 0
	v_pk_fma_f32 v[14:15], v[6:7], s[6:7], v[8:9] op_sel:[0,0,1] op_sel_hi:[1,1,0] neg_lo:[0,0,1] neg_hi:[0,0,1]
	v_pk_fma_f32 v[6:7], v[6:7], s[6:7], v[8:9] op_sel:[0,0,1] op_sel_hi:[1,0,0]
	v_mov_b32_e32 v8, v23
	v_mov_b32_e32 v15, v7
	v_pk_add_f32 v[6:7], v[12:13], v[14:15]
	flat_store_dwordx2 v[10:11], v[6:7] offset:128
	flat_load_dwordx2 v[6:7], v[4:5]
	v_pk_mul_f32 v[8:9], v[8:9], s[2:3] op_sel_hi:[0,1]
	v_pk_fma_f32 v[10:11], v[22:23], s[2:3], v[8:9] op_sel:[0,1,0] op_sel_hi:[1,0,1] neg_lo:[0,0,1] neg_hi:[0,0,1]
	v_pk_fma_f32 v[8:9], v[22:23], s[2:3], v[8:9] op_sel:[0,1,0] op_sel_hi:[0,0,1]
	v_mov_b32_e32 v11, v9
	s_waitcnt vmcnt(0) lgkmcnt(0)
	v_pk_mul_f32 v[2:3], v[6:7], s[0:1] op_sel_hi:[1,0]
	s_nop 0
	v_pk_fma_f32 v[8:9], v[6:7], s[6:7], v[2:3] op_sel:[0,0,1] op_sel_hi:[1,1,0] neg_lo:[0,0,1] neg_hi:[0,0,1]
	v_pk_fma_f32 v[2:3], v[6:7], s[6:7], v[2:3] op_sel:[0,0,1] op_sel_hi:[1,0,0]
	v_mov_b32_e32 v6, v20
	v_mov_b32_e32 v9, v3
	v_pk_add_f32 v[2:3], v[10:11], v[8:9]
	flat_store_dwordx2 v[0:1], v[2:3]
	flat_load_dwordx2 v[2:3], v[4:5] offset:128
	v_mul_f32_e32 v4, s3, v20
	s_mov_b32 s3, s7
	s_mov_b64 s[0:1], 0x80
	v_fma_f32 v8, -v21, s2, v4
	v_lshl_add_u64 v[4:5], v[0:1], 0, s[0:1]
	s_waitcnt vmcnt(0) lgkmcnt(0)
	v_mul_f32_e32 v9, s7, v3
	v_mov_b32_e32 v7, v2
	v_fma_f32 v9, v2, s6, -v9
	v_mov_b32_e32 v2, v21
	v_pk_mul_f32 v[2:3], v[2:3], s[10:11]
	v_add_f32_e32 v8, v8, v9
	v_pk_fma_f32 v[2:3], v[6:7], s[2:3], v[2:3]
	flat_store_dword v[0:1], v8 offset:128
	v_add_f32_e32 v6, v2, v3
.LBB243_7:
	flat_store_dword v[4:5], v6 offset:4
	s_endpgm
	.section	.rodata,"a",@progbits
	.p2align	6, 0x0
	.amdhsa_kernel _ZN12_GLOBAL__N_127rocblas_gemm_batched_kernelI19rocblas_complex_numIfELi16ELi16ELi32ELi32ELi8ELi32ELi8ELi8ELi32ELc78ELc78EKPKS2_S5_KPS2_EEvlllT_PT11_llSA_llS8_PT12_llPT13_lli
		.amdhsa_group_segment_fixed_size 4096
		.amdhsa_private_segment_fixed_size 0
		.amdhsa_kernarg_size 140
		.amdhsa_user_sgpr_count 2
		.amdhsa_user_sgpr_dispatch_ptr 0
		.amdhsa_user_sgpr_queue_ptr 0
		.amdhsa_user_sgpr_kernarg_segment_ptr 1
		.amdhsa_user_sgpr_dispatch_id 0
		.amdhsa_user_sgpr_kernarg_preload_length 0
		.amdhsa_user_sgpr_kernarg_preload_offset 0
		.amdhsa_user_sgpr_private_segment_size 0
		.amdhsa_uses_dynamic_stack 0
		.amdhsa_enable_private_segment 0
		.amdhsa_system_sgpr_workgroup_id_x 1
		.amdhsa_system_sgpr_workgroup_id_y 1
		.amdhsa_system_sgpr_workgroup_id_z 1
		.amdhsa_system_sgpr_workgroup_info 0
		.amdhsa_system_vgpr_workitem_id 1
		.amdhsa_next_free_vgpr 102
		.amdhsa_next_free_sgpr 42
		.amdhsa_accum_offset 104
		.amdhsa_reserve_vcc 1
		.amdhsa_float_round_mode_32 0
		.amdhsa_float_round_mode_16_64 0
		.amdhsa_float_denorm_mode_32 3
		.amdhsa_float_denorm_mode_16_64 3
		.amdhsa_dx10_clamp 1
		.amdhsa_ieee_mode 1
		.amdhsa_fp16_overflow 0
		.amdhsa_tg_split 0
		.amdhsa_exception_fp_ieee_invalid_op 0
		.amdhsa_exception_fp_denorm_src 0
		.amdhsa_exception_fp_ieee_div_zero 0
		.amdhsa_exception_fp_ieee_overflow 0
		.amdhsa_exception_fp_ieee_underflow 0
		.amdhsa_exception_fp_ieee_inexact 0
		.amdhsa_exception_int_div_zero 0
	.end_amdhsa_kernel
	.section	.text._ZN12_GLOBAL__N_127rocblas_gemm_batched_kernelI19rocblas_complex_numIfELi16ELi16ELi32ELi32ELi8ELi32ELi8ELi8ELi32ELc78ELc78EKPKS2_S5_KPS2_EEvlllT_PT11_llSA_llS8_PT12_llPT13_lli,"axG",@progbits,_ZN12_GLOBAL__N_127rocblas_gemm_batched_kernelI19rocblas_complex_numIfELi16ELi16ELi32ELi32ELi8ELi32ELi8ELi8ELi32ELc78ELc78EKPKS2_S5_KPS2_EEvlllT_PT11_llSA_llS8_PT12_llPT13_lli,comdat
.Lfunc_end243:
	.size	_ZN12_GLOBAL__N_127rocblas_gemm_batched_kernelI19rocblas_complex_numIfELi16ELi16ELi32ELi32ELi8ELi32ELi8ELi8ELi32ELc78ELc78EKPKS2_S5_KPS2_EEvlllT_PT11_llSA_llS8_PT12_llPT13_lli, .Lfunc_end243-_ZN12_GLOBAL__N_127rocblas_gemm_batched_kernelI19rocblas_complex_numIfELi16ELi16ELi32ELi32ELi8ELi32ELi8ELi8ELi32ELc78ELc78EKPKS2_S5_KPS2_EEvlllT_PT11_llSA_llS8_PT12_llPT13_lli
                                        ; -- End function
	.set _ZN12_GLOBAL__N_127rocblas_gemm_batched_kernelI19rocblas_complex_numIfELi16ELi16ELi32ELi32ELi8ELi32ELi8ELi8ELi32ELc78ELc78EKPKS2_S5_KPS2_EEvlllT_PT11_llSA_llS8_PT12_llPT13_lli.num_vgpr, 102
	.set _ZN12_GLOBAL__N_127rocblas_gemm_batched_kernelI19rocblas_complex_numIfELi16ELi16ELi32ELi32ELi8ELi32ELi8ELi8ELi32ELc78ELc78EKPKS2_S5_KPS2_EEvlllT_PT11_llSA_llS8_PT12_llPT13_lli.num_agpr, 0
	.set _ZN12_GLOBAL__N_127rocblas_gemm_batched_kernelI19rocblas_complex_numIfELi16ELi16ELi32ELi32ELi8ELi32ELi8ELi8ELi32ELc78ELc78EKPKS2_S5_KPS2_EEvlllT_PT11_llSA_llS8_PT12_llPT13_lli.numbered_sgpr, 42
	.set _ZN12_GLOBAL__N_127rocblas_gemm_batched_kernelI19rocblas_complex_numIfELi16ELi16ELi32ELi32ELi8ELi32ELi8ELi8ELi32ELc78ELc78EKPKS2_S5_KPS2_EEvlllT_PT11_llSA_llS8_PT12_llPT13_lli.num_named_barrier, 0
	.set _ZN12_GLOBAL__N_127rocblas_gemm_batched_kernelI19rocblas_complex_numIfELi16ELi16ELi32ELi32ELi8ELi32ELi8ELi8ELi32ELc78ELc78EKPKS2_S5_KPS2_EEvlllT_PT11_llSA_llS8_PT12_llPT13_lli.private_seg_size, 0
	.set _ZN12_GLOBAL__N_127rocblas_gemm_batched_kernelI19rocblas_complex_numIfELi16ELi16ELi32ELi32ELi8ELi32ELi8ELi8ELi32ELc78ELc78EKPKS2_S5_KPS2_EEvlllT_PT11_llSA_llS8_PT12_llPT13_lli.uses_vcc, 1
	.set _ZN12_GLOBAL__N_127rocblas_gemm_batched_kernelI19rocblas_complex_numIfELi16ELi16ELi32ELi32ELi8ELi32ELi8ELi8ELi32ELc78ELc78EKPKS2_S5_KPS2_EEvlllT_PT11_llSA_llS8_PT12_llPT13_lli.uses_flat_scratch, 0
	.set _ZN12_GLOBAL__N_127rocblas_gemm_batched_kernelI19rocblas_complex_numIfELi16ELi16ELi32ELi32ELi8ELi32ELi8ELi8ELi32ELc78ELc78EKPKS2_S5_KPS2_EEvlllT_PT11_llSA_llS8_PT12_llPT13_lli.has_dyn_sized_stack, 0
	.set _ZN12_GLOBAL__N_127rocblas_gemm_batched_kernelI19rocblas_complex_numIfELi16ELi16ELi32ELi32ELi8ELi32ELi8ELi8ELi32ELc78ELc78EKPKS2_S5_KPS2_EEvlllT_PT11_llSA_llS8_PT12_llPT13_lli.has_recursion, 0
	.set _ZN12_GLOBAL__N_127rocblas_gemm_batched_kernelI19rocblas_complex_numIfELi16ELi16ELi32ELi32ELi8ELi32ELi8ELi8ELi32ELc78ELc78EKPKS2_S5_KPS2_EEvlllT_PT11_llSA_llS8_PT12_llPT13_lli.has_indirect_call, 0
	.section	.AMDGPU.csdata,"",@progbits
; Kernel info:
; codeLenInByte = 2516
; TotalNumSgprs: 48
; NumVgprs: 102
; NumAgprs: 0
; TotalNumVgprs: 102
; ScratchSize: 0
; MemoryBound: 0
; FloatMode: 240
; IeeeMode: 1
; LDSByteSize: 4096 bytes/workgroup (compile time only)
; SGPRBlocks: 5
; VGPRBlocks: 12
; NumSGPRsForWavesPerEU: 48
; NumVGPRsForWavesPerEU: 102
; AccumOffset: 104
; Occupancy: 4
; WaveLimiterHint : 1
; COMPUTE_PGM_RSRC2:SCRATCH_EN: 0
; COMPUTE_PGM_RSRC2:USER_SGPR: 2
; COMPUTE_PGM_RSRC2:TRAP_HANDLER: 0
; COMPUTE_PGM_RSRC2:TGID_X_EN: 1
; COMPUTE_PGM_RSRC2:TGID_Y_EN: 1
; COMPUTE_PGM_RSRC2:TGID_Z_EN: 1
; COMPUTE_PGM_RSRC2:TIDIG_COMP_CNT: 1
; COMPUTE_PGM_RSRC3_GFX90A:ACCUM_OFFSET: 25
; COMPUTE_PGM_RSRC3_GFX90A:TG_SPLIT: 0
	.section	.text._ZN12_GLOBAL__N_127rocblas_gemm_batched_kernelI19rocblas_complex_numIfELi16ELi16ELi32ELi32ELi8ELi32ELi8ELi8ELi32ELc84ELc78EKPKS2_S5_KPS2_EEvlllT_PT11_llSA_llS8_PT12_llPT13_lli,"axG",@progbits,_ZN12_GLOBAL__N_127rocblas_gemm_batched_kernelI19rocblas_complex_numIfELi16ELi16ELi32ELi32ELi8ELi32ELi8ELi8ELi32ELc84ELc78EKPKS2_S5_KPS2_EEvlllT_PT11_llSA_llS8_PT12_llPT13_lli,comdat
	.globl	_ZN12_GLOBAL__N_127rocblas_gemm_batched_kernelI19rocblas_complex_numIfELi16ELi16ELi32ELi32ELi8ELi32ELi8ELi8ELi32ELc84ELc78EKPKS2_S5_KPS2_EEvlllT_PT11_llSA_llS8_PT12_llPT13_lli ; -- Begin function _ZN12_GLOBAL__N_127rocblas_gemm_batched_kernelI19rocblas_complex_numIfELi16ELi16ELi32ELi32ELi8ELi32ELi8ELi8ELi32ELc84ELc78EKPKS2_S5_KPS2_EEvlllT_PT11_llSA_llS8_PT12_llPT13_lli
	.p2align	8
	.type	_ZN12_GLOBAL__N_127rocblas_gemm_batched_kernelI19rocblas_complex_numIfELi16ELi16ELi32ELi32ELi8ELi32ELi8ELi8ELi32ELc84ELc78EKPKS2_S5_KPS2_EEvlllT_PT11_llSA_llS8_PT12_llPT13_lli,@function
_ZN12_GLOBAL__N_127rocblas_gemm_batched_kernelI19rocblas_complex_numIfELi16ELi16ELi32ELi32ELi8ELi32ELi8ELi8ELi32ELc84ELc78EKPKS2_S5_KPS2_EEvlllT_PT11_llSA_llS8_PT12_llPT13_lli: ; @_ZN12_GLOBAL__N_127rocblas_gemm_batched_kernelI19rocblas_complex_numIfELi16ELi16ELi32ELi32ELi8ELi32ELi8ELi8ELi32ELc84ELc78EKPKS2_S5_KPS2_EEvlllT_PT11_llSA_llS8_PT12_llPT13_lli
; %bb.0:
	s_load_dwordx16 s[8:23], s[0:1], 0x10
	s_load_dwordx4 s[36:39], s[0:1], 0x78
	s_load_dwordx8 s[24:31], s[0:1], 0x58
	s_load_dwordx2 s[6:7], s[0:1], 0x50
	s_mov_b32 s5, 0
	s_lshl_b64 s[34:35], s[4:5], 3
	s_mov_b32 s40, s3
	s_waitcnt lgkmcnt(0)
	s_add_u32 s0, s24, s34
	s_addc_u32 s1, s25, s35
	s_add_u32 s4, s30, s34
	s_addc_u32 s5, s31, s35
	s_load_dwordx2 s[0:1], s[0:1], 0x0
	v_mov_b32_e32 v27, 0
	s_load_dwordx2 s[4:5], s[4:5], 0x0
	s_ashr_i32 s3, s2, 31
	s_ashr_i32 s41, s40, 31
	v_cmp_lt_i64_e64 s[30:31], s[8:9], 1
	v_bfe_u32 v26, v0, 10, 10
	v_and_b32_e32 v24, 0x3ff, v0
	v_mov_b32_e32 v25, v27
	s_lshl_b64 s[2:3], s[2:3], 5
	s_lshl_b64 s[24:25], s[40:41], 5
	s_and_b64 vcc, exec, s[30:31]
	v_mov_b32_e32 v21, v27
	v_mov_b32_e32 v20, v27
	;; [unrolled: 1-line block ×8, first 2 shown]
	s_cbranch_vccnz .LBB244_3
; %bb.1:
	v_lshl_add_u32 v4, v26, 4, v24
	v_and_b32_e32 v2, 31, v4
	v_lshrrev_b32_e32 v22, 3, v4
	v_and_b32_e32 v5, 7, v24
	v_lshrrev_b32_e32 v6, 5, v4
	v_lshlrev_b32_e32 v4, 3, v2
	s_add_u32 s12, s12, s34
	v_mov_b32_e32 v23, 0
	v_lshl_or_b32 v29, v6, 8, v4
	v_lshlrev_b32_e32 v4, 3, v5
	s_addc_u32 s13, s13, s35
	v_mov_b32_e32 v3, v23
	v_lshl_or_b32 v5, v22, 6, v4
	s_load_dwordx2 s[12:13], s[12:13], 0x0
	v_add_u32_e32 v31, 0x800, v5
	v_mov_b32_e32 v5, 0x800
	v_lshl_add_u64 v[2:3], s[2:3], 0, v[2:3]
	s_add_u32 s18, s18, s34
	v_lshl_add_u32 v35, v26, 6, v5
	v_mul_lo_u32 v5, s15, v2
	v_mul_lo_u32 v7, s14, v3
	v_mad_u64_u32 v[2:3], s[14:15], s14, v2, 0
	s_addc_u32 s19, s19, s35
	v_add3_u32 v3, v3, v7, v5
	s_lshl_b64 s[14:15], s[16:17], 3
	v_lshl_add_u64 v[0:1], v[22:23], 0, s[24:25]
	v_lshl_add_u64 v[2:3], v[2:3], 3, s[14:15]
	v_lshlrev_b32_e32 v22, 3, v6
	s_load_dwordx2 s[18:19], s[18:19], 0x0
	v_lshl_add_u64 v[2:3], v[2:3], 0, v[22:23]
	s_waitcnt lgkmcnt(0)
	v_lshl_add_u64 v[36:37], s[12:13], 0, v[2:3]
	v_mul_lo_u32 v2, s21, v0
	v_mul_lo_u32 v3, s20, v1
	v_mad_u64_u32 v[0:1], s[12:13], s20, v0, 0
	v_add3_u32 v1, v1, v3, v2
	s_lshl_b64 s[12:13], s[22:23], 3
	v_lshl_add_u64 v[0:1], v[0:1], 3, s[12:13]
	v_mov_b32_e32 v5, v23
	v_lshl_add_u64 v[0:1], v[0:1], 0, v[4:5]
	v_lshlrev_b32_e32 v33, 3, v24
	v_lshl_add_u64 v[38:39], s[18:19], 0, v[0:1]
	s_mov_b64 s[12:13], 0
	v_mov_b64_e32 v[40:41], s[8:9]
	v_mov_b32_e32 v22, v23
	v_mov_b32_e32 v30, v23
	;; [unrolled: 1-line block ×7, first 2 shown]
.LBB244_2:                              ; =>This Inner Loop Header: Depth=1
	flat_load_dwordx2 v[0:1], v[36:37]
	s_add_u32 s12, s12, 8
	s_addc_u32 s13, s13, 0
	v_cmp_lt_i64_e32 vcc, s[12:13], v[40:41]
	v_lshl_add_u64 v[36:37], v[36:37], 0, 64
	s_and_b64 vcc, exec, vcc
	s_waitcnt vmcnt(0) lgkmcnt(0)
	ds_write_b64 v29, v[0:1]
	flat_load_dwordx2 v[0:1], v[38:39]
	v_lshl_add_u64 v[38:39], v[38:39], 0, 64
	s_waitcnt vmcnt(0) lgkmcnt(0)
	ds_write_b64 v31, v[0:1]
	s_waitcnt lgkmcnt(0)
	s_barrier
	ds_read2_b64 v[4:7], v33 offset1:16
	ds_read_b128 v[8:11], v35
	ds_read_b128 v[0:3], v35 offset:16
	ds_read2_b64 v[12:15], v33 offset0:32 offset1:48
	ds_read_b128 v[16:19], v35 offset:1024
	ds_read_b128 v[42:45], v35 offset:1040
	ds_read2_b64 v[46:49], v33 offset0:64 offset1:80
	ds_read2_b64 v[50:53], v33 offset0:96 offset1:112
	;; [unrolled: 1-line block ×4, first 2 shown]
	ds_read_b128 v[62:65], v35 offset:1056
	ds_read_b128 v[66:69], v35 offset:32
	;; [unrolled: 1-line block ×3, first 2 shown]
	s_waitcnt lgkmcnt(11)
	v_mul_f32_e32 v78, v9, v5
	v_mul_f32_e32 v80, v8, v5
	;; [unrolled: 1-line block ×4, first 2 shown]
	s_waitcnt lgkmcnt(9)
	v_mul_f32_e32 v82, v11, v13
	v_mul_f32_e32 v83, v10, v13
	;; [unrolled: 1-line block ×4, first 2 shown]
	s_waitcnt lgkmcnt(8)
	v_mul_f32_e32 v86, v17, v5
	v_mul_f32_e32 v87, v16, v5
	v_pk_mul_f32 v[74:75], v[16:17], v[6:7] op_sel:[1,1] op_sel_hi:[0,1]
	v_mul_f32_e32 v5, v19, v13
	v_mul_f32_e32 v88, v18, v13
	v_pk_mul_f32 v[76:77], v[18:19], v[14:15] op_sel:[1,1] op_sel_hi:[0,1]
	v_fma_f32 v89, v8, v4, -v78
	v_fmac_f32_e32 v80, v9, v4
	v_fma_f32 v90, v8, v6, -v79
	v_fmac_f32_e32 v81, v9, v6
	;; [unrolled: 2-line block ×5, first 2 shown]
	v_pk_fma_f32 v[78:79], v[16:17], v[6:7], v[74:75] neg_lo:[0,0,1] neg_hi:[0,0,1]
	v_pk_fma_f32 v[16:17], v[16:17], v[6:7], v[74:75] op_sel_hi:[1,0,1]
	v_fma_f32 v74, v18, v12, -v5
	v_fmac_f32_e32 v88, v19, v12
	v_pk_fma_f32 v[12:13], v[18:19], v[14:15], v[76:77] neg_lo:[0,0,1] neg_hi:[0,0,1]
	v_pk_fma_f32 v[14:15], v[18:19], v[14:15], v[76:77] op_sel_hi:[1,0,1]
	s_waitcnt lgkmcnt(5)
	v_mul_f32_e32 v7, v3, v51
	v_mul_f32_e32 v9, v3, v53
	;; [unrolled: 1-line block ×4, first 2 shown]
	v_pk_mul_f32 v[4:5], v[42:43], v[48:49] op_sel:[1,1] op_sel_hi:[0,1]
	v_mul_f32_e32 v8, v1, v47
	v_mul_f32_e32 v91, v0, v47
	;; [unrolled: 1-line block ×6, first 2 shown]
	v_fma_f32 v93, v2, v50, -v7
	v_fma_f32 v94, v2, v52, -v9
	v_mul_f32_e32 v2, v45, v51
	v_fma_f32 v96, v42, v46, -v10
	v_fmac_f32_e32 v76, v43, v46
	v_pk_fma_f32 v[18:19], v[42:43], v[48:49], v[4:5] neg_lo:[0,0,1] neg_hi:[0,0,1]
	v_pk_fma_f32 v[42:43], v[42:43], v[48:49], v[4:5] op_sel_hi:[1,0,1]
	s_waitcnt lgkmcnt(1)
	v_mul_f32_e32 v98, v68, v59
	v_mul_f32_e32 v99, v68, v61
	;; [unrolled: 1-line block ×3, first 2 shown]
	v_fma_f32 v77, v0, v46, -v8
	v_fmac_f32_e32 v91, v1, v46
	v_fma_f32 v92, v0, v48, -v6
	v_fmac_f32_e32 v16, v1, v48
	v_fmac_f32_e32 v14, v3, v50
	;; [unrolled: 1-line block ×3, first 2 shown]
	v_mul_f32_e32 v95, v44, v51
	v_pk_mul_f32 v[0:1], v[44:45], v[52:53] op_sel:[1,1] op_sel_hi:[0,1]
	v_fma_f32 v42, v44, v50, -v2
	v_mul_f32_e32 v2, v69, v59
	v_mul_f32_e32 v3, v69, v61
	v_fmac_f32_e32 v98, v69, v58
	v_fmac_f32_e32 v99, v69, v60
	v_fma_f32 v69, v62, v54, -v4
	v_pk_mul_f32 v[4:5], v[62:63], v[56:57] op_sel:[1,1] op_sel_hi:[0,1]
	v_fmac_f32_e32 v95, v45, v50
	v_pk_fma_f32 v[46:47], v[44:45], v[52:53], v[0:1] neg_lo:[0,0,1] neg_hi:[0,0,1]
	v_pk_fma_f32 v[44:45], v[44:45], v[52:53], v[0:1] op_sel_hi:[1,0,1]
	v_pk_fma_f32 v[48:49], v[62:63], v[56:57], v[4:5] neg_lo:[0,0,1] neg_hi:[0,0,1]
	v_pk_fma_f32 v[50:51], v[62:63], v[56:57], v[4:5] op_sel_hi:[1,0,1]
	v_mul_f32_e32 v4, v65, v59
	v_mul_f32_e32 v0, v67, v55
	;; [unrolled: 1-line block ×4, first 2 shown]
	v_fma_f32 v50, v64, v58, -v4
	v_pk_mul_f32 v[4:5], v[64:65], v[60:61] op_sel:[1,1] op_sel_hi:[0,1]
	v_fma_f32 v100, v66, v54, -v0
	v_fmac_f32_e32 v44, v67, v54
	v_fmac_f32_e32 v101, v63, v54
	v_pk_fma_f32 v[52:53], v[64:65], v[60:61], v[4:5] neg_lo:[0,0,1] neg_hi:[0,0,1]
	v_pk_fma_f32 v[54:55], v[64:65], v[60:61], v[4:5] op_sel_hi:[1,0,1]
	ds_read2_b64 v[4:7], v33 offset0:192 offset1:208
	v_mul_f32_e32 v97, v66, v57
	v_mul_f32_e32 v1, v67, v57
	v_fmac_f32_e32 v97, v67, v56
	v_fma_f32 v67, v68, v58, -v2
	s_waitcnt lgkmcnt(0)
	v_mul_f32_e32 v8, v71, v5
	v_fma_f32 v54, v70, v4, -v8
	v_mul_f32_e32 v8, v71, v7
	v_fma_f32 v68, v68, v60, -v3
	v_fma_f32 v60, v70, v6, -v8
	ds_read2_b64 v[8:11], v33 offset0:224 offset1:240
	v_fma_f32 v66, v66, v56, -v1
	ds_read_b128 v[0:3], v35 offset:1072
	v_mul_f32_e32 v59, v64, v59
	v_fmac_f32_e32 v59, v65, v58
	s_waitcnt lgkmcnt(1)
	v_mul_f32_e32 v13, v73, v9
	v_mul_f32_e32 v58, v70, v5
	;; [unrolled: 1-line block ×3, first 2 shown]
	v_fma_f32 v62, v72, v8, -v13
	v_mul_f32_e32 v13, v73, v11
	v_fmac_f32_e32 v58, v71, v4
	v_fmac_f32_e32 v61, v71, v6
	v_fma_f32 v64, v72, v10, -v13
	s_waitcnt lgkmcnt(0)
	v_mul_f32_e32 v13, v1, v5
	v_mul_f32_e32 v71, v0, v5
	v_fma_f32 v70, v0, v4, -v13
	v_fmac_f32_e32 v71, v1, v4
	v_pk_mul_f32 v[4:5], v[0:1], v[6:7] op_sel:[1,1] op_sel_hi:[0,1]
	v_pk_fma_f32 v[56:57], v[0:1], v[6:7], v[4:5] neg_lo:[0,0,1] neg_hi:[0,0,1]
	v_pk_fma_f32 v[0:1], v[0:1], v[6:7], v[4:5] op_sel_hi:[1,0,1]
	v_mul_f32_e32 v63, v72, v9
	v_mul_f32_e32 v0, v3, v9
	;; [unrolled: 1-line block ×3, first 2 shown]
	v_pk_mul_f32 v[4:5], v[2:3], v[10:11] op_sel:[1,1] op_sel_hi:[0,1]
	v_mul_f32_e32 v65, v72, v11
	v_fma_f32 v72, v2, v8, -v0
	v_fmac_f32_e32 v9, v3, v8
	v_pk_fma_f32 v[6:7], v[2:3], v[10:11], v[4:5] neg_lo:[0,0,1] neg_hi:[0,0,1]
	v_pk_fma_f32 v[2:3], v[2:3], v[10:11], v[4:5] op_sel_hi:[1,0,1]
	v_mov_b32_e32 v79, v17
	v_fmac_f32_e32 v63, v73, v8
	v_fmac_f32_e32 v65, v73, v10
	v_add_f32_e32 v2, v32, v89
	v_add_f32_e32 v4, v34, v80
	v_add_f32_e32 v5, v28, v90
	v_add_f32_e32 v8, v30, v81
	v_add_f32_e32 v10, v22, v86
	v_add_f32_e32 v11, v23, v87
	v_mov_b32_e32 v13, v15
	v_mov_b32_e32 v57, v1
	v_pk_add_f32 v[0:1], v[20:21], v[78:79]
	v_mov_b32_e32 v19, v43
	v_mov_b32_e32 v7, v3
	v_add_f32_e32 v2, v2, v82
	v_add_f32_e32 v3, v4, v83
	v_add_f32_e32 v4, v5, v84
	v_add_f32_e32 v5, v8, v85
	v_add_f32_e32 v8, v10, v74
	v_add_f32_e32 v10, v11, v88
	v_pk_add_f32 v[0:1], v[0:1], v[12:13]
	v_mov_b32_e32 v47, v45
	v_add_f32_e32 v2, v2, v77
	v_add_f32_e32 v3, v3, v91
	v_add_f32_e32 v4, v4, v92
	v_add_f32_e32 v5, v5, v16
	v_add_f32_e32 v8, v8, v96
	v_add_f32_e32 v10, v10, v76
	v_pk_add_f32 v[0:1], v[0:1], v[18:19]
	;; [unrolled: 8-line block ×4, first 2 shown]
	v_add_f32_e32 v2, v2, v67
	v_add_f32_e32 v3, v3, v98
	v_add_f32_e32 v4, v4, v68
	v_add_f32_e32 v5, v5, v99
	v_add_f32_e32 v8, v8, v50
	v_add_f32_e32 v10, v10, v59
	v_pk_add_f32 v[0:1], v[0:1], v[52:53]
	v_add_f32_e32 v2, v2, v54
	v_add_f32_e32 v3, v3, v58
	v_add_f32_e32 v4, v4, v60
	v_add_f32_e32 v5, v5, v61
	v_add_f32_e32 v8, v8, v70
	v_add_f32_e32 v10, v10, v71
	v_pk_add_f32 v[0:1], v[0:1], v[56:57]
	;; [unrolled: 7-line block ×3, first 2 shown]
	s_barrier
	s_cbranch_vccnz .LBB244_2
.LBB244_3:
	s_lshl_b64 s[8:9], s[38:39], 3
	s_waitcnt lgkmcnt(0)
	s_add_u32 s4, s4, s8
	s_addc_u32 s5, s5, s9
	s_or_b32 s8, s6, s7
	s_bitset0_b32 s8, 31
	v_lshl_add_u64 v[0:1], s[24:25], 0, v[26:27]
	s_cmp_lg_u32 s8, 0
	v_lshl_add_u64 v[2:3], s[2:3], 0, v[24:25]
	s_mov_b32 s2, s11
	s_mov_b32 s3, s10
	s_cbranch_scc1 .LBB244_5
; %bb.4:
	v_mul_lo_u32 v6, v1, s36
	v_mul_lo_u32 v7, v0, s37
	v_mad_u64_u32 v[4:5], s[8:9], v0, s36, 0
	v_add3_u32 v5, v5, v7, v6
	v_pk_mul_f32 v[10:11], v[34:35], s[2:3] op_sel_hi:[0,1]
	v_lshl_add_u64 v[4:5], v[4:5], 3, s[4:5]
	v_lshlrev_b64 v[6:7], 3, v[2:3]
	v_pk_fma_f32 v[12:13], v[32:33], s[2:3], v[10:11] op_sel:[0,1,0] op_sel_hi:[1,0,1] neg_lo:[0,0,1] neg_hi:[0,0,1]
	v_pk_fma_f32 v[10:11], v[32:33], s[2:3], v[10:11] op_sel:[0,1,0] op_sel_hi:[0,0,1]
	v_lshl_add_u64 v[8:9], v[4:5], 0, v[6:7]
	v_mov_b32_e32 v13, v11
	v_pk_mul_f32 v[10:11], v[30:31], s[2:3] op_sel_hi:[0,1]
	flat_store_dwordx2 v[8:9], v[12:13]
	v_pk_fma_f32 v[12:13], v[28:29], s[2:3], v[10:11] op_sel:[0,1,0] op_sel_hi:[1,0,1] neg_lo:[0,0,1] neg_hi:[0,0,1]
	v_pk_fma_f32 v[10:11], v[28:29], s[2:3], v[10:11] op_sel:[0,1,0] op_sel_hi:[0,0,1]
	s_lshl_b64 s[8:9], s[36:37], 7
	v_mov_b32_e32 v13, v11
	v_lshl_add_u64 v[4:5], v[4:5], 0, s[8:9]
	flat_store_dwordx2 v[8:9], v[12:13] offset:128
	v_lshl_add_u64 v[8:9], v[4:5], 0, v[6:7]
	v_mov_b32_e32 v4, v23
	v_pk_mul_f32 v[4:5], v[4:5], s[2:3] op_sel_hi:[0,1]
	v_pk_fma_f32 v[6:7], v[22:23], s[2:3], v[4:5] op_sel:[0,1,0] op_sel_hi:[1,0,1] neg_lo:[0,0,1] neg_hi:[0,0,1]
	v_pk_fma_f32 v[4:5], v[22:23], s[2:3], v[4:5] op_sel:[0,1,0] op_sel_hi:[0,0,1]
	v_mov_b32_e32 v7, v5
	v_mul_f32_e32 v4, s3, v20
	flat_store_dwordx2 v[8:9], v[6:7]
	v_fma_f32 v7, -v21, s2, v4
	v_pk_mul_f32 v[4:5], v[20:21], s[2:3]
	s_mov_b64 s[8:9], 0x80
	v_add_f32_e32 v6, v4, v5
	v_lshl_add_u64 v[4:5], v[8:9], 0, s[8:9]
	flat_store_dword v[8:9], v7 offset:128
	s_cbranch_execz .LBB244_6
	s_branch .LBB244_7
.LBB244_5:
                                        ; implicit-def: $vgpr6
                                        ; implicit-def: $vgpr4_vgpr5
.LBB244_6:
	s_lshl_b64 s[8:9], s[28:29], 3
	s_add_u32 s0, s0, s8
	s_addc_u32 s1, s1, s9
	v_mul_lo_u32 v6, v1, s26
	v_mul_lo_u32 v7, v0, s27
	v_mad_u64_u32 v[4:5], s[8:9], v0, s26, 0
	v_add3_u32 v5, v5, v7, v6
	v_lshl_add_u64 v[4:5], v[4:5], 3, s[0:1]
	v_lshlrev_b64 v[2:3], 3, v[2:3]
	v_lshl_add_u64 v[6:7], v[4:5], 0, v[2:3]
	flat_load_dwordx2 v[8:9], v[6:7]
	v_mul_lo_u32 v12, v1, s36
	v_mul_lo_u32 v13, v0, s37
	v_mad_u64_u32 v[0:1], s[0:1], v0, s36, 0
	s_mov_b32 s0, s7
	v_pk_mul_f32 v[10:11], v[34:35], s[2:3] op_sel_hi:[0,1]
	v_add3_u32 v1, v1, v13, v12
	v_pk_fma_f32 v[12:13], v[32:33], s[2:3], v[10:11] op_sel:[0,1,0] op_sel_hi:[1,0,1] neg_lo:[0,0,1] neg_hi:[0,0,1]
	v_pk_fma_f32 v[10:11], v[32:33], s[2:3], v[10:11] op_sel:[0,1,0] op_sel_hi:[0,0,1]
	v_lshl_add_u64 v[0:1], v[0:1], 3, s[4:5]
	v_mov_b32_e32 v13, v11
	v_lshl_add_u64 v[10:11], v[0:1], 0, v[2:3]
	s_lshl_b64 s[4:5], s[26:27], 7
	v_lshl_add_u64 v[4:5], v[4:5], 0, s[4:5]
	v_lshl_add_u64 v[4:5], v[4:5], 0, v[2:3]
	s_lshl_b64 s[4:5], s[36:37], 7
	v_lshl_add_u64 v[0:1], v[0:1], 0, s[4:5]
	v_lshl_add_u64 v[0:1], v[0:1], 0, v[2:3]
	s_mov_b32 s11, s6
	s_waitcnt vmcnt(0) lgkmcnt(0)
	v_pk_mul_f32 v[14:15], v[8:9], s[0:1] op_sel_hi:[1,0]
	s_nop 0
	v_pk_fma_f32 v[16:17], v[8:9], s[6:7], v[14:15] op_sel:[0,0,1] op_sel_hi:[1,1,0] neg_lo:[0,0,1] neg_hi:[0,0,1]
	v_pk_fma_f32 v[8:9], v[8:9], s[6:7], v[14:15] op_sel:[0,0,1] op_sel_hi:[1,0,0]
	s_nop 0
	v_mov_b32_e32 v17, v9
	v_pk_add_f32 v[8:9], v[12:13], v[16:17]
	flat_store_dwordx2 v[10:11], v[8:9]
	flat_load_dwordx2 v[6:7], v[6:7] offset:128
	v_pk_mul_f32 v[8:9], v[30:31], s[2:3] op_sel_hi:[0,1]
	v_pk_fma_f32 v[12:13], v[28:29], s[2:3], v[8:9] op_sel:[0,1,0] op_sel_hi:[1,0,1] neg_lo:[0,0,1] neg_hi:[0,0,1]
	v_pk_fma_f32 v[8:9], v[28:29], s[2:3], v[8:9] op_sel:[0,1,0] op_sel_hi:[0,0,1]
	v_mov_b32_e32 v13, v9
	s_waitcnt vmcnt(0) lgkmcnt(0)
	v_pk_mul_f32 v[8:9], v[6:7], s[0:1] op_sel_hi:[1,0]
	s_nop 0
	v_pk_fma_f32 v[14:15], v[6:7], s[6:7], v[8:9] op_sel:[0,0,1] op_sel_hi:[1,1,0] neg_lo:[0,0,1] neg_hi:[0,0,1]
	v_pk_fma_f32 v[6:7], v[6:7], s[6:7], v[8:9] op_sel:[0,0,1] op_sel_hi:[1,0,0]
	v_mov_b32_e32 v8, v23
	v_mov_b32_e32 v15, v7
	v_pk_add_f32 v[6:7], v[12:13], v[14:15]
	flat_store_dwordx2 v[10:11], v[6:7] offset:128
	flat_load_dwordx2 v[6:7], v[4:5]
	v_pk_mul_f32 v[8:9], v[8:9], s[2:3] op_sel_hi:[0,1]
	v_pk_fma_f32 v[10:11], v[22:23], s[2:3], v[8:9] op_sel:[0,1,0] op_sel_hi:[1,0,1] neg_lo:[0,0,1] neg_hi:[0,0,1]
	v_pk_fma_f32 v[8:9], v[22:23], s[2:3], v[8:9] op_sel:[0,1,0] op_sel_hi:[0,0,1]
	v_mov_b32_e32 v11, v9
	s_waitcnt vmcnt(0) lgkmcnt(0)
	v_pk_mul_f32 v[2:3], v[6:7], s[0:1] op_sel_hi:[1,0]
	s_nop 0
	v_pk_fma_f32 v[8:9], v[6:7], s[6:7], v[2:3] op_sel:[0,0,1] op_sel_hi:[1,1,0] neg_lo:[0,0,1] neg_hi:[0,0,1]
	v_pk_fma_f32 v[2:3], v[6:7], s[6:7], v[2:3] op_sel:[0,0,1] op_sel_hi:[1,0,0]
	v_mov_b32_e32 v6, v20
	v_mov_b32_e32 v9, v3
	v_pk_add_f32 v[2:3], v[10:11], v[8:9]
	flat_store_dwordx2 v[0:1], v[2:3]
	flat_load_dwordx2 v[2:3], v[4:5] offset:128
	v_mul_f32_e32 v4, s3, v20
	s_mov_b32 s3, s7
	s_mov_b64 s[0:1], 0x80
	v_fma_f32 v8, -v21, s2, v4
	v_lshl_add_u64 v[4:5], v[0:1], 0, s[0:1]
	s_waitcnt vmcnt(0) lgkmcnt(0)
	v_mul_f32_e32 v9, s7, v3
	v_mov_b32_e32 v7, v2
	v_fma_f32 v9, v2, s6, -v9
	v_mov_b32_e32 v2, v21
	v_pk_mul_f32 v[2:3], v[2:3], s[10:11]
	v_add_f32_e32 v8, v8, v9
	v_pk_fma_f32 v[2:3], v[6:7], s[2:3], v[2:3]
	flat_store_dword v[0:1], v8 offset:128
	v_add_f32_e32 v6, v2, v3
.LBB244_7:
	flat_store_dword v[4:5], v6 offset:4
	s_endpgm
	.section	.rodata,"a",@progbits
	.p2align	6, 0x0
	.amdhsa_kernel _ZN12_GLOBAL__N_127rocblas_gemm_batched_kernelI19rocblas_complex_numIfELi16ELi16ELi32ELi32ELi8ELi32ELi8ELi8ELi32ELc84ELc78EKPKS2_S5_KPS2_EEvlllT_PT11_llSA_llS8_PT12_llPT13_lli
		.amdhsa_group_segment_fixed_size 4096
		.amdhsa_private_segment_fixed_size 0
		.amdhsa_kernarg_size 140
		.amdhsa_user_sgpr_count 2
		.amdhsa_user_sgpr_dispatch_ptr 0
		.amdhsa_user_sgpr_queue_ptr 0
		.amdhsa_user_sgpr_kernarg_segment_ptr 1
		.amdhsa_user_sgpr_dispatch_id 0
		.amdhsa_user_sgpr_kernarg_preload_length 0
		.amdhsa_user_sgpr_kernarg_preload_offset 0
		.amdhsa_user_sgpr_private_segment_size 0
		.amdhsa_uses_dynamic_stack 0
		.amdhsa_enable_private_segment 0
		.amdhsa_system_sgpr_workgroup_id_x 1
		.amdhsa_system_sgpr_workgroup_id_y 1
		.amdhsa_system_sgpr_workgroup_id_z 1
		.amdhsa_system_sgpr_workgroup_info 0
		.amdhsa_system_vgpr_workitem_id 1
		.amdhsa_next_free_vgpr 102
		.amdhsa_next_free_sgpr 42
		.amdhsa_accum_offset 104
		.amdhsa_reserve_vcc 1
		.amdhsa_float_round_mode_32 0
		.amdhsa_float_round_mode_16_64 0
		.amdhsa_float_denorm_mode_32 3
		.amdhsa_float_denorm_mode_16_64 3
		.amdhsa_dx10_clamp 1
		.amdhsa_ieee_mode 1
		.amdhsa_fp16_overflow 0
		.amdhsa_tg_split 0
		.amdhsa_exception_fp_ieee_invalid_op 0
		.amdhsa_exception_fp_denorm_src 0
		.amdhsa_exception_fp_ieee_div_zero 0
		.amdhsa_exception_fp_ieee_overflow 0
		.amdhsa_exception_fp_ieee_underflow 0
		.amdhsa_exception_fp_ieee_inexact 0
		.amdhsa_exception_int_div_zero 0
	.end_amdhsa_kernel
	.section	.text._ZN12_GLOBAL__N_127rocblas_gemm_batched_kernelI19rocblas_complex_numIfELi16ELi16ELi32ELi32ELi8ELi32ELi8ELi8ELi32ELc84ELc78EKPKS2_S5_KPS2_EEvlllT_PT11_llSA_llS8_PT12_llPT13_lli,"axG",@progbits,_ZN12_GLOBAL__N_127rocblas_gemm_batched_kernelI19rocblas_complex_numIfELi16ELi16ELi32ELi32ELi8ELi32ELi8ELi8ELi32ELc84ELc78EKPKS2_S5_KPS2_EEvlllT_PT11_llSA_llS8_PT12_llPT13_lli,comdat
.Lfunc_end244:
	.size	_ZN12_GLOBAL__N_127rocblas_gemm_batched_kernelI19rocblas_complex_numIfELi16ELi16ELi32ELi32ELi8ELi32ELi8ELi8ELi32ELc84ELc78EKPKS2_S5_KPS2_EEvlllT_PT11_llSA_llS8_PT12_llPT13_lli, .Lfunc_end244-_ZN12_GLOBAL__N_127rocblas_gemm_batched_kernelI19rocblas_complex_numIfELi16ELi16ELi32ELi32ELi8ELi32ELi8ELi8ELi32ELc84ELc78EKPKS2_S5_KPS2_EEvlllT_PT11_llSA_llS8_PT12_llPT13_lli
                                        ; -- End function
	.set _ZN12_GLOBAL__N_127rocblas_gemm_batched_kernelI19rocblas_complex_numIfELi16ELi16ELi32ELi32ELi8ELi32ELi8ELi8ELi32ELc84ELc78EKPKS2_S5_KPS2_EEvlllT_PT11_llSA_llS8_PT12_llPT13_lli.num_vgpr, 102
	.set _ZN12_GLOBAL__N_127rocblas_gemm_batched_kernelI19rocblas_complex_numIfELi16ELi16ELi32ELi32ELi8ELi32ELi8ELi8ELi32ELc84ELc78EKPKS2_S5_KPS2_EEvlllT_PT11_llSA_llS8_PT12_llPT13_lli.num_agpr, 0
	.set _ZN12_GLOBAL__N_127rocblas_gemm_batched_kernelI19rocblas_complex_numIfELi16ELi16ELi32ELi32ELi8ELi32ELi8ELi8ELi32ELc84ELc78EKPKS2_S5_KPS2_EEvlllT_PT11_llSA_llS8_PT12_llPT13_lli.numbered_sgpr, 42
	.set _ZN12_GLOBAL__N_127rocblas_gemm_batched_kernelI19rocblas_complex_numIfELi16ELi16ELi32ELi32ELi8ELi32ELi8ELi8ELi32ELc84ELc78EKPKS2_S5_KPS2_EEvlllT_PT11_llSA_llS8_PT12_llPT13_lli.num_named_barrier, 0
	.set _ZN12_GLOBAL__N_127rocblas_gemm_batched_kernelI19rocblas_complex_numIfELi16ELi16ELi32ELi32ELi8ELi32ELi8ELi8ELi32ELc84ELc78EKPKS2_S5_KPS2_EEvlllT_PT11_llSA_llS8_PT12_llPT13_lli.private_seg_size, 0
	.set _ZN12_GLOBAL__N_127rocblas_gemm_batched_kernelI19rocblas_complex_numIfELi16ELi16ELi32ELi32ELi8ELi32ELi8ELi8ELi32ELc84ELc78EKPKS2_S5_KPS2_EEvlllT_PT11_llSA_llS8_PT12_llPT13_lli.uses_vcc, 1
	.set _ZN12_GLOBAL__N_127rocblas_gemm_batched_kernelI19rocblas_complex_numIfELi16ELi16ELi32ELi32ELi8ELi32ELi8ELi8ELi32ELc84ELc78EKPKS2_S5_KPS2_EEvlllT_PT11_llSA_llS8_PT12_llPT13_lli.uses_flat_scratch, 0
	.set _ZN12_GLOBAL__N_127rocblas_gemm_batched_kernelI19rocblas_complex_numIfELi16ELi16ELi32ELi32ELi8ELi32ELi8ELi8ELi32ELc84ELc78EKPKS2_S5_KPS2_EEvlllT_PT11_llSA_llS8_PT12_llPT13_lli.has_dyn_sized_stack, 0
	.set _ZN12_GLOBAL__N_127rocblas_gemm_batched_kernelI19rocblas_complex_numIfELi16ELi16ELi32ELi32ELi8ELi32ELi8ELi8ELi32ELc84ELc78EKPKS2_S5_KPS2_EEvlllT_PT11_llSA_llS8_PT12_llPT13_lli.has_recursion, 0
	.set _ZN12_GLOBAL__N_127rocblas_gemm_batched_kernelI19rocblas_complex_numIfELi16ELi16ELi32ELi32ELi8ELi32ELi8ELi8ELi32ELc84ELc78EKPKS2_S5_KPS2_EEvlllT_PT11_llSA_llS8_PT12_llPT13_lli.has_indirect_call, 0
	.section	.AMDGPU.csdata,"",@progbits
; Kernel info:
; codeLenInByte = 2524
; TotalNumSgprs: 48
; NumVgprs: 102
; NumAgprs: 0
; TotalNumVgprs: 102
; ScratchSize: 0
; MemoryBound: 0
; FloatMode: 240
; IeeeMode: 1
; LDSByteSize: 4096 bytes/workgroup (compile time only)
; SGPRBlocks: 5
; VGPRBlocks: 12
; NumSGPRsForWavesPerEU: 48
; NumVGPRsForWavesPerEU: 102
; AccumOffset: 104
; Occupancy: 4
; WaveLimiterHint : 1
; COMPUTE_PGM_RSRC2:SCRATCH_EN: 0
; COMPUTE_PGM_RSRC2:USER_SGPR: 2
; COMPUTE_PGM_RSRC2:TRAP_HANDLER: 0
; COMPUTE_PGM_RSRC2:TGID_X_EN: 1
; COMPUTE_PGM_RSRC2:TGID_Y_EN: 1
; COMPUTE_PGM_RSRC2:TGID_Z_EN: 1
; COMPUTE_PGM_RSRC2:TIDIG_COMP_CNT: 1
; COMPUTE_PGM_RSRC3_GFX90A:ACCUM_OFFSET: 25
; COMPUTE_PGM_RSRC3_GFX90A:TG_SPLIT: 0
	.section	.text._ZN12_GLOBAL__N_127rocblas_gemm_batched_kernelI19rocblas_complex_numIfELi16ELi16ELi32ELi32ELi8ELi32ELi8ELi8ELi32ELc78ELc84EKPKS2_S5_KPS2_EEvlllT_PT11_llSA_llS8_PT12_llPT13_lli,"axG",@progbits,_ZN12_GLOBAL__N_127rocblas_gemm_batched_kernelI19rocblas_complex_numIfELi16ELi16ELi32ELi32ELi8ELi32ELi8ELi8ELi32ELc78ELc84EKPKS2_S5_KPS2_EEvlllT_PT11_llSA_llS8_PT12_llPT13_lli,comdat
	.globl	_ZN12_GLOBAL__N_127rocblas_gemm_batched_kernelI19rocblas_complex_numIfELi16ELi16ELi32ELi32ELi8ELi32ELi8ELi8ELi32ELc78ELc84EKPKS2_S5_KPS2_EEvlllT_PT11_llSA_llS8_PT12_llPT13_lli ; -- Begin function _ZN12_GLOBAL__N_127rocblas_gemm_batched_kernelI19rocblas_complex_numIfELi16ELi16ELi32ELi32ELi8ELi32ELi8ELi8ELi32ELc78ELc84EKPKS2_S5_KPS2_EEvlllT_PT11_llSA_llS8_PT12_llPT13_lli
	.p2align	8
	.type	_ZN12_GLOBAL__N_127rocblas_gemm_batched_kernelI19rocblas_complex_numIfELi16ELi16ELi32ELi32ELi8ELi32ELi8ELi8ELi32ELc78ELc84EKPKS2_S5_KPS2_EEvlllT_PT11_llSA_llS8_PT12_llPT13_lli,@function
_ZN12_GLOBAL__N_127rocblas_gemm_batched_kernelI19rocblas_complex_numIfELi16ELi16ELi32ELi32ELi8ELi32ELi8ELi8ELi32ELc78ELc84EKPKS2_S5_KPS2_EEvlllT_PT11_llSA_llS8_PT12_llPT13_lli: ; @_ZN12_GLOBAL__N_127rocblas_gemm_batched_kernelI19rocblas_complex_numIfELi16ELi16ELi32ELi32ELi8ELi32ELi8ELi8ELi32ELc78ELc84EKPKS2_S5_KPS2_EEvlllT_PT11_llSA_llS8_PT12_llPT13_lli
; %bb.0:
	s_load_dwordx16 s[8:23], s[0:1], 0x10
	s_load_dwordx4 s[36:39], s[0:1], 0x78
	s_load_dwordx8 s[24:31], s[0:1], 0x58
	s_load_dwordx2 s[6:7], s[0:1], 0x50
	s_mov_b32 s5, 0
	s_lshl_b64 s[34:35], s[4:5], 3
	s_mov_b32 s40, s3
	s_waitcnt lgkmcnt(0)
	s_add_u32 s0, s24, s34
	s_addc_u32 s1, s25, s35
	s_add_u32 s4, s30, s34
	s_addc_u32 s5, s31, s35
	s_load_dwordx2 s[0:1], s[0:1], 0x0
	v_mov_b32_e32 v27, 0
	s_load_dwordx2 s[4:5], s[4:5], 0x0
	s_ashr_i32 s3, s2, 31
	s_ashr_i32 s41, s40, 31
	v_cmp_lt_i64_e64 s[30:31], s[8:9], 1
	v_bfe_u32 v26, v0, 10, 10
	v_and_b32_e32 v24, 0x3ff, v0
	v_mov_b32_e32 v25, v27
	s_lshl_b64 s[2:3], s[2:3], 5
	s_lshl_b64 s[24:25], s[40:41], 5
	s_and_b64 vcc, exec, s[30:31]
	v_mov_b32_e32 v21, v27
	v_mov_b32_e32 v20, v27
	;; [unrolled: 1-line block ×8, first 2 shown]
	s_cbranch_vccnz .LBB245_3
; %bb.1:
	v_lshl_add_u32 v4, v26, 4, v24
	v_lshrrev_b32_e32 v22, 3, v4
	v_mov_b32_e32 v23, 0
	v_lshl_add_u64 v[0:1], v[22:23], 0, s[24:25]
	v_and_b32_e32 v5, 7, v24
	v_mad_u64_u32 v[0:1], s[30:31], s20, v5, v[0:1]
	v_mov_b32_e32 v2, v1
	v_mad_u64_u32 v[2:3], s[30:31], s21, v5, v[2:3]
	v_mov_b32_e32 v1, v2
	v_and_b32_e32 v2, 31, v4
	v_lshrrev_b32_e32 v7, 5, v4
	v_lshlrev_b32_e32 v4, 3, v2
	s_add_u32 s12, s12, s34
	v_lshl_or_b32 v29, v7, 8, v4
	v_lshlrev_b32_e32 v4, 3, v5
	s_addc_u32 s13, s13, s35
	v_lshl_or_b32 v4, v22, 6, v4
	s_load_dwordx2 s[12:13], s[12:13], 0x0
	v_add_u32_e32 v31, 0x800, v4
	v_mov_b32_e32 v4, 0x800
	s_add_u32 s18, s18, s34
	v_lshl_add_u32 v35, v26, 6, v4
	v_mov_b64_e32 v[4:5], s[2:3]
	s_addc_u32 s19, s19, s35
	v_mad_u64_u32 v[4:5], s[30:31], s14, v7, v[4:5]
	s_load_dwordx2 s[18:19], s[18:19], 0x0
	v_mov_b32_e32 v6, v5
	s_lshl_b64 s[16:17], s[16:17], 3
	v_mad_u64_u32 v[6:7], s[30:31], s15, v7, v[6:7]
	v_mov_b32_e32 v3, v23
	v_mov_b32_e32 v5, v6
	s_waitcnt lgkmcnt(0)
	s_add_u32 s12, s12, s16
	v_lshl_add_u64 v[2:3], v[4:5], 0, v[2:3]
	s_addc_u32 s13, s13, s17
	v_lshl_add_u64 v[36:37], v[2:3], 3, s[12:13]
	s_lshl_b64 s[12:13], s[14:15], 6
	s_lshl_b64 s[14:15], s[22:23], 3
	s_add_u32 s14, s18, s14
	s_addc_u32 s15, s19, s15
	v_lshlrev_b32_e32 v33, 3, v24
	v_lshl_add_u64 v[38:39], v[0:1], 3, s[14:15]
	s_lshl_b64 s[14:15], s[20:21], 6
	s_mov_b64 s[16:17], 0
	v_mov_b64_e32 v[40:41], s[8:9]
	v_mov_b32_e32 v22, v23
	v_mov_b32_e32 v30, v23
	;; [unrolled: 1-line block ×7, first 2 shown]
.LBB245_2:                              ; =>This Inner Loop Header: Depth=1
	flat_load_dwordx2 v[0:1], v[36:37]
	s_add_u32 s16, s16, 8
	s_addc_u32 s17, s17, 0
	v_cmp_lt_i64_e32 vcc, s[16:17], v[40:41]
	v_lshl_add_u64 v[36:37], v[36:37], 0, s[12:13]
	s_and_b64 vcc, exec, vcc
	s_waitcnt vmcnt(0) lgkmcnt(0)
	ds_write_b64 v29, v[0:1]
	flat_load_dwordx2 v[0:1], v[38:39]
	v_lshl_add_u64 v[38:39], v[38:39], 0, s[14:15]
	s_waitcnt vmcnt(0) lgkmcnt(0)
	ds_write_b64 v31, v[0:1]
	s_waitcnt lgkmcnt(0)
	s_barrier
	ds_read2_b64 v[4:7], v33 offset1:16
	ds_read_b128 v[8:11], v35
	ds_read_b128 v[0:3], v35 offset:16
	ds_read2_b64 v[12:15], v33 offset0:32 offset1:48
	ds_read_b128 v[16:19], v35 offset:1024
	ds_read_b128 v[42:45], v35 offset:1040
	ds_read2_b64 v[46:49], v33 offset0:64 offset1:80
	ds_read2_b64 v[50:53], v33 offset0:96 offset1:112
	;; [unrolled: 1-line block ×4, first 2 shown]
	ds_read_b128 v[62:65], v35 offset:1056
	ds_read_b128 v[66:69], v35 offset:32
	;; [unrolled: 1-line block ×3, first 2 shown]
	s_waitcnt lgkmcnt(11)
	v_mul_f32_e32 v78, v9, v5
	v_mul_f32_e32 v80, v8, v5
	;; [unrolled: 1-line block ×4, first 2 shown]
	s_waitcnt lgkmcnt(9)
	v_mul_f32_e32 v82, v11, v13
	v_mul_f32_e32 v83, v10, v13
	;; [unrolled: 1-line block ×4, first 2 shown]
	s_waitcnt lgkmcnt(8)
	v_mul_f32_e32 v86, v17, v5
	v_mul_f32_e32 v87, v16, v5
	v_pk_mul_f32 v[74:75], v[16:17], v[6:7] op_sel:[1,1] op_sel_hi:[0,1]
	v_mul_f32_e32 v5, v19, v13
	v_mul_f32_e32 v88, v18, v13
	v_pk_mul_f32 v[76:77], v[18:19], v[14:15] op_sel:[1,1] op_sel_hi:[0,1]
	v_fma_f32 v89, v8, v4, -v78
	v_fmac_f32_e32 v80, v9, v4
	v_fma_f32 v90, v8, v6, -v79
	v_fmac_f32_e32 v81, v9, v6
	;; [unrolled: 2-line block ×5, first 2 shown]
	v_pk_fma_f32 v[78:79], v[16:17], v[6:7], v[74:75] neg_lo:[0,0,1] neg_hi:[0,0,1]
	v_pk_fma_f32 v[16:17], v[16:17], v[6:7], v[74:75] op_sel_hi:[1,0,1]
	v_fma_f32 v74, v18, v12, -v5
	v_fmac_f32_e32 v88, v19, v12
	v_pk_fma_f32 v[12:13], v[18:19], v[14:15], v[76:77] neg_lo:[0,0,1] neg_hi:[0,0,1]
	v_pk_fma_f32 v[14:15], v[18:19], v[14:15], v[76:77] op_sel_hi:[1,0,1]
	s_waitcnt lgkmcnt(5)
	v_mul_f32_e32 v7, v3, v51
	v_mul_f32_e32 v9, v3, v53
	;; [unrolled: 1-line block ×4, first 2 shown]
	v_pk_mul_f32 v[4:5], v[42:43], v[48:49] op_sel:[1,1] op_sel_hi:[0,1]
	v_mul_f32_e32 v8, v1, v47
	v_mul_f32_e32 v91, v0, v47
	v_mul_f32_e32 v6, v1, v49
	v_mul_f32_e32 v16, v0, v49
	v_mul_f32_e32 v14, v2, v51
	v_mul_f32_e32 v75, v2, v53
	v_fma_f32 v93, v2, v50, -v7
	v_fma_f32 v94, v2, v52, -v9
	v_mul_f32_e32 v2, v45, v51
	v_fma_f32 v96, v42, v46, -v10
	v_fmac_f32_e32 v76, v43, v46
	v_pk_fma_f32 v[18:19], v[42:43], v[48:49], v[4:5] neg_lo:[0,0,1] neg_hi:[0,0,1]
	v_pk_fma_f32 v[42:43], v[42:43], v[48:49], v[4:5] op_sel_hi:[1,0,1]
	s_waitcnt lgkmcnt(1)
	v_mul_f32_e32 v98, v68, v59
	v_mul_f32_e32 v99, v68, v61
	;; [unrolled: 1-line block ×3, first 2 shown]
	v_fma_f32 v77, v0, v46, -v8
	v_fmac_f32_e32 v91, v1, v46
	v_fma_f32 v92, v0, v48, -v6
	v_fmac_f32_e32 v16, v1, v48
	v_fmac_f32_e32 v14, v3, v50
	;; [unrolled: 1-line block ×3, first 2 shown]
	v_mul_f32_e32 v95, v44, v51
	v_pk_mul_f32 v[0:1], v[44:45], v[52:53] op_sel:[1,1] op_sel_hi:[0,1]
	v_fma_f32 v42, v44, v50, -v2
	v_mul_f32_e32 v2, v69, v59
	v_mul_f32_e32 v3, v69, v61
	v_fmac_f32_e32 v98, v69, v58
	v_fmac_f32_e32 v99, v69, v60
	v_fma_f32 v69, v62, v54, -v4
	v_pk_mul_f32 v[4:5], v[62:63], v[56:57] op_sel:[1,1] op_sel_hi:[0,1]
	v_fmac_f32_e32 v95, v45, v50
	v_pk_fma_f32 v[46:47], v[44:45], v[52:53], v[0:1] neg_lo:[0,0,1] neg_hi:[0,0,1]
	v_pk_fma_f32 v[44:45], v[44:45], v[52:53], v[0:1] op_sel_hi:[1,0,1]
	v_pk_fma_f32 v[48:49], v[62:63], v[56:57], v[4:5] neg_lo:[0,0,1] neg_hi:[0,0,1]
	v_pk_fma_f32 v[50:51], v[62:63], v[56:57], v[4:5] op_sel_hi:[1,0,1]
	v_mul_f32_e32 v4, v65, v59
	v_mul_f32_e32 v0, v67, v55
	;; [unrolled: 1-line block ×4, first 2 shown]
	v_fma_f32 v50, v64, v58, -v4
	v_pk_mul_f32 v[4:5], v[64:65], v[60:61] op_sel:[1,1] op_sel_hi:[0,1]
	v_fma_f32 v100, v66, v54, -v0
	v_fmac_f32_e32 v44, v67, v54
	v_fmac_f32_e32 v101, v63, v54
	v_pk_fma_f32 v[52:53], v[64:65], v[60:61], v[4:5] neg_lo:[0,0,1] neg_hi:[0,0,1]
	v_pk_fma_f32 v[54:55], v[64:65], v[60:61], v[4:5] op_sel_hi:[1,0,1]
	ds_read2_b64 v[4:7], v33 offset0:192 offset1:208
	v_mul_f32_e32 v97, v66, v57
	v_mul_f32_e32 v1, v67, v57
	v_fmac_f32_e32 v97, v67, v56
	v_fma_f32 v67, v68, v58, -v2
	s_waitcnt lgkmcnt(0)
	v_mul_f32_e32 v8, v71, v5
	v_fma_f32 v54, v70, v4, -v8
	v_mul_f32_e32 v8, v71, v7
	v_fma_f32 v68, v68, v60, -v3
	v_fma_f32 v60, v70, v6, -v8
	ds_read2_b64 v[8:11], v33 offset0:224 offset1:240
	v_fma_f32 v66, v66, v56, -v1
	ds_read_b128 v[0:3], v35 offset:1072
	v_mul_f32_e32 v59, v64, v59
	v_fmac_f32_e32 v59, v65, v58
	s_waitcnt lgkmcnt(1)
	v_mul_f32_e32 v13, v73, v9
	v_mul_f32_e32 v58, v70, v5
	;; [unrolled: 1-line block ×3, first 2 shown]
	v_fma_f32 v62, v72, v8, -v13
	v_mul_f32_e32 v13, v73, v11
	v_fmac_f32_e32 v58, v71, v4
	v_fmac_f32_e32 v61, v71, v6
	v_fma_f32 v64, v72, v10, -v13
	s_waitcnt lgkmcnt(0)
	v_mul_f32_e32 v13, v1, v5
	v_mul_f32_e32 v71, v0, v5
	v_fma_f32 v70, v0, v4, -v13
	v_fmac_f32_e32 v71, v1, v4
	v_pk_mul_f32 v[4:5], v[0:1], v[6:7] op_sel:[1,1] op_sel_hi:[0,1]
	v_pk_fma_f32 v[56:57], v[0:1], v[6:7], v[4:5] neg_lo:[0,0,1] neg_hi:[0,0,1]
	v_pk_fma_f32 v[0:1], v[0:1], v[6:7], v[4:5] op_sel_hi:[1,0,1]
	v_mul_f32_e32 v63, v72, v9
	v_mul_f32_e32 v0, v3, v9
	;; [unrolled: 1-line block ×3, first 2 shown]
	v_pk_mul_f32 v[4:5], v[2:3], v[10:11] op_sel:[1,1] op_sel_hi:[0,1]
	v_mul_f32_e32 v65, v72, v11
	v_fma_f32 v72, v2, v8, -v0
	v_fmac_f32_e32 v9, v3, v8
	v_pk_fma_f32 v[6:7], v[2:3], v[10:11], v[4:5] neg_lo:[0,0,1] neg_hi:[0,0,1]
	v_pk_fma_f32 v[2:3], v[2:3], v[10:11], v[4:5] op_sel_hi:[1,0,1]
	v_mov_b32_e32 v79, v17
	v_fmac_f32_e32 v63, v73, v8
	v_fmac_f32_e32 v65, v73, v10
	v_add_f32_e32 v2, v32, v89
	v_add_f32_e32 v4, v34, v80
	;; [unrolled: 1-line block ×6, first 2 shown]
	v_mov_b32_e32 v13, v15
	v_mov_b32_e32 v57, v1
	v_pk_add_f32 v[0:1], v[20:21], v[78:79]
	v_mov_b32_e32 v19, v43
	v_mov_b32_e32 v7, v3
	v_add_f32_e32 v2, v2, v82
	v_add_f32_e32 v3, v4, v83
	v_add_f32_e32 v4, v5, v84
	v_add_f32_e32 v5, v8, v85
	v_add_f32_e32 v8, v10, v74
	v_add_f32_e32 v10, v11, v88
	v_pk_add_f32 v[0:1], v[0:1], v[12:13]
	v_mov_b32_e32 v47, v45
	v_add_f32_e32 v2, v2, v77
	v_add_f32_e32 v3, v3, v91
	v_add_f32_e32 v4, v4, v92
	v_add_f32_e32 v5, v5, v16
	v_add_f32_e32 v8, v8, v96
	v_add_f32_e32 v10, v10, v76
	v_pk_add_f32 v[0:1], v[0:1], v[18:19]
	v_mov_b32_e32 v49, v51
	v_add_f32_e32 v2, v2, v93
	v_add_f32_e32 v3, v3, v14
	v_add_f32_e32 v4, v4, v94
	v_add_f32_e32 v5, v5, v75
	v_add_f32_e32 v8, v8, v42
	v_add_f32_e32 v10, v10, v95
	v_pk_add_f32 v[0:1], v[0:1], v[46:47]
	v_mov_b32_e32 v53, v55
	v_add_f32_e32 v2, v2, v100
	v_add_f32_e32 v3, v3, v44
	v_add_f32_e32 v4, v4, v66
	v_add_f32_e32 v5, v5, v97
	v_add_f32_e32 v8, v8, v69
	v_add_f32_e32 v10, v10, v101
	v_pk_add_f32 v[0:1], v[0:1], v[48:49]
	v_add_f32_e32 v2, v2, v67
	v_add_f32_e32 v3, v3, v98
	v_add_f32_e32 v4, v4, v68
	v_add_f32_e32 v5, v5, v99
	v_add_f32_e32 v8, v8, v50
	v_add_f32_e32 v10, v10, v59
	v_pk_add_f32 v[0:1], v[0:1], v[52:53]
	v_add_f32_e32 v2, v2, v54
	v_add_f32_e32 v3, v3, v58
	v_add_f32_e32 v4, v4, v60
	v_add_f32_e32 v5, v5, v61
	v_add_f32_e32 v8, v8, v70
	v_add_f32_e32 v10, v10, v71
	v_pk_add_f32 v[0:1], v[0:1], v[56:57]
	;; [unrolled: 7-line block ×3, first 2 shown]
	s_barrier
	s_cbranch_vccnz .LBB245_2
.LBB245_3:
	s_lshl_b64 s[8:9], s[38:39], 3
	s_waitcnt lgkmcnt(0)
	s_add_u32 s4, s4, s8
	s_addc_u32 s5, s5, s9
	s_or_b32 s8, s6, s7
	s_bitset0_b32 s8, 31
	v_lshl_add_u64 v[0:1], s[24:25], 0, v[26:27]
	s_cmp_lg_u32 s8, 0
	v_lshl_add_u64 v[2:3], s[2:3], 0, v[24:25]
	s_mov_b32 s2, s11
	s_mov_b32 s3, s10
	s_cbranch_scc1 .LBB245_5
; %bb.4:
	v_mul_lo_u32 v6, v1, s36
	v_mul_lo_u32 v7, v0, s37
	v_mad_u64_u32 v[4:5], s[8:9], v0, s36, 0
	v_add3_u32 v5, v5, v7, v6
	v_pk_mul_f32 v[10:11], v[34:35], s[2:3] op_sel_hi:[0,1]
	v_lshl_add_u64 v[4:5], v[4:5], 3, s[4:5]
	v_lshlrev_b64 v[6:7], 3, v[2:3]
	v_pk_fma_f32 v[12:13], v[32:33], s[2:3], v[10:11] op_sel:[0,1,0] op_sel_hi:[1,0,1] neg_lo:[0,0,1] neg_hi:[0,0,1]
	v_pk_fma_f32 v[10:11], v[32:33], s[2:3], v[10:11] op_sel:[0,1,0] op_sel_hi:[0,0,1]
	v_lshl_add_u64 v[8:9], v[4:5], 0, v[6:7]
	v_mov_b32_e32 v13, v11
	v_pk_mul_f32 v[10:11], v[30:31], s[2:3] op_sel_hi:[0,1]
	flat_store_dwordx2 v[8:9], v[12:13]
	v_pk_fma_f32 v[12:13], v[28:29], s[2:3], v[10:11] op_sel:[0,1,0] op_sel_hi:[1,0,1] neg_lo:[0,0,1] neg_hi:[0,0,1]
	v_pk_fma_f32 v[10:11], v[28:29], s[2:3], v[10:11] op_sel:[0,1,0] op_sel_hi:[0,0,1]
	s_lshl_b64 s[8:9], s[36:37], 7
	v_mov_b32_e32 v13, v11
	v_lshl_add_u64 v[4:5], v[4:5], 0, s[8:9]
	flat_store_dwordx2 v[8:9], v[12:13] offset:128
	v_lshl_add_u64 v[8:9], v[4:5], 0, v[6:7]
	v_mov_b32_e32 v4, v23
	v_pk_mul_f32 v[4:5], v[4:5], s[2:3] op_sel_hi:[0,1]
	v_pk_fma_f32 v[6:7], v[22:23], s[2:3], v[4:5] op_sel:[0,1,0] op_sel_hi:[1,0,1] neg_lo:[0,0,1] neg_hi:[0,0,1]
	v_pk_fma_f32 v[4:5], v[22:23], s[2:3], v[4:5] op_sel:[0,1,0] op_sel_hi:[0,0,1]
	v_mov_b32_e32 v7, v5
	v_mul_f32_e32 v4, s3, v20
	flat_store_dwordx2 v[8:9], v[6:7]
	v_fma_f32 v7, -v21, s2, v4
	v_pk_mul_f32 v[4:5], v[20:21], s[2:3]
	s_mov_b64 s[8:9], 0x80
	v_add_f32_e32 v6, v4, v5
	v_lshl_add_u64 v[4:5], v[8:9], 0, s[8:9]
	flat_store_dword v[8:9], v7 offset:128
	s_cbranch_execz .LBB245_6
	s_branch .LBB245_7
.LBB245_5:
                                        ; implicit-def: $vgpr6
                                        ; implicit-def: $vgpr4_vgpr5
.LBB245_6:
	s_lshl_b64 s[8:9], s[28:29], 3
	s_add_u32 s0, s0, s8
	s_addc_u32 s1, s1, s9
	v_mul_lo_u32 v6, v1, s26
	v_mul_lo_u32 v7, v0, s27
	v_mad_u64_u32 v[4:5], s[8:9], v0, s26, 0
	v_add3_u32 v5, v5, v7, v6
	v_lshl_add_u64 v[4:5], v[4:5], 3, s[0:1]
	v_lshlrev_b64 v[2:3], 3, v[2:3]
	v_lshl_add_u64 v[6:7], v[4:5], 0, v[2:3]
	flat_load_dwordx2 v[8:9], v[6:7]
	v_mul_lo_u32 v12, v1, s36
	v_mul_lo_u32 v13, v0, s37
	v_mad_u64_u32 v[0:1], s[0:1], v0, s36, 0
	s_mov_b32 s0, s7
	v_pk_mul_f32 v[10:11], v[34:35], s[2:3] op_sel_hi:[0,1]
	v_add3_u32 v1, v1, v13, v12
	v_pk_fma_f32 v[12:13], v[32:33], s[2:3], v[10:11] op_sel:[0,1,0] op_sel_hi:[1,0,1] neg_lo:[0,0,1] neg_hi:[0,0,1]
	v_pk_fma_f32 v[10:11], v[32:33], s[2:3], v[10:11] op_sel:[0,1,0] op_sel_hi:[0,0,1]
	v_lshl_add_u64 v[0:1], v[0:1], 3, s[4:5]
	v_mov_b32_e32 v13, v11
	v_lshl_add_u64 v[10:11], v[0:1], 0, v[2:3]
	s_lshl_b64 s[4:5], s[26:27], 7
	v_lshl_add_u64 v[4:5], v[4:5], 0, s[4:5]
	v_lshl_add_u64 v[4:5], v[4:5], 0, v[2:3]
	s_lshl_b64 s[4:5], s[36:37], 7
	v_lshl_add_u64 v[0:1], v[0:1], 0, s[4:5]
	v_lshl_add_u64 v[0:1], v[0:1], 0, v[2:3]
	s_mov_b32 s11, s6
	s_waitcnt vmcnt(0) lgkmcnt(0)
	v_pk_mul_f32 v[14:15], v[8:9], s[0:1] op_sel_hi:[1,0]
	s_nop 0
	v_pk_fma_f32 v[16:17], v[8:9], s[6:7], v[14:15] op_sel:[0,0,1] op_sel_hi:[1,1,0] neg_lo:[0,0,1] neg_hi:[0,0,1]
	v_pk_fma_f32 v[8:9], v[8:9], s[6:7], v[14:15] op_sel:[0,0,1] op_sel_hi:[1,0,0]
	s_nop 0
	v_mov_b32_e32 v17, v9
	v_pk_add_f32 v[8:9], v[12:13], v[16:17]
	flat_store_dwordx2 v[10:11], v[8:9]
	flat_load_dwordx2 v[6:7], v[6:7] offset:128
	v_pk_mul_f32 v[8:9], v[30:31], s[2:3] op_sel_hi:[0,1]
	v_pk_fma_f32 v[12:13], v[28:29], s[2:3], v[8:9] op_sel:[0,1,0] op_sel_hi:[1,0,1] neg_lo:[0,0,1] neg_hi:[0,0,1]
	v_pk_fma_f32 v[8:9], v[28:29], s[2:3], v[8:9] op_sel:[0,1,0] op_sel_hi:[0,0,1]
	v_mov_b32_e32 v13, v9
	s_waitcnt vmcnt(0) lgkmcnt(0)
	v_pk_mul_f32 v[8:9], v[6:7], s[0:1] op_sel_hi:[1,0]
	s_nop 0
	v_pk_fma_f32 v[14:15], v[6:7], s[6:7], v[8:9] op_sel:[0,0,1] op_sel_hi:[1,1,0] neg_lo:[0,0,1] neg_hi:[0,0,1]
	v_pk_fma_f32 v[6:7], v[6:7], s[6:7], v[8:9] op_sel:[0,0,1] op_sel_hi:[1,0,0]
	v_mov_b32_e32 v8, v23
	v_mov_b32_e32 v15, v7
	v_pk_add_f32 v[6:7], v[12:13], v[14:15]
	flat_store_dwordx2 v[10:11], v[6:7] offset:128
	flat_load_dwordx2 v[6:7], v[4:5]
	v_pk_mul_f32 v[8:9], v[8:9], s[2:3] op_sel_hi:[0,1]
	v_pk_fma_f32 v[10:11], v[22:23], s[2:3], v[8:9] op_sel:[0,1,0] op_sel_hi:[1,0,1] neg_lo:[0,0,1] neg_hi:[0,0,1]
	v_pk_fma_f32 v[8:9], v[22:23], s[2:3], v[8:9] op_sel:[0,1,0] op_sel_hi:[0,0,1]
	v_mov_b32_e32 v11, v9
	s_waitcnt vmcnt(0) lgkmcnt(0)
	v_pk_mul_f32 v[2:3], v[6:7], s[0:1] op_sel_hi:[1,0]
	s_nop 0
	v_pk_fma_f32 v[8:9], v[6:7], s[6:7], v[2:3] op_sel:[0,0,1] op_sel_hi:[1,1,0] neg_lo:[0,0,1] neg_hi:[0,0,1]
	v_pk_fma_f32 v[2:3], v[6:7], s[6:7], v[2:3] op_sel:[0,0,1] op_sel_hi:[1,0,0]
	v_mov_b32_e32 v6, v20
	v_mov_b32_e32 v9, v3
	v_pk_add_f32 v[2:3], v[10:11], v[8:9]
	flat_store_dwordx2 v[0:1], v[2:3]
	flat_load_dwordx2 v[2:3], v[4:5] offset:128
	v_mul_f32_e32 v4, s3, v20
	s_mov_b32 s3, s7
	s_mov_b64 s[0:1], 0x80
	v_fma_f32 v8, -v21, s2, v4
	v_lshl_add_u64 v[4:5], v[0:1], 0, s[0:1]
	s_waitcnt vmcnt(0) lgkmcnt(0)
	v_mul_f32_e32 v9, s7, v3
	v_mov_b32_e32 v7, v2
	v_fma_f32 v9, v2, s6, -v9
	v_mov_b32_e32 v2, v21
	v_pk_mul_f32 v[2:3], v[2:3], s[10:11]
	v_add_f32_e32 v8, v8, v9
	v_pk_fma_f32 v[2:3], v[6:7], s[2:3], v[2:3]
	flat_store_dword v[0:1], v8 offset:128
	v_add_f32_e32 v6, v2, v3
.LBB245_7:
	flat_store_dword v[4:5], v6 offset:4
	s_endpgm
	.section	.rodata,"a",@progbits
	.p2align	6, 0x0
	.amdhsa_kernel _ZN12_GLOBAL__N_127rocblas_gemm_batched_kernelI19rocblas_complex_numIfELi16ELi16ELi32ELi32ELi8ELi32ELi8ELi8ELi32ELc78ELc84EKPKS2_S5_KPS2_EEvlllT_PT11_llSA_llS8_PT12_llPT13_lli
		.amdhsa_group_segment_fixed_size 4096
		.amdhsa_private_segment_fixed_size 0
		.amdhsa_kernarg_size 140
		.amdhsa_user_sgpr_count 2
		.amdhsa_user_sgpr_dispatch_ptr 0
		.amdhsa_user_sgpr_queue_ptr 0
		.amdhsa_user_sgpr_kernarg_segment_ptr 1
		.amdhsa_user_sgpr_dispatch_id 0
		.amdhsa_user_sgpr_kernarg_preload_length 0
		.amdhsa_user_sgpr_kernarg_preload_offset 0
		.amdhsa_user_sgpr_private_segment_size 0
		.amdhsa_uses_dynamic_stack 0
		.amdhsa_enable_private_segment 0
		.amdhsa_system_sgpr_workgroup_id_x 1
		.amdhsa_system_sgpr_workgroup_id_y 1
		.amdhsa_system_sgpr_workgroup_id_z 1
		.amdhsa_system_sgpr_workgroup_info 0
		.amdhsa_system_vgpr_workitem_id 1
		.amdhsa_next_free_vgpr 102
		.amdhsa_next_free_sgpr 42
		.amdhsa_accum_offset 104
		.amdhsa_reserve_vcc 1
		.amdhsa_float_round_mode_32 0
		.amdhsa_float_round_mode_16_64 0
		.amdhsa_float_denorm_mode_32 3
		.amdhsa_float_denorm_mode_16_64 3
		.amdhsa_dx10_clamp 1
		.amdhsa_ieee_mode 1
		.amdhsa_fp16_overflow 0
		.amdhsa_tg_split 0
		.amdhsa_exception_fp_ieee_invalid_op 0
		.amdhsa_exception_fp_denorm_src 0
		.amdhsa_exception_fp_ieee_div_zero 0
		.amdhsa_exception_fp_ieee_overflow 0
		.amdhsa_exception_fp_ieee_underflow 0
		.amdhsa_exception_fp_ieee_inexact 0
		.amdhsa_exception_int_div_zero 0
	.end_amdhsa_kernel
	.section	.text._ZN12_GLOBAL__N_127rocblas_gemm_batched_kernelI19rocblas_complex_numIfELi16ELi16ELi32ELi32ELi8ELi32ELi8ELi8ELi32ELc78ELc84EKPKS2_S5_KPS2_EEvlllT_PT11_llSA_llS8_PT12_llPT13_lli,"axG",@progbits,_ZN12_GLOBAL__N_127rocblas_gemm_batched_kernelI19rocblas_complex_numIfELi16ELi16ELi32ELi32ELi8ELi32ELi8ELi8ELi32ELc78ELc84EKPKS2_S5_KPS2_EEvlllT_PT11_llSA_llS8_PT12_llPT13_lli,comdat
.Lfunc_end245:
	.size	_ZN12_GLOBAL__N_127rocblas_gemm_batched_kernelI19rocblas_complex_numIfELi16ELi16ELi32ELi32ELi8ELi32ELi8ELi8ELi32ELc78ELc84EKPKS2_S5_KPS2_EEvlllT_PT11_llSA_llS8_PT12_llPT13_lli, .Lfunc_end245-_ZN12_GLOBAL__N_127rocblas_gemm_batched_kernelI19rocblas_complex_numIfELi16ELi16ELi32ELi32ELi8ELi32ELi8ELi8ELi32ELc78ELc84EKPKS2_S5_KPS2_EEvlllT_PT11_llSA_llS8_PT12_llPT13_lli
                                        ; -- End function
	.set _ZN12_GLOBAL__N_127rocblas_gemm_batched_kernelI19rocblas_complex_numIfELi16ELi16ELi32ELi32ELi8ELi32ELi8ELi8ELi32ELc78ELc84EKPKS2_S5_KPS2_EEvlllT_PT11_llSA_llS8_PT12_llPT13_lli.num_vgpr, 102
	.set _ZN12_GLOBAL__N_127rocblas_gemm_batched_kernelI19rocblas_complex_numIfELi16ELi16ELi32ELi32ELi8ELi32ELi8ELi8ELi32ELc78ELc84EKPKS2_S5_KPS2_EEvlllT_PT11_llSA_llS8_PT12_llPT13_lli.num_agpr, 0
	.set _ZN12_GLOBAL__N_127rocblas_gemm_batched_kernelI19rocblas_complex_numIfELi16ELi16ELi32ELi32ELi8ELi32ELi8ELi8ELi32ELc78ELc84EKPKS2_S5_KPS2_EEvlllT_PT11_llSA_llS8_PT12_llPT13_lli.numbered_sgpr, 42
	.set _ZN12_GLOBAL__N_127rocblas_gemm_batched_kernelI19rocblas_complex_numIfELi16ELi16ELi32ELi32ELi8ELi32ELi8ELi8ELi32ELc78ELc84EKPKS2_S5_KPS2_EEvlllT_PT11_llSA_llS8_PT12_llPT13_lli.num_named_barrier, 0
	.set _ZN12_GLOBAL__N_127rocblas_gemm_batched_kernelI19rocblas_complex_numIfELi16ELi16ELi32ELi32ELi8ELi32ELi8ELi8ELi32ELc78ELc84EKPKS2_S5_KPS2_EEvlllT_PT11_llSA_llS8_PT12_llPT13_lli.private_seg_size, 0
	.set _ZN12_GLOBAL__N_127rocblas_gemm_batched_kernelI19rocblas_complex_numIfELi16ELi16ELi32ELi32ELi8ELi32ELi8ELi8ELi32ELc78ELc84EKPKS2_S5_KPS2_EEvlllT_PT11_llSA_llS8_PT12_llPT13_lli.uses_vcc, 1
	.set _ZN12_GLOBAL__N_127rocblas_gemm_batched_kernelI19rocblas_complex_numIfELi16ELi16ELi32ELi32ELi8ELi32ELi8ELi8ELi32ELc78ELc84EKPKS2_S5_KPS2_EEvlllT_PT11_llSA_llS8_PT12_llPT13_lli.uses_flat_scratch, 0
	.set _ZN12_GLOBAL__N_127rocblas_gemm_batched_kernelI19rocblas_complex_numIfELi16ELi16ELi32ELi32ELi8ELi32ELi8ELi8ELi32ELc78ELc84EKPKS2_S5_KPS2_EEvlllT_PT11_llSA_llS8_PT12_llPT13_lli.has_dyn_sized_stack, 0
	.set _ZN12_GLOBAL__N_127rocblas_gemm_batched_kernelI19rocblas_complex_numIfELi16ELi16ELi32ELi32ELi8ELi32ELi8ELi8ELi32ELc78ELc84EKPKS2_S5_KPS2_EEvlllT_PT11_llSA_llS8_PT12_llPT13_lli.has_recursion, 0
	.set _ZN12_GLOBAL__N_127rocblas_gemm_batched_kernelI19rocblas_complex_numIfELi16ELi16ELi32ELi32ELi8ELi32ELi8ELi8ELi32ELc78ELc84EKPKS2_S5_KPS2_EEvlllT_PT11_llSA_llS8_PT12_llPT13_lli.has_indirect_call, 0
	.section	.AMDGPU.csdata,"",@progbits
; Kernel info:
; codeLenInByte = 2496
; TotalNumSgprs: 48
; NumVgprs: 102
; NumAgprs: 0
; TotalNumVgprs: 102
; ScratchSize: 0
; MemoryBound: 0
; FloatMode: 240
; IeeeMode: 1
; LDSByteSize: 4096 bytes/workgroup (compile time only)
; SGPRBlocks: 5
; VGPRBlocks: 12
; NumSGPRsForWavesPerEU: 48
; NumVGPRsForWavesPerEU: 102
; AccumOffset: 104
; Occupancy: 4
; WaveLimiterHint : 1
; COMPUTE_PGM_RSRC2:SCRATCH_EN: 0
; COMPUTE_PGM_RSRC2:USER_SGPR: 2
; COMPUTE_PGM_RSRC2:TRAP_HANDLER: 0
; COMPUTE_PGM_RSRC2:TGID_X_EN: 1
; COMPUTE_PGM_RSRC2:TGID_Y_EN: 1
; COMPUTE_PGM_RSRC2:TGID_Z_EN: 1
; COMPUTE_PGM_RSRC2:TIDIG_COMP_CNT: 1
; COMPUTE_PGM_RSRC3_GFX90A:ACCUM_OFFSET: 25
; COMPUTE_PGM_RSRC3_GFX90A:TG_SPLIT: 0
	.section	.text._ZN12_GLOBAL__N_127rocblas_gemm_batched_kernelI19rocblas_complex_numIfELi16ELi16ELi32ELi32ELi8ELi32ELi8ELi8ELi32ELc84ELc84EKPKS2_S5_KPS2_EEvlllT_PT11_llSA_llS8_PT12_llPT13_lli,"axG",@progbits,_ZN12_GLOBAL__N_127rocblas_gemm_batched_kernelI19rocblas_complex_numIfELi16ELi16ELi32ELi32ELi8ELi32ELi8ELi8ELi32ELc84ELc84EKPKS2_S5_KPS2_EEvlllT_PT11_llSA_llS8_PT12_llPT13_lli,comdat
	.globl	_ZN12_GLOBAL__N_127rocblas_gemm_batched_kernelI19rocblas_complex_numIfELi16ELi16ELi32ELi32ELi8ELi32ELi8ELi8ELi32ELc84ELc84EKPKS2_S5_KPS2_EEvlllT_PT11_llSA_llS8_PT12_llPT13_lli ; -- Begin function _ZN12_GLOBAL__N_127rocblas_gemm_batched_kernelI19rocblas_complex_numIfELi16ELi16ELi32ELi32ELi8ELi32ELi8ELi8ELi32ELc84ELc84EKPKS2_S5_KPS2_EEvlllT_PT11_llSA_llS8_PT12_llPT13_lli
	.p2align	8
	.type	_ZN12_GLOBAL__N_127rocblas_gemm_batched_kernelI19rocblas_complex_numIfELi16ELi16ELi32ELi32ELi8ELi32ELi8ELi8ELi32ELc84ELc84EKPKS2_S5_KPS2_EEvlllT_PT11_llSA_llS8_PT12_llPT13_lli,@function
_ZN12_GLOBAL__N_127rocblas_gemm_batched_kernelI19rocblas_complex_numIfELi16ELi16ELi32ELi32ELi8ELi32ELi8ELi8ELi32ELc84ELc84EKPKS2_S5_KPS2_EEvlllT_PT11_llSA_llS8_PT12_llPT13_lli: ; @_ZN12_GLOBAL__N_127rocblas_gemm_batched_kernelI19rocblas_complex_numIfELi16ELi16ELi32ELi32ELi8ELi32ELi8ELi8ELi32ELc84ELc84EKPKS2_S5_KPS2_EEvlllT_PT11_llSA_llS8_PT12_llPT13_lli
; %bb.0:
	s_load_dwordx16 s[8:23], s[0:1], 0x10
	s_load_dwordx4 s[36:39], s[0:1], 0x78
	s_load_dwordx8 s[24:31], s[0:1], 0x58
	s_load_dwordx2 s[6:7], s[0:1], 0x50
	s_mov_b32 s5, 0
	s_lshl_b64 s[34:35], s[4:5], 3
	s_mov_b32 s40, s3
	s_waitcnt lgkmcnt(0)
	s_add_u32 s0, s24, s34
	s_addc_u32 s1, s25, s35
	s_add_u32 s4, s30, s34
	s_addc_u32 s5, s31, s35
	s_load_dwordx2 s[0:1], s[0:1], 0x0
	v_mov_b32_e32 v27, 0
	s_load_dwordx2 s[4:5], s[4:5], 0x0
	s_ashr_i32 s3, s2, 31
	s_ashr_i32 s41, s40, 31
	v_cmp_lt_i64_e64 s[30:31], s[8:9], 1
	v_bfe_u32 v26, v0, 10, 10
	v_and_b32_e32 v24, 0x3ff, v0
	v_mov_b32_e32 v25, v27
	s_lshl_b64 s[2:3], s[2:3], 5
	s_lshl_b64 s[24:25], s[40:41], 5
	s_and_b64 vcc, exec, s[30:31]
	v_mov_b32_e32 v21, v27
	v_mov_b32_e32 v20, v27
	;; [unrolled: 1-line block ×8, first 2 shown]
	s_cbranch_vccnz .LBB246_3
; %bb.1:
	v_lshl_add_u32 v4, v26, 4, v24
	v_lshrrev_b32_e32 v22, 3, v4
	v_mov_b32_e32 v23, 0
	v_lshl_add_u64 v[0:1], v[22:23], 0, s[24:25]
	v_and_b32_e32 v5, 7, v24
	v_mad_u64_u32 v[0:1], s[30:31], s20, v5, v[0:1]
	s_add_u32 s12, s12, s34
	v_mov_b32_e32 v2, v1
	s_addc_u32 s13, s13, s35
	v_mad_u64_u32 v[2:3], s[30:31], s21, v5, v[2:3]
	v_lshlrev_b32_e32 v5, 3, v5
	s_add_u32 s18, s18, s34
	v_mov_b32_e32 v1, v2
	v_and_b32_e32 v2, 31, v4
	v_mov_b32_e32 v3, v23
	v_lshl_or_b32 v5, v22, 6, v5
	s_load_dwordx2 s[12:13], s[12:13], 0x0
	s_addc_u32 s19, s19, s35
	v_lshrrev_b32_e32 v4, 5, v4
	v_lshlrev_b32_e32 v6, 3, v2
	v_add_u32_e32 v31, 0x800, v5
	v_mov_b32_e32 v5, 0x800
	v_lshl_add_u64 v[2:3], s[2:3], 0, v[2:3]
	s_load_dwordx2 s[18:19], s[18:19], 0x0
	v_lshl_or_b32 v29, v4, 8, v6
	v_lshl_add_u32 v35, v26, 6, v5
	v_mul_lo_u32 v5, s15, v2
	v_mul_lo_u32 v6, s14, v3
	v_mad_u64_u32 v[2:3], s[14:15], s14, v2, 0
	v_add3_u32 v3, v3, v6, v5
	s_lshl_b64 s[14:15], s[16:17], 3
	v_lshl_add_u64 v[2:3], v[2:3], 3, s[14:15]
	v_lshlrev_b32_e32 v22, 3, v4
	v_lshl_add_u64 v[2:3], v[2:3], 0, v[22:23]
	s_waitcnt lgkmcnt(0)
	v_lshl_add_u64 v[36:37], s[12:13], 0, v[2:3]
	s_lshl_b64 s[12:13], s[22:23], 3
	s_add_u32 s12, s18, s12
	s_addc_u32 s13, s19, s13
	v_lshlrev_b32_e32 v33, 3, v24
	v_lshl_add_u64 v[38:39], v[0:1], 3, s[12:13]
	s_lshl_b64 s[12:13], s[20:21], 6
	s_mov_b64 s[14:15], 0
	v_mov_b64_e32 v[40:41], s[8:9]
	v_mov_b32_e32 v22, v23
	v_mov_b32_e32 v30, v23
	;; [unrolled: 1-line block ×7, first 2 shown]
.LBB246_2:                              ; =>This Inner Loop Header: Depth=1
	flat_load_dwordx2 v[0:1], v[36:37]
	s_add_u32 s14, s14, 8
	s_addc_u32 s15, s15, 0
	v_cmp_lt_i64_e32 vcc, s[14:15], v[40:41]
	v_lshl_add_u64 v[36:37], v[36:37], 0, 64
	s_and_b64 vcc, exec, vcc
	s_waitcnt vmcnt(0) lgkmcnt(0)
	ds_write_b64 v29, v[0:1]
	flat_load_dwordx2 v[0:1], v[38:39]
	v_lshl_add_u64 v[38:39], v[38:39], 0, s[12:13]
	s_waitcnt vmcnt(0) lgkmcnt(0)
	ds_write_b64 v31, v[0:1]
	s_waitcnt lgkmcnt(0)
	s_barrier
	ds_read2_b64 v[4:7], v33 offset1:16
	ds_read_b128 v[8:11], v35
	ds_read_b128 v[0:3], v35 offset:16
	ds_read2_b64 v[12:15], v33 offset0:32 offset1:48
	ds_read_b128 v[16:19], v35 offset:1024
	ds_read_b128 v[42:45], v35 offset:1040
	ds_read2_b64 v[46:49], v33 offset0:64 offset1:80
	ds_read2_b64 v[50:53], v33 offset0:96 offset1:112
	;; [unrolled: 1-line block ×4, first 2 shown]
	ds_read_b128 v[62:65], v35 offset:1056
	ds_read_b128 v[66:69], v35 offset:32
	;; [unrolled: 1-line block ×3, first 2 shown]
	s_waitcnt lgkmcnt(11)
	v_mul_f32_e32 v78, v9, v5
	v_mul_f32_e32 v80, v8, v5
	v_mul_f32_e32 v79, v9, v7
	v_mul_f32_e32 v81, v8, v7
	s_waitcnt lgkmcnt(9)
	v_mul_f32_e32 v82, v11, v13
	v_mul_f32_e32 v83, v10, v13
	;; [unrolled: 1-line block ×4, first 2 shown]
	s_waitcnt lgkmcnt(8)
	v_mul_f32_e32 v86, v17, v5
	v_mul_f32_e32 v87, v16, v5
	v_pk_mul_f32 v[74:75], v[16:17], v[6:7] op_sel:[1,1] op_sel_hi:[0,1]
	v_mul_f32_e32 v5, v19, v13
	v_mul_f32_e32 v88, v18, v13
	v_pk_mul_f32 v[76:77], v[18:19], v[14:15] op_sel:[1,1] op_sel_hi:[0,1]
	v_fma_f32 v89, v8, v4, -v78
	v_fmac_f32_e32 v80, v9, v4
	v_fma_f32 v90, v8, v6, -v79
	v_fmac_f32_e32 v81, v9, v6
	v_fma_f32 v82, v10, v12, -v82
	v_fmac_f32_e32 v83, v11, v12
	v_fma_f32 v84, v10, v14, -v84
	v_fmac_f32_e32 v85, v11, v14
	v_fma_f32 v86, v16, v4, -v86
	v_fmac_f32_e32 v87, v17, v4
	v_pk_fma_f32 v[78:79], v[16:17], v[6:7], v[74:75] neg_lo:[0,0,1] neg_hi:[0,0,1]
	v_pk_fma_f32 v[16:17], v[16:17], v[6:7], v[74:75] op_sel_hi:[1,0,1]
	v_fma_f32 v74, v18, v12, -v5
	v_fmac_f32_e32 v88, v19, v12
	v_pk_fma_f32 v[12:13], v[18:19], v[14:15], v[76:77] neg_lo:[0,0,1] neg_hi:[0,0,1]
	v_pk_fma_f32 v[14:15], v[18:19], v[14:15], v[76:77] op_sel_hi:[1,0,1]
	s_waitcnt lgkmcnt(5)
	v_mul_f32_e32 v7, v3, v51
	v_mul_f32_e32 v9, v3, v53
	;; [unrolled: 1-line block ×4, first 2 shown]
	v_pk_mul_f32 v[4:5], v[42:43], v[48:49] op_sel:[1,1] op_sel_hi:[0,1]
	v_mul_f32_e32 v8, v1, v47
	v_mul_f32_e32 v91, v0, v47
	;; [unrolled: 1-line block ×6, first 2 shown]
	v_fma_f32 v93, v2, v50, -v7
	v_fma_f32 v94, v2, v52, -v9
	v_mul_f32_e32 v2, v45, v51
	v_fma_f32 v96, v42, v46, -v10
	v_fmac_f32_e32 v76, v43, v46
	v_pk_fma_f32 v[18:19], v[42:43], v[48:49], v[4:5] neg_lo:[0,0,1] neg_hi:[0,0,1]
	v_pk_fma_f32 v[42:43], v[42:43], v[48:49], v[4:5] op_sel_hi:[1,0,1]
	s_waitcnt lgkmcnt(1)
	v_mul_f32_e32 v98, v68, v59
	v_mul_f32_e32 v99, v68, v61
	v_mul_f32_e32 v4, v63, v55
	v_fma_f32 v77, v0, v46, -v8
	v_fmac_f32_e32 v91, v1, v46
	v_fma_f32 v92, v0, v48, -v6
	v_fmac_f32_e32 v16, v1, v48
	v_fmac_f32_e32 v14, v3, v50
	;; [unrolled: 1-line block ×3, first 2 shown]
	v_mul_f32_e32 v95, v44, v51
	v_pk_mul_f32 v[0:1], v[44:45], v[52:53] op_sel:[1,1] op_sel_hi:[0,1]
	v_fma_f32 v42, v44, v50, -v2
	v_mul_f32_e32 v2, v69, v59
	v_mul_f32_e32 v3, v69, v61
	v_fmac_f32_e32 v98, v69, v58
	v_fmac_f32_e32 v99, v69, v60
	v_fma_f32 v69, v62, v54, -v4
	v_pk_mul_f32 v[4:5], v[62:63], v[56:57] op_sel:[1,1] op_sel_hi:[0,1]
	v_fmac_f32_e32 v95, v45, v50
	v_pk_fma_f32 v[46:47], v[44:45], v[52:53], v[0:1] neg_lo:[0,0,1] neg_hi:[0,0,1]
	v_pk_fma_f32 v[44:45], v[44:45], v[52:53], v[0:1] op_sel_hi:[1,0,1]
	v_pk_fma_f32 v[48:49], v[62:63], v[56:57], v[4:5] neg_lo:[0,0,1] neg_hi:[0,0,1]
	v_pk_fma_f32 v[50:51], v[62:63], v[56:57], v[4:5] op_sel_hi:[1,0,1]
	v_mul_f32_e32 v4, v65, v59
	v_mul_f32_e32 v0, v67, v55
	;; [unrolled: 1-line block ×4, first 2 shown]
	v_fma_f32 v50, v64, v58, -v4
	v_pk_mul_f32 v[4:5], v[64:65], v[60:61] op_sel:[1,1] op_sel_hi:[0,1]
	v_fma_f32 v100, v66, v54, -v0
	v_fmac_f32_e32 v44, v67, v54
	v_fmac_f32_e32 v101, v63, v54
	v_pk_fma_f32 v[52:53], v[64:65], v[60:61], v[4:5] neg_lo:[0,0,1] neg_hi:[0,0,1]
	v_pk_fma_f32 v[54:55], v[64:65], v[60:61], v[4:5] op_sel_hi:[1,0,1]
	ds_read2_b64 v[4:7], v33 offset0:192 offset1:208
	v_mul_f32_e32 v97, v66, v57
	v_mul_f32_e32 v1, v67, v57
	v_fmac_f32_e32 v97, v67, v56
	v_fma_f32 v67, v68, v58, -v2
	s_waitcnt lgkmcnt(0)
	v_mul_f32_e32 v8, v71, v5
	v_fma_f32 v54, v70, v4, -v8
	v_mul_f32_e32 v8, v71, v7
	v_fma_f32 v68, v68, v60, -v3
	v_fma_f32 v60, v70, v6, -v8
	ds_read2_b64 v[8:11], v33 offset0:224 offset1:240
	v_fma_f32 v66, v66, v56, -v1
	ds_read_b128 v[0:3], v35 offset:1072
	v_mul_f32_e32 v59, v64, v59
	v_fmac_f32_e32 v59, v65, v58
	s_waitcnt lgkmcnt(1)
	v_mul_f32_e32 v13, v73, v9
	v_mul_f32_e32 v58, v70, v5
	;; [unrolled: 1-line block ×3, first 2 shown]
	v_fma_f32 v62, v72, v8, -v13
	v_mul_f32_e32 v13, v73, v11
	v_fmac_f32_e32 v58, v71, v4
	v_fmac_f32_e32 v61, v71, v6
	v_fma_f32 v64, v72, v10, -v13
	s_waitcnt lgkmcnt(0)
	v_mul_f32_e32 v13, v1, v5
	v_mul_f32_e32 v71, v0, v5
	v_fma_f32 v70, v0, v4, -v13
	v_fmac_f32_e32 v71, v1, v4
	v_pk_mul_f32 v[4:5], v[0:1], v[6:7] op_sel:[1,1] op_sel_hi:[0,1]
	v_pk_fma_f32 v[56:57], v[0:1], v[6:7], v[4:5] neg_lo:[0,0,1] neg_hi:[0,0,1]
	v_pk_fma_f32 v[0:1], v[0:1], v[6:7], v[4:5] op_sel_hi:[1,0,1]
	v_mul_f32_e32 v63, v72, v9
	v_mul_f32_e32 v0, v3, v9
	;; [unrolled: 1-line block ×3, first 2 shown]
	v_pk_mul_f32 v[4:5], v[2:3], v[10:11] op_sel:[1,1] op_sel_hi:[0,1]
	v_mul_f32_e32 v65, v72, v11
	v_fma_f32 v72, v2, v8, -v0
	v_fmac_f32_e32 v9, v3, v8
	v_pk_fma_f32 v[6:7], v[2:3], v[10:11], v[4:5] neg_lo:[0,0,1] neg_hi:[0,0,1]
	v_pk_fma_f32 v[2:3], v[2:3], v[10:11], v[4:5] op_sel_hi:[1,0,1]
	v_mov_b32_e32 v79, v17
	v_fmac_f32_e32 v63, v73, v8
	v_fmac_f32_e32 v65, v73, v10
	v_add_f32_e32 v2, v32, v89
	v_add_f32_e32 v4, v34, v80
	v_add_f32_e32 v5, v28, v90
	v_add_f32_e32 v8, v30, v81
	v_add_f32_e32 v10, v22, v86
	v_add_f32_e32 v11, v23, v87
	v_mov_b32_e32 v13, v15
	v_mov_b32_e32 v57, v1
	v_pk_add_f32 v[0:1], v[20:21], v[78:79]
	v_mov_b32_e32 v19, v43
	v_mov_b32_e32 v7, v3
	v_add_f32_e32 v2, v2, v82
	v_add_f32_e32 v3, v4, v83
	v_add_f32_e32 v4, v5, v84
	v_add_f32_e32 v5, v8, v85
	v_add_f32_e32 v8, v10, v74
	v_add_f32_e32 v10, v11, v88
	v_pk_add_f32 v[0:1], v[0:1], v[12:13]
	v_mov_b32_e32 v47, v45
	v_add_f32_e32 v2, v2, v77
	v_add_f32_e32 v3, v3, v91
	v_add_f32_e32 v4, v4, v92
	v_add_f32_e32 v5, v5, v16
	v_add_f32_e32 v8, v8, v96
	v_add_f32_e32 v10, v10, v76
	v_pk_add_f32 v[0:1], v[0:1], v[18:19]
	;; [unrolled: 8-line block ×4, first 2 shown]
	v_add_f32_e32 v2, v2, v67
	v_add_f32_e32 v3, v3, v98
	v_add_f32_e32 v4, v4, v68
	v_add_f32_e32 v5, v5, v99
	v_add_f32_e32 v8, v8, v50
	v_add_f32_e32 v10, v10, v59
	v_pk_add_f32 v[0:1], v[0:1], v[52:53]
	v_add_f32_e32 v2, v2, v54
	v_add_f32_e32 v3, v3, v58
	v_add_f32_e32 v4, v4, v60
	v_add_f32_e32 v5, v5, v61
	v_add_f32_e32 v8, v8, v70
	v_add_f32_e32 v10, v10, v71
	v_pk_add_f32 v[0:1], v[0:1], v[56:57]
	;; [unrolled: 7-line block ×3, first 2 shown]
	s_barrier
	s_cbranch_vccnz .LBB246_2
.LBB246_3:
	s_lshl_b64 s[8:9], s[38:39], 3
	s_waitcnt lgkmcnt(0)
	s_add_u32 s4, s4, s8
	s_addc_u32 s5, s5, s9
	s_or_b32 s8, s6, s7
	s_bitset0_b32 s8, 31
	v_lshl_add_u64 v[0:1], s[24:25], 0, v[26:27]
	s_cmp_lg_u32 s8, 0
	v_lshl_add_u64 v[2:3], s[2:3], 0, v[24:25]
	s_mov_b32 s2, s11
	s_mov_b32 s3, s10
	s_cbranch_scc1 .LBB246_5
; %bb.4:
	v_mul_lo_u32 v6, v1, s36
	v_mul_lo_u32 v7, v0, s37
	v_mad_u64_u32 v[4:5], s[8:9], v0, s36, 0
	v_add3_u32 v5, v5, v7, v6
	v_pk_mul_f32 v[10:11], v[34:35], s[2:3] op_sel_hi:[0,1]
	v_lshl_add_u64 v[4:5], v[4:5], 3, s[4:5]
	v_lshlrev_b64 v[6:7], 3, v[2:3]
	v_pk_fma_f32 v[12:13], v[32:33], s[2:3], v[10:11] op_sel:[0,1,0] op_sel_hi:[1,0,1] neg_lo:[0,0,1] neg_hi:[0,0,1]
	v_pk_fma_f32 v[10:11], v[32:33], s[2:3], v[10:11] op_sel:[0,1,0] op_sel_hi:[0,0,1]
	v_lshl_add_u64 v[8:9], v[4:5], 0, v[6:7]
	v_mov_b32_e32 v13, v11
	v_pk_mul_f32 v[10:11], v[30:31], s[2:3] op_sel_hi:[0,1]
	flat_store_dwordx2 v[8:9], v[12:13]
	v_pk_fma_f32 v[12:13], v[28:29], s[2:3], v[10:11] op_sel:[0,1,0] op_sel_hi:[1,0,1] neg_lo:[0,0,1] neg_hi:[0,0,1]
	v_pk_fma_f32 v[10:11], v[28:29], s[2:3], v[10:11] op_sel:[0,1,0] op_sel_hi:[0,0,1]
	s_lshl_b64 s[8:9], s[36:37], 7
	v_mov_b32_e32 v13, v11
	v_lshl_add_u64 v[4:5], v[4:5], 0, s[8:9]
	flat_store_dwordx2 v[8:9], v[12:13] offset:128
	v_lshl_add_u64 v[8:9], v[4:5], 0, v[6:7]
	v_mov_b32_e32 v4, v23
	v_pk_mul_f32 v[4:5], v[4:5], s[2:3] op_sel_hi:[0,1]
	v_pk_fma_f32 v[6:7], v[22:23], s[2:3], v[4:5] op_sel:[0,1,0] op_sel_hi:[1,0,1] neg_lo:[0,0,1] neg_hi:[0,0,1]
	v_pk_fma_f32 v[4:5], v[22:23], s[2:3], v[4:5] op_sel:[0,1,0] op_sel_hi:[0,0,1]
	v_mov_b32_e32 v7, v5
	v_mul_f32_e32 v4, s3, v20
	flat_store_dwordx2 v[8:9], v[6:7]
	v_fma_f32 v7, -v21, s2, v4
	v_pk_mul_f32 v[4:5], v[20:21], s[2:3]
	s_mov_b64 s[8:9], 0x80
	v_add_f32_e32 v6, v4, v5
	v_lshl_add_u64 v[4:5], v[8:9], 0, s[8:9]
	flat_store_dword v[8:9], v7 offset:128
	s_cbranch_execz .LBB246_6
	s_branch .LBB246_7
.LBB246_5:
                                        ; implicit-def: $vgpr6
                                        ; implicit-def: $vgpr4_vgpr5
.LBB246_6:
	s_lshl_b64 s[8:9], s[28:29], 3
	s_add_u32 s0, s0, s8
	s_addc_u32 s1, s1, s9
	v_mul_lo_u32 v6, v1, s26
	v_mul_lo_u32 v7, v0, s27
	v_mad_u64_u32 v[4:5], s[8:9], v0, s26, 0
	v_add3_u32 v5, v5, v7, v6
	v_lshl_add_u64 v[4:5], v[4:5], 3, s[0:1]
	v_lshlrev_b64 v[2:3], 3, v[2:3]
	v_lshl_add_u64 v[6:7], v[4:5], 0, v[2:3]
	flat_load_dwordx2 v[8:9], v[6:7]
	v_mul_lo_u32 v12, v1, s36
	v_mul_lo_u32 v13, v0, s37
	v_mad_u64_u32 v[0:1], s[0:1], v0, s36, 0
	s_mov_b32 s0, s7
	v_pk_mul_f32 v[10:11], v[34:35], s[2:3] op_sel_hi:[0,1]
	v_add3_u32 v1, v1, v13, v12
	v_pk_fma_f32 v[12:13], v[32:33], s[2:3], v[10:11] op_sel:[0,1,0] op_sel_hi:[1,0,1] neg_lo:[0,0,1] neg_hi:[0,0,1]
	v_pk_fma_f32 v[10:11], v[32:33], s[2:3], v[10:11] op_sel:[0,1,0] op_sel_hi:[0,0,1]
	v_lshl_add_u64 v[0:1], v[0:1], 3, s[4:5]
	v_mov_b32_e32 v13, v11
	v_lshl_add_u64 v[10:11], v[0:1], 0, v[2:3]
	s_lshl_b64 s[4:5], s[26:27], 7
	v_lshl_add_u64 v[4:5], v[4:5], 0, s[4:5]
	v_lshl_add_u64 v[4:5], v[4:5], 0, v[2:3]
	s_lshl_b64 s[4:5], s[36:37], 7
	v_lshl_add_u64 v[0:1], v[0:1], 0, s[4:5]
	v_lshl_add_u64 v[0:1], v[0:1], 0, v[2:3]
	s_mov_b32 s11, s6
	s_waitcnt vmcnt(0) lgkmcnt(0)
	v_pk_mul_f32 v[14:15], v[8:9], s[0:1] op_sel_hi:[1,0]
	s_nop 0
	v_pk_fma_f32 v[16:17], v[8:9], s[6:7], v[14:15] op_sel:[0,0,1] op_sel_hi:[1,1,0] neg_lo:[0,0,1] neg_hi:[0,0,1]
	v_pk_fma_f32 v[8:9], v[8:9], s[6:7], v[14:15] op_sel:[0,0,1] op_sel_hi:[1,0,0]
	s_nop 0
	v_mov_b32_e32 v17, v9
	v_pk_add_f32 v[8:9], v[12:13], v[16:17]
	flat_store_dwordx2 v[10:11], v[8:9]
	flat_load_dwordx2 v[6:7], v[6:7] offset:128
	v_pk_mul_f32 v[8:9], v[30:31], s[2:3] op_sel_hi:[0,1]
	v_pk_fma_f32 v[12:13], v[28:29], s[2:3], v[8:9] op_sel:[0,1,0] op_sel_hi:[1,0,1] neg_lo:[0,0,1] neg_hi:[0,0,1]
	v_pk_fma_f32 v[8:9], v[28:29], s[2:3], v[8:9] op_sel:[0,1,0] op_sel_hi:[0,0,1]
	v_mov_b32_e32 v13, v9
	s_waitcnt vmcnt(0) lgkmcnt(0)
	v_pk_mul_f32 v[8:9], v[6:7], s[0:1] op_sel_hi:[1,0]
	s_nop 0
	v_pk_fma_f32 v[14:15], v[6:7], s[6:7], v[8:9] op_sel:[0,0,1] op_sel_hi:[1,1,0] neg_lo:[0,0,1] neg_hi:[0,0,1]
	v_pk_fma_f32 v[6:7], v[6:7], s[6:7], v[8:9] op_sel:[0,0,1] op_sel_hi:[1,0,0]
	v_mov_b32_e32 v8, v23
	v_mov_b32_e32 v15, v7
	v_pk_add_f32 v[6:7], v[12:13], v[14:15]
	flat_store_dwordx2 v[10:11], v[6:7] offset:128
	flat_load_dwordx2 v[6:7], v[4:5]
	v_pk_mul_f32 v[8:9], v[8:9], s[2:3] op_sel_hi:[0,1]
	v_pk_fma_f32 v[10:11], v[22:23], s[2:3], v[8:9] op_sel:[0,1,0] op_sel_hi:[1,0,1] neg_lo:[0,0,1] neg_hi:[0,0,1]
	v_pk_fma_f32 v[8:9], v[22:23], s[2:3], v[8:9] op_sel:[0,1,0] op_sel_hi:[0,0,1]
	v_mov_b32_e32 v11, v9
	s_waitcnt vmcnt(0) lgkmcnt(0)
	v_pk_mul_f32 v[2:3], v[6:7], s[0:1] op_sel_hi:[1,0]
	s_nop 0
	v_pk_fma_f32 v[8:9], v[6:7], s[6:7], v[2:3] op_sel:[0,0,1] op_sel_hi:[1,1,0] neg_lo:[0,0,1] neg_hi:[0,0,1]
	v_pk_fma_f32 v[2:3], v[6:7], s[6:7], v[2:3] op_sel:[0,0,1] op_sel_hi:[1,0,0]
	v_mov_b32_e32 v6, v20
	v_mov_b32_e32 v9, v3
	v_pk_add_f32 v[2:3], v[10:11], v[8:9]
	flat_store_dwordx2 v[0:1], v[2:3]
	flat_load_dwordx2 v[2:3], v[4:5] offset:128
	v_mul_f32_e32 v4, s3, v20
	s_mov_b32 s3, s7
	s_mov_b64 s[0:1], 0x80
	v_fma_f32 v8, -v21, s2, v4
	v_lshl_add_u64 v[4:5], v[0:1], 0, s[0:1]
	s_waitcnt vmcnt(0) lgkmcnt(0)
	v_mul_f32_e32 v9, s7, v3
	v_mov_b32_e32 v7, v2
	v_fma_f32 v9, v2, s6, -v9
	v_mov_b32_e32 v2, v21
	v_pk_mul_f32 v[2:3], v[2:3], s[10:11]
	v_add_f32_e32 v8, v8, v9
	v_pk_fma_f32 v[2:3], v[6:7], s[2:3], v[2:3]
	flat_store_dword v[0:1], v8 offset:128
	v_add_f32_e32 v6, v2, v3
.LBB246_7:
	flat_store_dword v[4:5], v6 offset:4
	s_endpgm
	.section	.rodata,"a",@progbits
	.p2align	6, 0x0
	.amdhsa_kernel _ZN12_GLOBAL__N_127rocblas_gemm_batched_kernelI19rocblas_complex_numIfELi16ELi16ELi32ELi32ELi8ELi32ELi8ELi8ELi32ELc84ELc84EKPKS2_S5_KPS2_EEvlllT_PT11_llSA_llS8_PT12_llPT13_lli
		.amdhsa_group_segment_fixed_size 4096
		.amdhsa_private_segment_fixed_size 0
		.amdhsa_kernarg_size 140
		.amdhsa_user_sgpr_count 2
		.amdhsa_user_sgpr_dispatch_ptr 0
		.amdhsa_user_sgpr_queue_ptr 0
		.amdhsa_user_sgpr_kernarg_segment_ptr 1
		.amdhsa_user_sgpr_dispatch_id 0
		.amdhsa_user_sgpr_kernarg_preload_length 0
		.amdhsa_user_sgpr_kernarg_preload_offset 0
		.amdhsa_user_sgpr_private_segment_size 0
		.amdhsa_uses_dynamic_stack 0
		.amdhsa_enable_private_segment 0
		.amdhsa_system_sgpr_workgroup_id_x 1
		.amdhsa_system_sgpr_workgroup_id_y 1
		.amdhsa_system_sgpr_workgroup_id_z 1
		.amdhsa_system_sgpr_workgroup_info 0
		.amdhsa_system_vgpr_workitem_id 1
		.amdhsa_next_free_vgpr 102
		.amdhsa_next_free_sgpr 42
		.amdhsa_accum_offset 104
		.amdhsa_reserve_vcc 1
		.amdhsa_float_round_mode_32 0
		.amdhsa_float_round_mode_16_64 0
		.amdhsa_float_denorm_mode_32 3
		.amdhsa_float_denorm_mode_16_64 3
		.amdhsa_dx10_clamp 1
		.amdhsa_ieee_mode 1
		.amdhsa_fp16_overflow 0
		.amdhsa_tg_split 0
		.amdhsa_exception_fp_ieee_invalid_op 0
		.amdhsa_exception_fp_denorm_src 0
		.amdhsa_exception_fp_ieee_div_zero 0
		.amdhsa_exception_fp_ieee_overflow 0
		.amdhsa_exception_fp_ieee_underflow 0
		.amdhsa_exception_fp_ieee_inexact 0
		.amdhsa_exception_int_div_zero 0
	.end_amdhsa_kernel
	.section	.text._ZN12_GLOBAL__N_127rocblas_gemm_batched_kernelI19rocblas_complex_numIfELi16ELi16ELi32ELi32ELi8ELi32ELi8ELi8ELi32ELc84ELc84EKPKS2_S5_KPS2_EEvlllT_PT11_llSA_llS8_PT12_llPT13_lli,"axG",@progbits,_ZN12_GLOBAL__N_127rocblas_gemm_batched_kernelI19rocblas_complex_numIfELi16ELi16ELi32ELi32ELi8ELi32ELi8ELi8ELi32ELc84ELc84EKPKS2_S5_KPS2_EEvlllT_PT11_llSA_llS8_PT12_llPT13_lli,comdat
.Lfunc_end246:
	.size	_ZN12_GLOBAL__N_127rocblas_gemm_batched_kernelI19rocblas_complex_numIfELi16ELi16ELi32ELi32ELi8ELi32ELi8ELi8ELi32ELc84ELc84EKPKS2_S5_KPS2_EEvlllT_PT11_llSA_llS8_PT12_llPT13_lli, .Lfunc_end246-_ZN12_GLOBAL__N_127rocblas_gemm_batched_kernelI19rocblas_complex_numIfELi16ELi16ELi32ELi32ELi8ELi32ELi8ELi8ELi32ELc84ELc84EKPKS2_S5_KPS2_EEvlllT_PT11_llSA_llS8_PT12_llPT13_lli
                                        ; -- End function
	.set _ZN12_GLOBAL__N_127rocblas_gemm_batched_kernelI19rocblas_complex_numIfELi16ELi16ELi32ELi32ELi8ELi32ELi8ELi8ELi32ELc84ELc84EKPKS2_S5_KPS2_EEvlllT_PT11_llSA_llS8_PT12_llPT13_lli.num_vgpr, 102
	.set _ZN12_GLOBAL__N_127rocblas_gemm_batched_kernelI19rocblas_complex_numIfELi16ELi16ELi32ELi32ELi8ELi32ELi8ELi8ELi32ELc84ELc84EKPKS2_S5_KPS2_EEvlllT_PT11_llSA_llS8_PT12_llPT13_lli.num_agpr, 0
	.set _ZN12_GLOBAL__N_127rocblas_gemm_batched_kernelI19rocblas_complex_numIfELi16ELi16ELi32ELi32ELi8ELi32ELi8ELi8ELi32ELc84ELc84EKPKS2_S5_KPS2_EEvlllT_PT11_llSA_llS8_PT12_llPT13_lli.numbered_sgpr, 42
	.set _ZN12_GLOBAL__N_127rocblas_gemm_batched_kernelI19rocblas_complex_numIfELi16ELi16ELi32ELi32ELi8ELi32ELi8ELi8ELi32ELc84ELc84EKPKS2_S5_KPS2_EEvlllT_PT11_llSA_llS8_PT12_llPT13_lli.num_named_barrier, 0
	.set _ZN12_GLOBAL__N_127rocblas_gemm_batched_kernelI19rocblas_complex_numIfELi16ELi16ELi32ELi32ELi8ELi32ELi8ELi8ELi32ELc84ELc84EKPKS2_S5_KPS2_EEvlllT_PT11_llSA_llS8_PT12_llPT13_lli.private_seg_size, 0
	.set _ZN12_GLOBAL__N_127rocblas_gemm_batched_kernelI19rocblas_complex_numIfELi16ELi16ELi32ELi32ELi8ELi32ELi8ELi8ELi32ELc84ELc84EKPKS2_S5_KPS2_EEvlllT_PT11_llSA_llS8_PT12_llPT13_lli.uses_vcc, 1
	.set _ZN12_GLOBAL__N_127rocblas_gemm_batched_kernelI19rocblas_complex_numIfELi16ELi16ELi32ELi32ELi8ELi32ELi8ELi8ELi32ELc84ELc84EKPKS2_S5_KPS2_EEvlllT_PT11_llSA_llS8_PT12_llPT13_lli.uses_flat_scratch, 0
	.set _ZN12_GLOBAL__N_127rocblas_gemm_batched_kernelI19rocblas_complex_numIfELi16ELi16ELi32ELi32ELi8ELi32ELi8ELi8ELi32ELc84ELc84EKPKS2_S5_KPS2_EEvlllT_PT11_llSA_llS8_PT12_llPT13_lli.has_dyn_sized_stack, 0
	.set _ZN12_GLOBAL__N_127rocblas_gemm_batched_kernelI19rocblas_complex_numIfELi16ELi16ELi32ELi32ELi8ELi32ELi8ELi8ELi32ELc84ELc84EKPKS2_S5_KPS2_EEvlllT_PT11_llSA_llS8_PT12_llPT13_lli.has_recursion, 0
	.set _ZN12_GLOBAL__N_127rocblas_gemm_batched_kernelI19rocblas_complex_numIfELi16ELi16ELi32ELi32ELi8ELi32ELi8ELi8ELi32ELc84ELc84EKPKS2_S5_KPS2_EEvlllT_PT11_llSA_llS8_PT12_llPT13_lli.has_indirect_call, 0
	.section	.AMDGPU.csdata,"",@progbits
; Kernel info:
; codeLenInByte = 2508
; TotalNumSgprs: 48
; NumVgprs: 102
; NumAgprs: 0
; TotalNumVgprs: 102
; ScratchSize: 0
; MemoryBound: 0
; FloatMode: 240
; IeeeMode: 1
; LDSByteSize: 4096 bytes/workgroup (compile time only)
; SGPRBlocks: 5
; VGPRBlocks: 12
; NumSGPRsForWavesPerEU: 48
; NumVGPRsForWavesPerEU: 102
; AccumOffset: 104
; Occupancy: 4
; WaveLimiterHint : 1
; COMPUTE_PGM_RSRC2:SCRATCH_EN: 0
; COMPUTE_PGM_RSRC2:USER_SGPR: 2
; COMPUTE_PGM_RSRC2:TRAP_HANDLER: 0
; COMPUTE_PGM_RSRC2:TGID_X_EN: 1
; COMPUTE_PGM_RSRC2:TGID_Y_EN: 1
; COMPUTE_PGM_RSRC2:TGID_Z_EN: 1
; COMPUTE_PGM_RSRC2:TIDIG_COMP_CNT: 1
; COMPUTE_PGM_RSRC3_GFX90A:ACCUM_OFFSET: 25
; COMPUTE_PGM_RSRC3_GFX90A:TG_SPLIT: 0
	.section	.text._ZN12_GLOBAL__N_127rocblas_gemm_batched_kernelI19rocblas_complex_numIfELi16ELi16ELi32ELi32ELi8ELi32ELi8ELi8ELi32ELc67ELc67EKPKS2_S5_KPS2_EEvlllT_PT11_llSA_llS8_PT12_llPT13_lli,"axG",@progbits,_ZN12_GLOBAL__N_127rocblas_gemm_batched_kernelI19rocblas_complex_numIfELi16ELi16ELi32ELi32ELi8ELi32ELi8ELi8ELi32ELc67ELc67EKPKS2_S5_KPS2_EEvlllT_PT11_llSA_llS8_PT12_llPT13_lli,comdat
	.globl	_ZN12_GLOBAL__N_127rocblas_gemm_batched_kernelI19rocblas_complex_numIfELi16ELi16ELi32ELi32ELi8ELi32ELi8ELi8ELi32ELc67ELc67EKPKS2_S5_KPS2_EEvlllT_PT11_llSA_llS8_PT12_llPT13_lli ; -- Begin function _ZN12_GLOBAL__N_127rocblas_gemm_batched_kernelI19rocblas_complex_numIfELi16ELi16ELi32ELi32ELi8ELi32ELi8ELi8ELi32ELc67ELc67EKPKS2_S5_KPS2_EEvlllT_PT11_llSA_llS8_PT12_llPT13_lli
	.p2align	8
	.type	_ZN12_GLOBAL__N_127rocblas_gemm_batched_kernelI19rocblas_complex_numIfELi16ELi16ELi32ELi32ELi8ELi32ELi8ELi8ELi32ELc67ELc67EKPKS2_S5_KPS2_EEvlllT_PT11_llSA_llS8_PT12_llPT13_lli,@function
_ZN12_GLOBAL__N_127rocblas_gemm_batched_kernelI19rocblas_complex_numIfELi16ELi16ELi32ELi32ELi8ELi32ELi8ELi8ELi32ELc67ELc67EKPKS2_S5_KPS2_EEvlllT_PT11_llSA_llS8_PT12_llPT13_lli: ; @_ZN12_GLOBAL__N_127rocblas_gemm_batched_kernelI19rocblas_complex_numIfELi16ELi16ELi32ELi32ELi8ELi32ELi8ELi8ELi32ELc67ELc67EKPKS2_S5_KPS2_EEvlllT_PT11_llSA_llS8_PT12_llPT13_lli
; %bb.0:
	s_load_dwordx16 s[8:23], s[0:1], 0x10
	s_load_dwordx4 s[36:39], s[0:1], 0x78
	s_load_dwordx8 s[24:31], s[0:1], 0x58
	s_load_dwordx2 s[6:7], s[0:1], 0x50
	s_mov_b32 s5, 0
	s_lshl_b64 s[34:35], s[4:5], 3
	s_mov_b32 s40, s3
	s_waitcnt lgkmcnt(0)
	s_add_u32 s0, s24, s34
	s_addc_u32 s1, s25, s35
	s_add_u32 s4, s30, s34
	s_addc_u32 s5, s31, s35
	s_load_dwordx2 s[0:1], s[0:1], 0x0
	v_mov_b32_e32 v27, 0
	s_load_dwordx2 s[4:5], s[4:5], 0x0
	s_ashr_i32 s3, s2, 31
	s_ashr_i32 s41, s40, 31
	v_cmp_lt_i64_e64 s[30:31], s[8:9], 1
	v_bfe_u32 v26, v0, 10, 10
	v_and_b32_e32 v24, 0x3ff, v0
	v_mov_b32_e32 v25, v27
	s_lshl_b64 s[2:3], s[2:3], 5
	s_lshl_b64 s[24:25], s[40:41], 5
	s_and_b64 vcc, exec, s[30:31]
	v_mov_b32_e32 v21, v27
	v_mov_b32_e32 v20, v27
	;; [unrolled: 1-line block ×8, first 2 shown]
	s_cbranch_vccnz .LBB247_3
; %bb.1:
	v_lshl_add_u32 v4, v26, 4, v24
	v_lshrrev_b32_e32 v22, 3, v4
	v_mov_b32_e32 v23, 0
	v_lshl_add_u64 v[0:1], v[22:23], 0, s[24:25]
	v_and_b32_e32 v5, 7, v24
	v_mad_u64_u32 v[0:1], s[30:31], s20, v5, v[0:1]
	s_add_u32 s12, s12, s34
	v_mov_b32_e32 v2, v1
	s_addc_u32 s13, s13, s35
	v_mad_u64_u32 v[2:3], s[30:31], s21, v5, v[2:3]
	v_lshlrev_b32_e32 v5, 3, v5
	s_add_u32 s18, s18, s34
	v_mov_b32_e32 v1, v2
	v_and_b32_e32 v2, 31, v4
	v_mov_b32_e32 v3, v23
	v_lshl_or_b32 v5, v22, 6, v5
	s_load_dwordx2 s[12:13], s[12:13], 0x0
	s_addc_u32 s19, s19, s35
	v_lshrrev_b32_e32 v4, 5, v4
	v_lshlrev_b32_e32 v6, 3, v2
	v_add_u32_e32 v31, 0x800, v5
	v_mov_b32_e32 v5, 0x800
	v_lshl_add_u64 v[2:3], s[2:3], 0, v[2:3]
	s_load_dwordx2 s[18:19], s[18:19], 0x0
	v_lshl_or_b32 v29, v4, 8, v6
	v_lshl_add_u32 v35, v26, 6, v5
	v_mul_lo_u32 v5, s15, v2
	v_mul_lo_u32 v6, s14, v3
	v_mad_u64_u32 v[2:3], s[14:15], s14, v2, 0
	v_add3_u32 v3, v3, v6, v5
	s_lshl_b64 s[14:15], s[16:17], 3
	v_lshl_add_u64 v[2:3], v[2:3], 3, s[14:15]
	v_lshlrev_b32_e32 v22, 3, v4
	v_lshl_add_u64 v[2:3], v[2:3], 0, v[22:23]
	s_waitcnt lgkmcnt(0)
	v_lshl_add_u64 v[36:37], s[12:13], 0, v[2:3]
	s_lshl_b64 s[12:13], s[22:23], 3
	s_add_u32 s12, s18, s12
	s_addc_u32 s13, s19, s13
	v_lshlrev_b32_e32 v33, 3, v24
	v_lshl_add_u64 v[38:39], v[0:1], 3, s[12:13]
	s_lshl_b64 s[12:13], s[20:21], 6
	s_mov_b64 s[14:15], 0
	v_mov_b64_e32 v[40:41], s[8:9]
	v_mov_b32_e32 v22, v23
	v_mov_b32_e32 v30, v23
	;; [unrolled: 1-line block ×7, first 2 shown]
.LBB247_2:                              ; =>This Inner Loop Header: Depth=1
	flat_load_dwordx2 v[0:1], v[36:37]
	s_add_u32 s14, s14, 8
	s_addc_u32 s15, s15, 0
	v_cmp_lt_i64_e32 vcc, s[14:15], v[40:41]
	v_lshl_add_u64 v[36:37], v[36:37], 0, 64
	s_and_b64 vcc, exec, vcc
	s_waitcnt vmcnt(0) lgkmcnt(0)
	v_xor_b32_e32 v1, 0x80000000, v1
	ds_write_b64 v29, v[0:1]
	flat_load_dwordx2 v[0:1], v[38:39]
	v_lshl_add_u64 v[38:39], v[38:39], 0, s[12:13]
	s_waitcnt vmcnt(0) lgkmcnt(0)
	v_xor_b32_e32 v1, 0x80000000, v1
	ds_write_b64 v31, v[0:1]
	s_waitcnt lgkmcnt(0)
	s_barrier
	ds_read2_b64 v[4:7], v33 offset1:16
	ds_read_b128 v[8:11], v35
	ds_read_b128 v[0:3], v35 offset:16
	ds_read2_b64 v[12:15], v33 offset0:32 offset1:48
	ds_read_b128 v[16:19], v35 offset:1024
	ds_read_b128 v[42:45], v35 offset:1040
	ds_read2_b64 v[46:49], v33 offset0:64 offset1:80
	ds_read2_b64 v[50:53], v33 offset0:96 offset1:112
	;; [unrolled: 1-line block ×4, first 2 shown]
	ds_read_b128 v[62:65], v35 offset:1056
	ds_read_b128 v[66:69], v35 offset:32
	ds_read_b128 v[70:73], v35 offset:48
	s_waitcnt lgkmcnt(11)
	v_mul_f32_e32 v78, v9, v5
	v_mul_f32_e32 v80, v8, v5
	;; [unrolled: 1-line block ×4, first 2 shown]
	s_waitcnt lgkmcnt(9)
	v_mul_f32_e32 v82, v11, v13
	v_mul_f32_e32 v83, v10, v13
	;; [unrolled: 1-line block ×4, first 2 shown]
	s_waitcnt lgkmcnt(8)
	v_mul_f32_e32 v86, v17, v5
	v_mul_f32_e32 v87, v16, v5
	v_pk_mul_f32 v[74:75], v[16:17], v[6:7] op_sel:[1,1] op_sel_hi:[0,1]
	v_mul_f32_e32 v5, v19, v13
	v_mul_f32_e32 v88, v18, v13
	v_pk_mul_f32 v[76:77], v[18:19], v[14:15] op_sel:[1,1] op_sel_hi:[0,1]
	v_fma_f32 v89, v8, v4, -v78
	v_fmac_f32_e32 v80, v9, v4
	v_fma_f32 v90, v8, v6, -v79
	v_fmac_f32_e32 v81, v9, v6
	;; [unrolled: 2-line block ×5, first 2 shown]
	v_pk_fma_f32 v[78:79], v[16:17], v[6:7], v[74:75] neg_lo:[0,0,1] neg_hi:[0,0,1]
	v_pk_fma_f32 v[16:17], v[16:17], v[6:7], v[74:75] op_sel_hi:[1,0,1]
	v_fma_f32 v74, v18, v12, -v5
	v_fmac_f32_e32 v88, v19, v12
	v_pk_fma_f32 v[12:13], v[18:19], v[14:15], v[76:77] neg_lo:[0,0,1] neg_hi:[0,0,1]
	v_pk_fma_f32 v[14:15], v[18:19], v[14:15], v[76:77] op_sel_hi:[1,0,1]
	s_waitcnt lgkmcnt(5)
	v_mul_f32_e32 v7, v3, v51
	v_mul_f32_e32 v9, v3, v53
	;; [unrolled: 1-line block ×4, first 2 shown]
	v_pk_mul_f32 v[4:5], v[42:43], v[48:49] op_sel:[1,1] op_sel_hi:[0,1]
	v_mul_f32_e32 v8, v1, v47
	v_mul_f32_e32 v91, v0, v47
	;; [unrolled: 1-line block ×6, first 2 shown]
	v_fma_f32 v93, v2, v50, -v7
	v_fma_f32 v94, v2, v52, -v9
	v_mul_f32_e32 v2, v45, v51
	v_fma_f32 v96, v42, v46, -v10
	v_fmac_f32_e32 v76, v43, v46
	v_pk_fma_f32 v[18:19], v[42:43], v[48:49], v[4:5] neg_lo:[0,0,1] neg_hi:[0,0,1]
	v_pk_fma_f32 v[42:43], v[42:43], v[48:49], v[4:5] op_sel_hi:[1,0,1]
	s_waitcnt lgkmcnt(1)
	v_mul_f32_e32 v98, v68, v59
	v_mul_f32_e32 v99, v68, v61
	;; [unrolled: 1-line block ×3, first 2 shown]
	v_fma_f32 v77, v0, v46, -v8
	v_fmac_f32_e32 v91, v1, v46
	v_fma_f32 v92, v0, v48, -v6
	v_fmac_f32_e32 v16, v1, v48
	v_fmac_f32_e32 v14, v3, v50
	;; [unrolled: 1-line block ×3, first 2 shown]
	v_mul_f32_e32 v95, v44, v51
	v_pk_mul_f32 v[0:1], v[44:45], v[52:53] op_sel:[1,1] op_sel_hi:[0,1]
	v_fma_f32 v42, v44, v50, -v2
	v_mul_f32_e32 v2, v69, v59
	v_mul_f32_e32 v3, v69, v61
	v_fmac_f32_e32 v98, v69, v58
	v_fmac_f32_e32 v99, v69, v60
	v_fma_f32 v69, v62, v54, -v4
	v_pk_mul_f32 v[4:5], v[62:63], v[56:57] op_sel:[1,1] op_sel_hi:[0,1]
	v_fmac_f32_e32 v95, v45, v50
	v_pk_fma_f32 v[46:47], v[44:45], v[52:53], v[0:1] neg_lo:[0,0,1] neg_hi:[0,0,1]
	v_pk_fma_f32 v[44:45], v[44:45], v[52:53], v[0:1] op_sel_hi:[1,0,1]
	v_pk_fma_f32 v[48:49], v[62:63], v[56:57], v[4:5] neg_lo:[0,0,1] neg_hi:[0,0,1]
	v_pk_fma_f32 v[50:51], v[62:63], v[56:57], v[4:5] op_sel_hi:[1,0,1]
	v_mul_f32_e32 v4, v65, v59
	v_mul_f32_e32 v0, v67, v55
	;; [unrolled: 1-line block ×4, first 2 shown]
	v_fma_f32 v50, v64, v58, -v4
	v_pk_mul_f32 v[4:5], v[64:65], v[60:61] op_sel:[1,1] op_sel_hi:[0,1]
	v_fma_f32 v100, v66, v54, -v0
	v_fmac_f32_e32 v44, v67, v54
	v_fmac_f32_e32 v101, v63, v54
	v_pk_fma_f32 v[52:53], v[64:65], v[60:61], v[4:5] neg_lo:[0,0,1] neg_hi:[0,0,1]
	v_pk_fma_f32 v[54:55], v[64:65], v[60:61], v[4:5] op_sel_hi:[1,0,1]
	ds_read2_b64 v[4:7], v33 offset0:192 offset1:208
	v_mul_f32_e32 v97, v66, v57
	v_mul_f32_e32 v1, v67, v57
	v_fmac_f32_e32 v97, v67, v56
	v_fma_f32 v67, v68, v58, -v2
	s_waitcnt lgkmcnt(0)
	v_mul_f32_e32 v8, v71, v5
	v_fma_f32 v54, v70, v4, -v8
	v_mul_f32_e32 v8, v71, v7
	v_fma_f32 v68, v68, v60, -v3
	v_fma_f32 v60, v70, v6, -v8
	ds_read2_b64 v[8:11], v33 offset0:224 offset1:240
	v_fma_f32 v66, v66, v56, -v1
	ds_read_b128 v[0:3], v35 offset:1072
	v_mul_f32_e32 v59, v64, v59
	v_fmac_f32_e32 v59, v65, v58
	s_waitcnt lgkmcnt(1)
	v_mul_f32_e32 v13, v73, v9
	v_mul_f32_e32 v58, v70, v5
	;; [unrolled: 1-line block ×3, first 2 shown]
	v_fma_f32 v62, v72, v8, -v13
	v_mul_f32_e32 v13, v73, v11
	v_fmac_f32_e32 v58, v71, v4
	v_fmac_f32_e32 v61, v71, v6
	v_fma_f32 v64, v72, v10, -v13
	s_waitcnt lgkmcnt(0)
	v_mul_f32_e32 v13, v1, v5
	v_mul_f32_e32 v71, v0, v5
	v_fma_f32 v70, v0, v4, -v13
	v_fmac_f32_e32 v71, v1, v4
	v_pk_mul_f32 v[4:5], v[0:1], v[6:7] op_sel:[1,1] op_sel_hi:[0,1]
	v_pk_fma_f32 v[56:57], v[0:1], v[6:7], v[4:5] neg_lo:[0,0,1] neg_hi:[0,0,1]
	v_pk_fma_f32 v[0:1], v[0:1], v[6:7], v[4:5] op_sel_hi:[1,0,1]
	v_mul_f32_e32 v63, v72, v9
	v_mul_f32_e32 v0, v3, v9
	v_mul_f32_e32 v9, v2, v9
	v_pk_mul_f32 v[4:5], v[2:3], v[10:11] op_sel:[1,1] op_sel_hi:[0,1]
	v_mul_f32_e32 v65, v72, v11
	v_fma_f32 v72, v2, v8, -v0
	v_fmac_f32_e32 v9, v3, v8
	v_pk_fma_f32 v[6:7], v[2:3], v[10:11], v[4:5] neg_lo:[0,0,1] neg_hi:[0,0,1]
	v_pk_fma_f32 v[2:3], v[2:3], v[10:11], v[4:5] op_sel_hi:[1,0,1]
	v_mov_b32_e32 v79, v17
	v_fmac_f32_e32 v63, v73, v8
	v_fmac_f32_e32 v65, v73, v10
	v_add_f32_e32 v2, v32, v89
	v_add_f32_e32 v4, v34, v80
	;; [unrolled: 1-line block ×6, first 2 shown]
	v_mov_b32_e32 v13, v15
	v_mov_b32_e32 v57, v1
	v_pk_add_f32 v[0:1], v[20:21], v[78:79]
	v_mov_b32_e32 v19, v43
	v_mov_b32_e32 v7, v3
	v_add_f32_e32 v2, v2, v82
	v_add_f32_e32 v3, v4, v83
	v_add_f32_e32 v4, v5, v84
	v_add_f32_e32 v5, v8, v85
	v_add_f32_e32 v8, v10, v74
	v_add_f32_e32 v10, v11, v88
	v_pk_add_f32 v[0:1], v[0:1], v[12:13]
	v_mov_b32_e32 v47, v45
	v_add_f32_e32 v2, v2, v77
	v_add_f32_e32 v3, v3, v91
	v_add_f32_e32 v4, v4, v92
	v_add_f32_e32 v5, v5, v16
	v_add_f32_e32 v8, v8, v96
	v_add_f32_e32 v10, v10, v76
	v_pk_add_f32 v[0:1], v[0:1], v[18:19]
	;; [unrolled: 8-line block ×4, first 2 shown]
	v_add_f32_e32 v2, v2, v67
	v_add_f32_e32 v3, v3, v98
	v_add_f32_e32 v4, v4, v68
	v_add_f32_e32 v5, v5, v99
	v_add_f32_e32 v8, v8, v50
	v_add_f32_e32 v10, v10, v59
	v_pk_add_f32 v[0:1], v[0:1], v[52:53]
	v_add_f32_e32 v2, v2, v54
	v_add_f32_e32 v3, v3, v58
	v_add_f32_e32 v4, v4, v60
	v_add_f32_e32 v5, v5, v61
	v_add_f32_e32 v8, v8, v70
	v_add_f32_e32 v10, v10, v71
	v_pk_add_f32 v[0:1], v[0:1], v[56:57]
	;; [unrolled: 7-line block ×3, first 2 shown]
	s_barrier
	s_cbranch_vccnz .LBB247_2
.LBB247_3:
	s_lshl_b64 s[8:9], s[38:39], 3
	s_waitcnt lgkmcnt(0)
	s_add_u32 s4, s4, s8
	s_addc_u32 s5, s5, s9
	s_or_b32 s8, s6, s7
	s_bitset0_b32 s8, 31
	v_lshl_add_u64 v[0:1], s[24:25], 0, v[26:27]
	s_cmp_lg_u32 s8, 0
	v_lshl_add_u64 v[2:3], s[2:3], 0, v[24:25]
	s_mov_b32 s2, s11
	s_mov_b32 s3, s10
	s_cbranch_scc1 .LBB247_5
; %bb.4:
	v_mul_lo_u32 v6, v1, s36
	v_mul_lo_u32 v7, v0, s37
	v_mad_u64_u32 v[4:5], s[8:9], v0, s36, 0
	v_add3_u32 v5, v5, v7, v6
	v_pk_mul_f32 v[10:11], v[34:35], s[2:3] op_sel_hi:[0,1]
	v_lshl_add_u64 v[4:5], v[4:5], 3, s[4:5]
	v_lshlrev_b64 v[6:7], 3, v[2:3]
	v_pk_fma_f32 v[12:13], v[32:33], s[2:3], v[10:11] op_sel:[0,1,0] op_sel_hi:[1,0,1] neg_lo:[0,0,1] neg_hi:[0,0,1]
	v_pk_fma_f32 v[10:11], v[32:33], s[2:3], v[10:11] op_sel:[0,1,0] op_sel_hi:[0,0,1]
	v_lshl_add_u64 v[8:9], v[4:5], 0, v[6:7]
	v_mov_b32_e32 v13, v11
	v_pk_mul_f32 v[10:11], v[30:31], s[2:3] op_sel_hi:[0,1]
	flat_store_dwordx2 v[8:9], v[12:13]
	v_pk_fma_f32 v[12:13], v[28:29], s[2:3], v[10:11] op_sel:[0,1,0] op_sel_hi:[1,0,1] neg_lo:[0,0,1] neg_hi:[0,0,1]
	v_pk_fma_f32 v[10:11], v[28:29], s[2:3], v[10:11] op_sel:[0,1,0] op_sel_hi:[0,0,1]
	s_lshl_b64 s[8:9], s[36:37], 7
	v_mov_b32_e32 v13, v11
	v_lshl_add_u64 v[4:5], v[4:5], 0, s[8:9]
	flat_store_dwordx2 v[8:9], v[12:13] offset:128
	v_lshl_add_u64 v[8:9], v[4:5], 0, v[6:7]
	v_mov_b32_e32 v4, v23
	v_pk_mul_f32 v[4:5], v[4:5], s[2:3] op_sel_hi:[0,1]
	v_pk_fma_f32 v[6:7], v[22:23], s[2:3], v[4:5] op_sel:[0,1,0] op_sel_hi:[1,0,1] neg_lo:[0,0,1] neg_hi:[0,0,1]
	v_pk_fma_f32 v[4:5], v[22:23], s[2:3], v[4:5] op_sel:[0,1,0] op_sel_hi:[0,0,1]
	v_mov_b32_e32 v7, v5
	v_mul_f32_e32 v4, s3, v20
	flat_store_dwordx2 v[8:9], v[6:7]
	v_fma_f32 v7, -v21, s2, v4
	v_pk_mul_f32 v[4:5], v[20:21], s[2:3]
	s_mov_b64 s[8:9], 0x80
	v_add_f32_e32 v6, v4, v5
	v_lshl_add_u64 v[4:5], v[8:9], 0, s[8:9]
	flat_store_dword v[8:9], v7 offset:128
	s_cbranch_execz .LBB247_6
	s_branch .LBB247_7
.LBB247_5:
                                        ; implicit-def: $vgpr6
                                        ; implicit-def: $vgpr4_vgpr5
.LBB247_6:
	s_lshl_b64 s[8:9], s[28:29], 3
	s_add_u32 s0, s0, s8
	s_addc_u32 s1, s1, s9
	v_mul_lo_u32 v6, v1, s26
	v_mul_lo_u32 v7, v0, s27
	v_mad_u64_u32 v[4:5], s[8:9], v0, s26, 0
	v_add3_u32 v5, v5, v7, v6
	v_lshl_add_u64 v[4:5], v[4:5], 3, s[0:1]
	v_lshlrev_b64 v[2:3], 3, v[2:3]
	v_lshl_add_u64 v[6:7], v[4:5], 0, v[2:3]
	flat_load_dwordx2 v[8:9], v[6:7]
	v_mul_lo_u32 v12, v1, s36
	v_mul_lo_u32 v13, v0, s37
	v_mad_u64_u32 v[0:1], s[0:1], v0, s36, 0
	s_mov_b32 s0, s7
	v_pk_mul_f32 v[10:11], v[34:35], s[2:3] op_sel_hi:[0,1]
	v_add3_u32 v1, v1, v13, v12
	v_pk_fma_f32 v[12:13], v[32:33], s[2:3], v[10:11] op_sel:[0,1,0] op_sel_hi:[1,0,1] neg_lo:[0,0,1] neg_hi:[0,0,1]
	v_pk_fma_f32 v[10:11], v[32:33], s[2:3], v[10:11] op_sel:[0,1,0] op_sel_hi:[0,0,1]
	v_lshl_add_u64 v[0:1], v[0:1], 3, s[4:5]
	v_mov_b32_e32 v13, v11
	v_lshl_add_u64 v[10:11], v[0:1], 0, v[2:3]
	s_lshl_b64 s[4:5], s[26:27], 7
	v_lshl_add_u64 v[4:5], v[4:5], 0, s[4:5]
	v_lshl_add_u64 v[4:5], v[4:5], 0, v[2:3]
	s_lshl_b64 s[4:5], s[36:37], 7
	v_lshl_add_u64 v[0:1], v[0:1], 0, s[4:5]
	v_lshl_add_u64 v[0:1], v[0:1], 0, v[2:3]
	s_mov_b32 s11, s6
	s_waitcnt vmcnt(0) lgkmcnt(0)
	v_pk_mul_f32 v[14:15], v[8:9], s[0:1] op_sel_hi:[1,0]
	s_nop 0
	v_pk_fma_f32 v[16:17], v[8:9], s[6:7], v[14:15] op_sel:[0,0,1] op_sel_hi:[1,1,0] neg_lo:[0,0,1] neg_hi:[0,0,1]
	v_pk_fma_f32 v[8:9], v[8:9], s[6:7], v[14:15] op_sel:[0,0,1] op_sel_hi:[1,0,0]
	s_nop 0
	v_mov_b32_e32 v17, v9
	v_pk_add_f32 v[8:9], v[12:13], v[16:17]
	flat_store_dwordx2 v[10:11], v[8:9]
	flat_load_dwordx2 v[6:7], v[6:7] offset:128
	v_pk_mul_f32 v[8:9], v[30:31], s[2:3] op_sel_hi:[0,1]
	v_pk_fma_f32 v[12:13], v[28:29], s[2:3], v[8:9] op_sel:[0,1,0] op_sel_hi:[1,0,1] neg_lo:[0,0,1] neg_hi:[0,0,1]
	v_pk_fma_f32 v[8:9], v[28:29], s[2:3], v[8:9] op_sel:[0,1,0] op_sel_hi:[0,0,1]
	v_mov_b32_e32 v13, v9
	s_waitcnt vmcnt(0) lgkmcnt(0)
	v_pk_mul_f32 v[8:9], v[6:7], s[0:1] op_sel_hi:[1,0]
	s_nop 0
	v_pk_fma_f32 v[14:15], v[6:7], s[6:7], v[8:9] op_sel:[0,0,1] op_sel_hi:[1,1,0] neg_lo:[0,0,1] neg_hi:[0,0,1]
	v_pk_fma_f32 v[6:7], v[6:7], s[6:7], v[8:9] op_sel:[0,0,1] op_sel_hi:[1,0,0]
	v_mov_b32_e32 v8, v23
	v_mov_b32_e32 v15, v7
	v_pk_add_f32 v[6:7], v[12:13], v[14:15]
	flat_store_dwordx2 v[10:11], v[6:7] offset:128
	flat_load_dwordx2 v[6:7], v[4:5]
	v_pk_mul_f32 v[8:9], v[8:9], s[2:3] op_sel_hi:[0,1]
	v_pk_fma_f32 v[10:11], v[22:23], s[2:3], v[8:9] op_sel:[0,1,0] op_sel_hi:[1,0,1] neg_lo:[0,0,1] neg_hi:[0,0,1]
	v_pk_fma_f32 v[8:9], v[22:23], s[2:3], v[8:9] op_sel:[0,1,0] op_sel_hi:[0,0,1]
	v_mov_b32_e32 v11, v9
	s_waitcnt vmcnt(0) lgkmcnt(0)
	v_pk_mul_f32 v[2:3], v[6:7], s[0:1] op_sel_hi:[1,0]
	s_nop 0
	v_pk_fma_f32 v[8:9], v[6:7], s[6:7], v[2:3] op_sel:[0,0,1] op_sel_hi:[1,1,0] neg_lo:[0,0,1] neg_hi:[0,0,1]
	v_pk_fma_f32 v[2:3], v[6:7], s[6:7], v[2:3] op_sel:[0,0,1] op_sel_hi:[1,0,0]
	v_mov_b32_e32 v6, v20
	v_mov_b32_e32 v9, v3
	v_pk_add_f32 v[2:3], v[10:11], v[8:9]
	flat_store_dwordx2 v[0:1], v[2:3]
	flat_load_dwordx2 v[2:3], v[4:5] offset:128
	v_mul_f32_e32 v4, s3, v20
	s_mov_b32 s3, s7
	s_mov_b64 s[0:1], 0x80
	v_fma_f32 v8, -v21, s2, v4
	v_lshl_add_u64 v[4:5], v[0:1], 0, s[0:1]
	s_waitcnt vmcnt(0) lgkmcnt(0)
	v_mul_f32_e32 v9, s7, v3
	v_mov_b32_e32 v7, v2
	v_fma_f32 v9, v2, s6, -v9
	v_mov_b32_e32 v2, v21
	v_pk_mul_f32 v[2:3], v[2:3], s[10:11]
	v_add_f32_e32 v8, v8, v9
	v_pk_fma_f32 v[2:3], v[6:7], s[2:3], v[2:3]
	flat_store_dword v[0:1], v8 offset:128
	v_add_f32_e32 v6, v2, v3
.LBB247_7:
	flat_store_dword v[4:5], v6 offset:4
	s_endpgm
	.section	.rodata,"a",@progbits
	.p2align	6, 0x0
	.amdhsa_kernel _ZN12_GLOBAL__N_127rocblas_gemm_batched_kernelI19rocblas_complex_numIfELi16ELi16ELi32ELi32ELi8ELi32ELi8ELi8ELi32ELc67ELc67EKPKS2_S5_KPS2_EEvlllT_PT11_llSA_llS8_PT12_llPT13_lli
		.amdhsa_group_segment_fixed_size 4096
		.amdhsa_private_segment_fixed_size 0
		.amdhsa_kernarg_size 140
		.amdhsa_user_sgpr_count 2
		.amdhsa_user_sgpr_dispatch_ptr 0
		.amdhsa_user_sgpr_queue_ptr 0
		.amdhsa_user_sgpr_kernarg_segment_ptr 1
		.amdhsa_user_sgpr_dispatch_id 0
		.amdhsa_user_sgpr_kernarg_preload_length 0
		.amdhsa_user_sgpr_kernarg_preload_offset 0
		.amdhsa_user_sgpr_private_segment_size 0
		.amdhsa_uses_dynamic_stack 0
		.amdhsa_enable_private_segment 0
		.amdhsa_system_sgpr_workgroup_id_x 1
		.amdhsa_system_sgpr_workgroup_id_y 1
		.amdhsa_system_sgpr_workgroup_id_z 1
		.amdhsa_system_sgpr_workgroup_info 0
		.amdhsa_system_vgpr_workitem_id 1
		.amdhsa_next_free_vgpr 102
		.amdhsa_next_free_sgpr 42
		.amdhsa_accum_offset 104
		.amdhsa_reserve_vcc 1
		.amdhsa_float_round_mode_32 0
		.amdhsa_float_round_mode_16_64 0
		.amdhsa_float_denorm_mode_32 3
		.amdhsa_float_denorm_mode_16_64 3
		.amdhsa_dx10_clamp 1
		.amdhsa_ieee_mode 1
		.amdhsa_fp16_overflow 0
		.amdhsa_tg_split 0
		.amdhsa_exception_fp_ieee_invalid_op 0
		.amdhsa_exception_fp_denorm_src 0
		.amdhsa_exception_fp_ieee_div_zero 0
		.amdhsa_exception_fp_ieee_overflow 0
		.amdhsa_exception_fp_ieee_underflow 0
		.amdhsa_exception_fp_ieee_inexact 0
		.amdhsa_exception_int_div_zero 0
	.end_amdhsa_kernel
	.section	.text._ZN12_GLOBAL__N_127rocblas_gemm_batched_kernelI19rocblas_complex_numIfELi16ELi16ELi32ELi32ELi8ELi32ELi8ELi8ELi32ELc67ELc67EKPKS2_S5_KPS2_EEvlllT_PT11_llSA_llS8_PT12_llPT13_lli,"axG",@progbits,_ZN12_GLOBAL__N_127rocblas_gemm_batched_kernelI19rocblas_complex_numIfELi16ELi16ELi32ELi32ELi8ELi32ELi8ELi8ELi32ELc67ELc67EKPKS2_S5_KPS2_EEvlllT_PT11_llSA_llS8_PT12_llPT13_lli,comdat
.Lfunc_end247:
	.size	_ZN12_GLOBAL__N_127rocblas_gemm_batched_kernelI19rocblas_complex_numIfELi16ELi16ELi32ELi32ELi8ELi32ELi8ELi8ELi32ELc67ELc67EKPKS2_S5_KPS2_EEvlllT_PT11_llSA_llS8_PT12_llPT13_lli, .Lfunc_end247-_ZN12_GLOBAL__N_127rocblas_gemm_batched_kernelI19rocblas_complex_numIfELi16ELi16ELi32ELi32ELi8ELi32ELi8ELi8ELi32ELc67ELc67EKPKS2_S5_KPS2_EEvlllT_PT11_llSA_llS8_PT12_llPT13_lli
                                        ; -- End function
	.set _ZN12_GLOBAL__N_127rocblas_gemm_batched_kernelI19rocblas_complex_numIfELi16ELi16ELi32ELi32ELi8ELi32ELi8ELi8ELi32ELc67ELc67EKPKS2_S5_KPS2_EEvlllT_PT11_llSA_llS8_PT12_llPT13_lli.num_vgpr, 102
	.set _ZN12_GLOBAL__N_127rocblas_gemm_batched_kernelI19rocblas_complex_numIfELi16ELi16ELi32ELi32ELi8ELi32ELi8ELi8ELi32ELc67ELc67EKPKS2_S5_KPS2_EEvlllT_PT11_llSA_llS8_PT12_llPT13_lli.num_agpr, 0
	.set _ZN12_GLOBAL__N_127rocblas_gemm_batched_kernelI19rocblas_complex_numIfELi16ELi16ELi32ELi32ELi8ELi32ELi8ELi8ELi32ELc67ELc67EKPKS2_S5_KPS2_EEvlllT_PT11_llSA_llS8_PT12_llPT13_lli.numbered_sgpr, 42
	.set _ZN12_GLOBAL__N_127rocblas_gemm_batched_kernelI19rocblas_complex_numIfELi16ELi16ELi32ELi32ELi8ELi32ELi8ELi8ELi32ELc67ELc67EKPKS2_S5_KPS2_EEvlllT_PT11_llSA_llS8_PT12_llPT13_lli.num_named_barrier, 0
	.set _ZN12_GLOBAL__N_127rocblas_gemm_batched_kernelI19rocblas_complex_numIfELi16ELi16ELi32ELi32ELi8ELi32ELi8ELi8ELi32ELc67ELc67EKPKS2_S5_KPS2_EEvlllT_PT11_llSA_llS8_PT12_llPT13_lli.private_seg_size, 0
	.set _ZN12_GLOBAL__N_127rocblas_gemm_batched_kernelI19rocblas_complex_numIfELi16ELi16ELi32ELi32ELi8ELi32ELi8ELi8ELi32ELc67ELc67EKPKS2_S5_KPS2_EEvlllT_PT11_llSA_llS8_PT12_llPT13_lli.uses_vcc, 1
	.set _ZN12_GLOBAL__N_127rocblas_gemm_batched_kernelI19rocblas_complex_numIfELi16ELi16ELi32ELi32ELi8ELi32ELi8ELi8ELi32ELc67ELc67EKPKS2_S5_KPS2_EEvlllT_PT11_llSA_llS8_PT12_llPT13_lli.uses_flat_scratch, 0
	.set _ZN12_GLOBAL__N_127rocblas_gemm_batched_kernelI19rocblas_complex_numIfELi16ELi16ELi32ELi32ELi8ELi32ELi8ELi8ELi32ELc67ELc67EKPKS2_S5_KPS2_EEvlllT_PT11_llSA_llS8_PT12_llPT13_lli.has_dyn_sized_stack, 0
	.set _ZN12_GLOBAL__N_127rocblas_gemm_batched_kernelI19rocblas_complex_numIfELi16ELi16ELi32ELi32ELi8ELi32ELi8ELi8ELi32ELc67ELc67EKPKS2_S5_KPS2_EEvlllT_PT11_llSA_llS8_PT12_llPT13_lli.has_recursion, 0
	.set _ZN12_GLOBAL__N_127rocblas_gemm_batched_kernelI19rocblas_complex_numIfELi16ELi16ELi32ELi32ELi8ELi32ELi8ELi8ELi32ELc67ELc67EKPKS2_S5_KPS2_EEvlllT_PT11_llSA_llS8_PT12_llPT13_lli.has_indirect_call, 0
	.section	.AMDGPU.csdata,"",@progbits
; Kernel info:
; codeLenInByte = 2524
; TotalNumSgprs: 48
; NumVgprs: 102
; NumAgprs: 0
; TotalNumVgprs: 102
; ScratchSize: 0
; MemoryBound: 0
; FloatMode: 240
; IeeeMode: 1
; LDSByteSize: 4096 bytes/workgroup (compile time only)
; SGPRBlocks: 5
; VGPRBlocks: 12
; NumSGPRsForWavesPerEU: 48
; NumVGPRsForWavesPerEU: 102
; AccumOffset: 104
; Occupancy: 4
; WaveLimiterHint : 1
; COMPUTE_PGM_RSRC2:SCRATCH_EN: 0
; COMPUTE_PGM_RSRC2:USER_SGPR: 2
; COMPUTE_PGM_RSRC2:TRAP_HANDLER: 0
; COMPUTE_PGM_RSRC2:TGID_X_EN: 1
; COMPUTE_PGM_RSRC2:TGID_Y_EN: 1
; COMPUTE_PGM_RSRC2:TGID_Z_EN: 1
; COMPUTE_PGM_RSRC2:TIDIG_COMP_CNT: 1
; COMPUTE_PGM_RSRC3_GFX90A:ACCUM_OFFSET: 25
; COMPUTE_PGM_RSRC3_GFX90A:TG_SPLIT: 0
	.section	.text._ZN12_GLOBAL__N_127rocblas_gemm_batched_kernelI19rocblas_complex_numIfELi16ELi16ELi32ELi32ELi8ELi32ELi8ELi8ELi32ELc67ELc78EKPKS2_S5_KPS2_EEvlllT_PT11_llSA_llS8_PT12_llPT13_lli,"axG",@progbits,_ZN12_GLOBAL__N_127rocblas_gemm_batched_kernelI19rocblas_complex_numIfELi16ELi16ELi32ELi32ELi8ELi32ELi8ELi8ELi32ELc67ELc78EKPKS2_S5_KPS2_EEvlllT_PT11_llSA_llS8_PT12_llPT13_lli,comdat
	.globl	_ZN12_GLOBAL__N_127rocblas_gemm_batched_kernelI19rocblas_complex_numIfELi16ELi16ELi32ELi32ELi8ELi32ELi8ELi8ELi32ELc67ELc78EKPKS2_S5_KPS2_EEvlllT_PT11_llSA_llS8_PT12_llPT13_lli ; -- Begin function _ZN12_GLOBAL__N_127rocblas_gemm_batched_kernelI19rocblas_complex_numIfELi16ELi16ELi32ELi32ELi8ELi32ELi8ELi8ELi32ELc67ELc78EKPKS2_S5_KPS2_EEvlllT_PT11_llSA_llS8_PT12_llPT13_lli
	.p2align	8
	.type	_ZN12_GLOBAL__N_127rocblas_gemm_batched_kernelI19rocblas_complex_numIfELi16ELi16ELi32ELi32ELi8ELi32ELi8ELi8ELi32ELc67ELc78EKPKS2_S5_KPS2_EEvlllT_PT11_llSA_llS8_PT12_llPT13_lli,@function
_ZN12_GLOBAL__N_127rocblas_gemm_batched_kernelI19rocblas_complex_numIfELi16ELi16ELi32ELi32ELi8ELi32ELi8ELi8ELi32ELc67ELc78EKPKS2_S5_KPS2_EEvlllT_PT11_llSA_llS8_PT12_llPT13_lli: ; @_ZN12_GLOBAL__N_127rocblas_gemm_batched_kernelI19rocblas_complex_numIfELi16ELi16ELi32ELi32ELi8ELi32ELi8ELi8ELi32ELc67ELc78EKPKS2_S5_KPS2_EEvlllT_PT11_llSA_llS8_PT12_llPT13_lli
; %bb.0:
	s_load_dwordx16 s[8:23], s[0:1], 0x10
	s_load_dwordx4 s[36:39], s[0:1], 0x78
	s_load_dwordx8 s[24:31], s[0:1], 0x58
	s_load_dwordx2 s[6:7], s[0:1], 0x50
	s_mov_b32 s5, 0
	s_lshl_b64 s[34:35], s[4:5], 3
	s_mov_b32 s40, s3
	s_waitcnt lgkmcnt(0)
	s_add_u32 s0, s24, s34
	s_addc_u32 s1, s25, s35
	s_add_u32 s4, s30, s34
	s_addc_u32 s5, s31, s35
	s_load_dwordx2 s[0:1], s[0:1], 0x0
	v_mov_b32_e32 v27, 0
	s_load_dwordx2 s[4:5], s[4:5], 0x0
	s_ashr_i32 s3, s2, 31
	s_ashr_i32 s41, s40, 31
	v_cmp_lt_i64_e64 s[30:31], s[8:9], 1
	v_bfe_u32 v26, v0, 10, 10
	v_and_b32_e32 v24, 0x3ff, v0
	v_mov_b32_e32 v25, v27
	s_lshl_b64 s[2:3], s[2:3], 5
	s_lshl_b64 s[24:25], s[40:41], 5
	s_and_b64 vcc, exec, s[30:31]
	v_mov_b32_e32 v21, v27
	v_mov_b32_e32 v20, v27
	;; [unrolled: 1-line block ×8, first 2 shown]
	s_cbranch_vccnz .LBB248_3
; %bb.1:
	v_lshl_add_u32 v4, v26, 4, v24
	v_and_b32_e32 v2, 31, v4
	v_lshrrev_b32_e32 v22, 3, v4
	v_and_b32_e32 v5, 7, v24
	v_lshrrev_b32_e32 v6, 5, v4
	v_lshlrev_b32_e32 v4, 3, v2
	s_add_u32 s12, s12, s34
	v_mov_b32_e32 v23, 0
	v_lshl_or_b32 v29, v6, 8, v4
	v_lshlrev_b32_e32 v4, 3, v5
	s_addc_u32 s13, s13, s35
	v_mov_b32_e32 v3, v23
	v_lshl_or_b32 v5, v22, 6, v4
	s_load_dwordx2 s[12:13], s[12:13], 0x0
	v_add_u32_e32 v31, 0x800, v5
	v_mov_b32_e32 v5, 0x800
	v_lshl_add_u64 v[2:3], s[2:3], 0, v[2:3]
	s_add_u32 s18, s18, s34
	v_lshl_add_u32 v35, v26, 6, v5
	v_mul_lo_u32 v5, s15, v2
	v_mul_lo_u32 v7, s14, v3
	v_mad_u64_u32 v[2:3], s[14:15], s14, v2, 0
	s_addc_u32 s19, s19, s35
	v_add3_u32 v3, v3, v7, v5
	s_lshl_b64 s[14:15], s[16:17], 3
	v_lshl_add_u64 v[0:1], v[22:23], 0, s[24:25]
	v_lshl_add_u64 v[2:3], v[2:3], 3, s[14:15]
	v_lshlrev_b32_e32 v22, 3, v6
	s_load_dwordx2 s[18:19], s[18:19], 0x0
	v_lshl_add_u64 v[2:3], v[2:3], 0, v[22:23]
	s_waitcnt lgkmcnt(0)
	v_lshl_add_u64 v[36:37], s[12:13], 0, v[2:3]
	v_mul_lo_u32 v2, s21, v0
	v_mul_lo_u32 v3, s20, v1
	v_mad_u64_u32 v[0:1], s[12:13], s20, v0, 0
	v_add3_u32 v1, v1, v3, v2
	s_lshl_b64 s[12:13], s[22:23], 3
	v_lshl_add_u64 v[0:1], v[0:1], 3, s[12:13]
	v_mov_b32_e32 v5, v23
	v_lshl_add_u64 v[0:1], v[0:1], 0, v[4:5]
	v_lshlrev_b32_e32 v33, 3, v24
	v_lshl_add_u64 v[38:39], s[18:19], 0, v[0:1]
	s_mov_b64 s[12:13], 0
	v_mov_b64_e32 v[40:41], s[8:9]
	v_mov_b32_e32 v22, v23
	v_mov_b32_e32 v30, v23
	;; [unrolled: 1-line block ×7, first 2 shown]
.LBB248_2:                              ; =>This Inner Loop Header: Depth=1
	flat_load_dwordx2 v[0:1], v[36:37]
	s_add_u32 s12, s12, 8
	s_addc_u32 s13, s13, 0
	v_cmp_lt_i64_e32 vcc, s[12:13], v[40:41]
	v_lshl_add_u64 v[36:37], v[36:37], 0, 64
	s_and_b64 vcc, exec, vcc
	s_waitcnt vmcnt(0) lgkmcnt(0)
	v_xor_b32_e32 v1, 0x80000000, v1
	ds_write_b64 v29, v[0:1]
	flat_load_dwordx2 v[0:1], v[38:39]
	v_lshl_add_u64 v[38:39], v[38:39], 0, 64
	s_waitcnt vmcnt(0) lgkmcnt(0)
	ds_write_b64 v31, v[0:1]
	s_waitcnt lgkmcnt(0)
	s_barrier
	ds_read2_b64 v[4:7], v33 offset1:16
	ds_read_b128 v[8:11], v35
	ds_read_b128 v[0:3], v35 offset:16
	ds_read2_b64 v[12:15], v33 offset0:32 offset1:48
	ds_read_b128 v[16:19], v35 offset:1024
	ds_read_b128 v[42:45], v35 offset:1040
	ds_read2_b64 v[46:49], v33 offset0:64 offset1:80
	ds_read2_b64 v[50:53], v33 offset0:96 offset1:112
	;; [unrolled: 1-line block ×4, first 2 shown]
	ds_read_b128 v[62:65], v35 offset:1056
	ds_read_b128 v[66:69], v35 offset:32
	;; [unrolled: 1-line block ×3, first 2 shown]
	s_waitcnt lgkmcnt(11)
	v_mul_f32_e32 v78, v9, v5
	v_mul_f32_e32 v80, v8, v5
	;; [unrolled: 1-line block ×4, first 2 shown]
	s_waitcnt lgkmcnt(9)
	v_mul_f32_e32 v82, v11, v13
	v_mul_f32_e32 v83, v10, v13
	;; [unrolled: 1-line block ×4, first 2 shown]
	s_waitcnt lgkmcnt(8)
	v_mul_f32_e32 v86, v17, v5
	v_mul_f32_e32 v87, v16, v5
	v_pk_mul_f32 v[74:75], v[16:17], v[6:7] op_sel:[1,1] op_sel_hi:[0,1]
	v_mul_f32_e32 v5, v19, v13
	v_mul_f32_e32 v88, v18, v13
	v_pk_mul_f32 v[76:77], v[18:19], v[14:15] op_sel:[1,1] op_sel_hi:[0,1]
	v_fma_f32 v89, v8, v4, -v78
	v_fmac_f32_e32 v80, v9, v4
	v_fma_f32 v90, v8, v6, -v79
	v_fmac_f32_e32 v81, v9, v6
	;; [unrolled: 2-line block ×5, first 2 shown]
	v_pk_fma_f32 v[78:79], v[16:17], v[6:7], v[74:75] neg_lo:[0,0,1] neg_hi:[0,0,1]
	v_pk_fma_f32 v[16:17], v[16:17], v[6:7], v[74:75] op_sel_hi:[1,0,1]
	v_fma_f32 v74, v18, v12, -v5
	v_fmac_f32_e32 v88, v19, v12
	v_pk_fma_f32 v[12:13], v[18:19], v[14:15], v[76:77] neg_lo:[0,0,1] neg_hi:[0,0,1]
	v_pk_fma_f32 v[14:15], v[18:19], v[14:15], v[76:77] op_sel_hi:[1,0,1]
	s_waitcnt lgkmcnt(5)
	v_mul_f32_e32 v7, v3, v51
	v_mul_f32_e32 v9, v3, v53
	;; [unrolled: 1-line block ×4, first 2 shown]
	v_pk_mul_f32 v[4:5], v[42:43], v[48:49] op_sel:[1,1] op_sel_hi:[0,1]
	v_mul_f32_e32 v8, v1, v47
	v_mul_f32_e32 v91, v0, v47
	;; [unrolled: 1-line block ×6, first 2 shown]
	v_fma_f32 v93, v2, v50, -v7
	v_fma_f32 v94, v2, v52, -v9
	v_mul_f32_e32 v2, v45, v51
	v_fma_f32 v96, v42, v46, -v10
	v_fmac_f32_e32 v76, v43, v46
	v_pk_fma_f32 v[18:19], v[42:43], v[48:49], v[4:5] neg_lo:[0,0,1] neg_hi:[0,0,1]
	v_pk_fma_f32 v[42:43], v[42:43], v[48:49], v[4:5] op_sel_hi:[1,0,1]
	s_waitcnt lgkmcnt(1)
	v_mul_f32_e32 v98, v68, v59
	v_mul_f32_e32 v99, v68, v61
	;; [unrolled: 1-line block ×3, first 2 shown]
	v_fma_f32 v77, v0, v46, -v8
	v_fmac_f32_e32 v91, v1, v46
	v_fma_f32 v92, v0, v48, -v6
	v_fmac_f32_e32 v16, v1, v48
	v_fmac_f32_e32 v14, v3, v50
	;; [unrolled: 1-line block ×3, first 2 shown]
	v_mul_f32_e32 v95, v44, v51
	v_pk_mul_f32 v[0:1], v[44:45], v[52:53] op_sel:[1,1] op_sel_hi:[0,1]
	v_fma_f32 v42, v44, v50, -v2
	v_mul_f32_e32 v2, v69, v59
	v_mul_f32_e32 v3, v69, v61
	v_fmac_f32_e32 v98, v69, v58
	v_fmac_f32_e32 v99, v69, v60
	v_fma_f32 v69, v62, v54, -v4
	v_pk_mul_f32 v[4:5], v[62:63], v[56:57] op_sel:[1,1] op_sel_hi:[0,1]
	v_fmac_f32_e32 v95, v45, v50
	v_pk_fma_f32 v[46:47], v[44:45], v[52:53], v[0:1] neg_lo:[0,0,1] neg_hi:[0,0,1]
	v_pk_fma_f32 v[44:45], v[44:45], v[52:53], v[0:1] op_sel_hi:[1,0,1]
	v_pk_fma_f32 v[48:49], v[62:63], v[56:57], v[4:5] neg_lo:[0,0,1] neg_hi:[0,0,1]
	v_pk_fma_f32 v[50:51], v[62:63], v[56:57], v[4:5] op_sel_hi:[1,0,1]
	v_mul_f32_e32 v4, v65, v59
	v_mul_f32_e32 v0, v67, v55
	;; [unrolled: 1-line block ×4, first 2 shown]
	v_fma_f32 v50, v64, v58, -v4
	v_pk_mul_f32 v[4:5], v[64:65], v[60:61] op_sel:[1,1] op_sel_hi:[0,1]
	v_fma_f32 v100, v66, v54, -v0
	v_fmac_f32_e32 v44, v67, v54
	v_fmac_f32_e32 v101, v63, v54
	v_pk_fma_f32 v[52:53], v[64:65], v[60:61], v[4:5] neg_lo:[0,0,1] neg_hi:[0,0,1]
	v_pk_fma_f32 v[54:55], v[64:65], v[60:61], v[4:5] op_sel_hi:[1,0,1]
	ds_read2_b64 v[4:7], v33 offset0:192 offset1:208
	v_mul_f32_e32 v97, v66, v57
	v_mul_f32_e32 v1, v67, v57
	v_fmac_f32_e32 v97, v67, v56
	v_fma_f32 v67, v68, v58, -v2
	s_waitcnt lgkmcnt(0)
	v_mul_f32_e32 v8, v71, v5
	v_fma_f32 v54, v70, v4, -v8
	v_mul_f32_e32 v8, v71, v7
	v_fma_f32 v68, v68, v60, -v3
	v_fma_f32 v60, v70, v6, -v8
	ds_read2_b64 v[8:11], v33 offset0:224 offset1:240
	v_fma_f32 v66, v66, v56, -v1
	ds_read_b128 v[0:3], v35 offset:1072
	v_mul_f32_e32 v59, v64, v59
	v_fmac_f32_e32 v59, v65, v58
	s_waitcnt lgkmcnt(1)
	v_mul_f32_e32 v13, v73, v9
	v_mul_f32_e32 v58, v70, v5
	;; [unrolled: 1-line block ×3, first 2 shown]
	v_fma_f32 v62, v72, v8, -v13
	v_mul_f32_e32 v13, v73, v11
	v_fmac_f32_e32 v58, v71, v4
	v_fmac_f32_e32 v61, v71, v6
	v_fma_f32 v64, v72, v10, -v13
	s_waitcnt lgkmcnt(0)
	v_mul_f32_e32 v13, v1, v5
	v_mul_f32_e32 v71, v0, v5
	v_fma_f32 v70, v0, v4, -v13
	v_fmac_f32_e32 v71, v1, v4
	v_pk_mul_f32 v[4:5], v[0:1], v[6:7] op_sel:[1,1] op_sel_hi:[0,1]
	v_pk_fma_f32 v[56:57], v[0:1], v[6:7], v[4:5] neg_lo:[0,0,1] neg_hi:[0,0,1]
	v_pk_fma_f32 v[0:1], v[0:1], v[6:7], v[4:5] op_sel_hi:[1,0,1]
	v_mul_f32_e32 v63, v72, v9
	v_mul_f32_e32 v0, v3, v9
	v_mul_f32_e32 v9, v2, v9
	v_pk_mul_f32 v[4:5], v[2:3], v[10:11] op_sel:[1,1] op_sel_hi:[0,1]
	v_mul_f32_e32 v65, v72, v11
	v_fma_f32 v72, v2, v8, -v0
	v_fmac_f32_e32 v9, v3, v8
	v_pk_fma_f32 v[6:7], v[2:3], v[10:11], v[4:5] neg_lo:[0,0,1] neg_hi:[0,0,1]
	v_pk_fma_f32 v[2:3], v[2:3], v[10:11], v[4:5] op_sel_hi:[1,0,1]
	v_mov_b32_e32 v79, v17
	v_fmac_f32_e32 v63, v73, v8
	v_fmac_f32_e32 v65, v73, v10
	v_add_f32_e32 v2, v32, v89
	v_add_f32_e32 v4, v34, v80
	;; [unrolled: 1-line block ×6, first 2 shown]
	v_mov_b32_e32 v13, v15
	v_mov_b32_e32 v57, v1
	v_pk_add_f32 v[0:1], v[20:21], v[78:79]
	v_mov_b32_e32 v19, v43
	v_mov_b32_e32 v7, v3
	v_add_f32_e32 v2, v2, v82
	v_add_f32_e32 v3, v4, v83
	v_add_f32_e32 v4, v5, v84
	v_add_f32_e32 v5, v8, v85
	v_add_f32_e32 v8, v10, v74
	v_add_f32_e32 v10, v11, v88
	v_pk_add_f32 v[0:1], v[0:1], v[12:13]
	v_mov_b32_e32 v47, v45
	v_add_f32_e32 v2, v2, v77
	v_add_f32_e32 v3, v3, v91
	v_add_f32_e32 v4, v4, v92
	v_add_f32_e32 v5, v5, v16
	v_add_f32_e32 v8, v8, v96
	v_add_f32_e32 v10, v10, v76
	v_pk_add_f32 v[0:1], v[0:1], v[18:19]
	;; [unrolled: 8-line block ×4, first 2 shown]
	v_add_f32_e32 v2, v2, v67
	v_add_f32_e32 v3, v3, v98
	v_add_f32_e32 v4, v4, v68
	v_add_f32_e32 v5, v5, v99
	v_add_f32_e32 v8, v8, v50
	v_add_f32_e32 v10, v10, v59
	v_pk_add_f32 v[0:1], v[0:1], v[52:53]
	v_add_f32_e32 v2, v2, v54
	v_add_f32_e32 v3, v3, v58
	v_add_f32_e32 v4, v4, v60
	v_add_f32_e32 v5, v5, v61
	v_add_f32_e32 v8, v8, v70
	v_add_f32_e32 v10, v10, v71
	v_pk_add_f32 v[0:1], v[0:1], v[56:57]
	;; [unrolled: 7-line block ×3, first 2 shown]
	s_barrier
	s_cbranch_vccnz .LBB248_2
.LBB248_3:
	s_lshl_b64 s[8:9], s[38:39], 3
	s_waitcnt lgkmcnt(0)
	s_add_u32 s4, s4, s8
	s_addc_u32 s5, s5, s9
	s_or_b32 s8, s6, s7
	s_bitset0_b32 s8, 31
	v_lshl_add_u64 v[0:1], s[24:25], 0, v[26:27]
	s_cmp_lg_u32 s8, 0
	v_lshl_add_u64 v[2:3], s[2:3], 0, v[24:25]
	s_mov_b32 s2, s11
	s_mov_b32 s3, s10
	s_cbranch_scc1 .LBB248_5
; %bb.4:
	v_mul_lo_u32 v6, v1, s36
	v_mul_lo_u32 v7, v0, s37
	v_mad_u64_u32 v[4:5], s[8:9], v0, s36, 0
	v_add3_u32 v5, v5, v7, v6
	v_pk_mul_f32 v[10:11], v[34:35], s[2:3] op_sel_hi:[0,1]
	v_lshl_add_u64 v[4:5], v[4:5], 3, s[4:5]
	v_lshlrev_b64 v[6:7], 3, v[2:3]
	v_pk_fma_f32 v[12:13], v[32:33], s[2:3], v[10:11] op_sel:[0,1,0] op_sel_hi:[1,0,1] neg_lo:[0,0,1] neg_hi:[0,0,1]
	v_pk_fma_f32 v[10:11], v[32:33], s[2:3], v[10:11] op_sel:[0,1,0] op_sel_hi:[0,0,1]
	v_lshl_add_u64 v[8:9], v[4:5], 0, v[6:7]
	v_mov_b32_e32 v13, v11
	v_pk_mul_f32 v[10:11], v[30:31], s[2:3] op_sel_hi:[0,1]
	flat_store_dwordx2 v[8:9], v[12:13]
	v_pk_fma_f32 v[12:13], v[28:29], s[2:3], v[10:11] op_sel:[0,1,0] op_sel_hi:[1,0,1] neg_lo:[0,0,1] neg_hi:[0,0,1]
	v_pk_fma_f32 v[10:11], v[28:29], s[2:3], v[10:11] op_sel:[0,1,0] op_sel_hi:[0,0,1]
	s_lshl_b64 s[8:9], s[36:37], 7
	v_mov_b32_e32 v13, v11
	v_lshl_add_u64 v[4:5], v[4:5], 0, s[8:9]
	flat_store_dwordx2 v[8:9], v[12:13] offset:128
	v_lshl_add_u64 v[8:9], v[4:5], 0, v[6:7]
	v_mov_b32_e32 v4, v23
	v_pk_mul_f32 v[4:5], v[4:5], s[2:3] op_sel_hi:[0,1]
	v_pk_fma_f32 v[6:7], v[22:23], s[2:3], v[4:5] op_sel:[0,1,0] op_sel_hi:[1,0,1] neg_lo:[0,0,1] neg_hi:[0,0,1]
	v_pk_fma_f32 v[4:5], v[22:23], s[2:3], v[4:5] op_sel:[0,1,0] op_sel_hi:[0,0,1]
	v_mov_b32_e32 v7, v5
	v_mul_f32_e32 v4, s3, v20
	flat_store_dwordx2 v[8:9], v[6:7]
	v_fma_f32 v7, -v21, s2, v4
	v_pk_mul_f32 v[4:5], v[20:21], s[2:3]
	s_mov_b64 s[8:9], 0x80
	v_add_f32_e32 v6, v4, v5
	v_lshl_add_u64 v[4:5], v[8:9], 0, s[8:9]
	flat_store_dword v[8:9], v7 offset:128
	s_cbranch_execz .LBB248_6
	s_branch .LBB248_7
.LBB248_5:
                                        ; implicit-def: $vgpr6
                                        ; implicit-def: $vgpr4_vgpr5
.LBB248_6:
	s_lshl_b64 s[8:9], s[28:29], 3
	s_add_u32 s0, s0, s8
	s_addc_u32 s1, s1, s9
	v_mul_lo_u32 v6, v1, s26
	v_mul_lo_u32 v7, v0, s27
	v_mad_u64_u32 v[4:5], s[8:9], v0, s26, 0
	v_add3_u32 v5, v5, v7, v6
	v_lshl_add_u64 v[4:5], v[4:5], 3, s[0:1]
	v_lshlrev_b64 v[2:3], 3, v[2:3]
	v_lshl_add_u64 v[6:7], v[4:5], 0, v[2:3]
	flat_load_dwordx2 v[8:9], v[6:7]
	v_mul_lo_u32 v12, v1, s36
	v_mul_lo_u32 v13, v0, s37
	v_mad_u64_u32 v[0:1], s[0:1], v0, s36, 0
	s_mov_b32 s0, s7
	v_pk_mul_f32 v[10:11], v[34:35], s[2:3] op_sel_hi:[0,1]
	v_add3_u32 v1, v1, v13, v12
	v_pk_fma_f32 v[12:13], v[32:33], s[2:3], v[10:11] op_sel:[0,1,0] op_sel_hi:[1,0,1] neg_lo:[0,0,1] neg_hi:[0,0,1]
	v_pk_fma_f32 v[10:11], v[32:33], s[2:3], v[10:11] op_sel:[0,1,0] op_sel_hi:[0,0,1]
	v_lshl_add_u64 v[0:1], v[0:1], 3, s[4:5]
	v_mov_b32_e32 v13, v11
	v_lshl_add_u64 v[10:11], v[0:1], 0, v[2:3]
	s_lshl_b64 s[4:5], s[26:27], 7
	v_lshl_add_u64 v[4:5], v[4:5], 0, s[4:5]
	v_lshl_add_u64 v[4:5], v[4:5], 0, v[2:3]
	s_lshl_b64 s[4:5], s[36:37], 7
	v_lshl_add_u64 v[0:1], v[0:1], 0, s[4:5]
	v_lshl_add_u64 v[0:1], v[0:1], 0, v[2:3]
	s_mov_b32 s11, s6
	s_waitcnt vmcnt(0) lgkmcnt(0)
	v_pk_mul_f32 v[14:15], v[8:9], s[0:1] op_sel_hi:[1,0]
	s_nop 0
	v_pk_fma_f32 v[16:17], v[8:9], s[6:7], v[14:15] op_sel:[0,0,1] op_sel_hi:[1,1,0] neg_lo:[0,0,1] neg_hi:[0,0,1]
	v_pk_fma_f32 v[8:9], v[8:9], s[6:7], v[14:15] op_sel:[0,0,1] op_sel_hi:[1,0,0]
	s_nop 0
	v_mov_b32_e32 v17, v9
	v_pk_add_f32 v[8:9], v[12:13], v[16:17]
	flat_store_dwordx2 v[10:11], v[8:9]
	flat_load_dwordx2 v[6:7], v[6:7] offset:128
	v_pk_mul_f32 v[8:9], v[30:31], s[2:3] op_sel_hi:[0,1]
	v_pk_fma_f32 v[12:13], v[28:29], s[2:3], v[8:9] op_sel:[0,1,0] op_sel_hi:[1,0,1] neg_lo:[0,0,1] neg_hi:[0,0,1]
	v_pk_fma_f32 v[8:9], v[28:29], s[2:3], v[8:9] op_sel:[0,1,0] op_sel_hi:[0,0,1]
	v_mov_b32_e32 v13, v9
	s_waitcnt vmcnt(0) lgkmcnt(0)
	v_pk_mul_f32 v[8:9], v[6:7], s[0:1] op_sel_hi:[1,0]
	s_nop 0
	v_pk_fma_f32 v[14:15], v[6:7], s[6:7], v[8:9] op_sel:[0,0,1] op_sel_hi:[1,1,0] neg_lo:[0,0,1] neg_hi:[0,0,1]
	v_pk_fma_f32 v[6:7], v[6:7], s[6:7], v[8:9] op_sel:[0,0,1] op_sel_hi:[1,0,0]
	v_mov_b32_e32 v8, v23
	v_mov_b32_e32 v15, v7
	v_pk_add_f32 v[6:7], v[12:13], v[14:15]
	flat_store_dwordx2 v[10:11], v[6:7] offset:128
	flat_load_dwordx2 v[6:7], v[4:5]
	v_pk_mul_f32 v[8:9], v[8:9], s[2:3] op_sel_hi:[0,1]
	v_pk_fma_f32 v[10:11], v[22:23], s[2:3], v[8:9] op_sel:[0,1,0] op_sel_hi:[1,0,1] neg_lo:[0,0,1] neg_hi:[0,0,1]
	v_pk_fma_f32 v[8:9], v[22:23], s[2:3], v[8:9] op_sel:[0,1,0] op_sel_hi:[0,0,1]
	v_mov_b32_e32 v11, v9
	s_waitcnt vmcnt(0) lgkmcnt(0)
	v_pk_mul_f32 v[2:3], v[6:7], s[0:1] op_sel_hi:[1,0]
	s_nop 0
	v_pk_fma_f32 v[8:9], v[6:7], s[6:7], v[2:3] op_sel:[0,0,1] op_sel_hi:[1,1,0] neg_lo:[0,0,1] neg_hi:[0,0,1]
	v_pk_fma_f32 v[2:3], v[6:7], s[6:7], v[2:3] op_sel:[0,0,1] op_sel_hi:[1,0,0]
	v_mov_b32_e32 v6, v20
	v_mov_b32_e32 v9, v3
	v_pk_add_f32 v[2:3], v[10:11], v[8:9]
	flat_store_dwordx2 v[0:1], v[2:3]
	flat_load_dwordx2 v[2:3], v[4:5] offset:128
	v_mul_f32_e32 v4, s3, v20
	s_mov_b32 s3, s7
	s_mov_b64 s[0:1], 0x80
	v_fma_f32 v8, -v21, s2, v4
	v_lshl_add_u64 v[4:5], v[0:1], 0, s[0:1]
	s_waitcnt vmcnt(0) lgkmcnt(0)
	v_mul_f32_e32 v9, s7, v3
	v_mov_b32_e32 v7, v2
	v_fma_f32 v9, v2, s6, -v9
	v_mov_b32_e32 v2, v21
	v_pk_mul_f32 v[2:3], v[2:3], s[10:11]
	v_add_f32_e32 v8, v8, v9
	v_pk_fma_f32 v[2:3], v[6:7], s[2:3], v[2:3]
	flat_store_dword v[0:1], v8 offset:128
	v_add_f32_e32 v6, v2, v3
.LBB248_7:
	flat_store_dword v[4:5], v6 offset:4
	s_endpgm
	.section	.rodata,"a",@progbits
	.p2align	6, 0x0
	.amdhsa_kernel _ZN12_GLOBAL__N_127rocblas_gemm_batched_kernelI19rocblas_complex_numIfELi16ELi16ELi32ELi32ELi8ELi32ELi8ELi8ELi32ELc67ELc78EKPKS2_S5_KPS2_EEvlllT_PT11_llSA_llS8_PT12_llPT13_lli
		.amdhsa_group_segment_fixed_size 4096
		.amdhsa_private_segment_fixed_size 0
		.amdhsa_kernarg_size 140
		.amdhsa_user_sgpr_count 2
		.amdhsa_user_sgpr_dispatch_ptr 0
		.amdhsa_user_sgpr_queue_ptr 0
		.amdhsa_user_sgpr_kernarg_segment_ptr 1
		.amdhsa_user_sgpr_dispatch_id 0
		.amdhsa_user_sgpr_kernarg_preload_length 0
		.amdhsa_user_sgpr_kernarg_preload_offset 0
		.amdhsa_user_sgpr_private_segment_size 0
		.amdhsa_uses_dynamic_stack 0
		.amdhsa_enable_private_segment 0
		.amdhsa_system_sgpr_workgroup_id_x 1
		.amdhsa_system_sgpr_workgroup_id_y 1
		.amdhsa_system_sgpr_workgroup_id_z 1
		.amdhsa_system_sgpr_workgroup_info 0
		.amdhsa_system_vgpr_workitem_id 1
		.amdhsa_next_free_vgpr 102
		.amdhsa_next_free_sgpr 42
		.amdhsa_accum_offset 104
		.amdhsa_reserve_vcc 1
		.amdhsa_float_round_mode_32 0
		.amdhsa_float_round_mode_16_64 0
		.amdhsa_float_denorm_mode_32 3
		.amdhsa_float_denorm_mode_16_64 3
		.amdhsa_dx10_clamp 1
		.amdhsa_ieee_mode 1
		.amdhsa_fp16_overflow 0
		.amdhsa_tg_split 0
		.amdhsa_exception_fp_ieee_invalid_op 0
		.amdhsa_exception_fp_denorm_src 0
		.amdhsa_exception_fp_ieee_div_zero 0
		.amdhsa_exception_fp_ieee_overflow 0
		.amdhsa_exception_fp_ieee_underflow 0
		.amdhsa_exception_fp_ieee_inexact 0
		.amdhsa_exception_int_div_zero 0
	.end_amdhsa_kernel
	.section	.text._ZN12_GLOBAL__N_127rocblas_gemm_batched_kernelI19rocblas_complex_numIfELi16ELi16ELi32ELi32ELi8ELi32ELi8ELi8ELi32ELc67ELc78EKPKS2_S5_KPS2_EEvlllT_PT11_llSA_llS8_PT12_llPT13_lli,"axG",@progbits,_ZN12_GLOBAL__N_127rocblas_gemm_batched_kernelI19rocblas_complex_numIfELi16ELi16ELi32ELi32ELi8ELi32ELi8ELi8ELi32ELc67ELc78EKPKS2_S5_KPS2_EEvlllT_PT11_llSA_llS8_PT12_llPT13_lli,comdat
.Lfunc_end248:
	.size	_ZN12_GLOBAL__N_127rocblas_gemm_batched_kernelI19rocblas_complex_numIfELi16ELi16ELi32ELi32ELi8ELi32ELi8ELi8ELi32ELc67ELc78EKPKS2_S5_KPS2_EEvlllT_PT11_llSA_llS8_PT12_llPT13_lli, .Lfunc_end248-_ZN12_GLOBAL__N_127rocblas_gemm_batched_kernelI19rocblas_complex_numIfELi16ELi16ELi32ELi32ELi8ELi32ELi8ELi8ELi32ELc67ELc78EKPKS2_S5_KPS2_EEvlllT_PT11_llSA_llS8_PT12_llPT13_lli
                                        ; -- End function
	.set _ZN12_GLOBAL__N_127rocblas_gemm_batched_kernelI19rocblas_complex_numIfELi16ELi16ELi32ELi32ELi8ELi32ELi8ELi8ELi32ELc67ELc78EKPKS2_S5_KPS2_EEvlllT_PT11_llSA_llS8_PT12_llPT13_lli.num_vgpr, 102
	.set _ZN12_GLOBAL__N_127rocblas_gemm_batched_kernelI19rocblas_complex_numIfELi16ELi16ELi32ELi32ELi8ELi32ELi8ELi8ELi32ELc67ELc78EKPKS2_S5_KPS2_EEvlllT_PT11_llSA_llS8_PT12_llPT13_lli.num_agpr, 0
	.set _ZN12_GLOBAL__N_127rocblas_gemm_batched_kernelI19rocblas_complex_numIfELi16ELi16ELi32ELi32ELi8ELi32ELi8ELi8ELi32ELc67ELc78EKPKS2_S5_KPS2_EEvlllT_PT11_llSA_llS8_PT12_llPT13_lli.numbered_sgpr, 42
	.set _ZN12_GLOBAL__N_127rocblas_gemm_batched_kernelI19rocblas_complex_numIfELi16ELi16ELi32ELi32ELi8ELi32ELi8ELi8ELi32ELc67ELc78EKPKS2_S5_KPS2_EEvlllT_PT11_llSA_llS8_PT12_llPT13_lli.num_named_barrier, 0
	.set _ZN12_GLOBAL__N_127rocblas_gemm_batched_kernelI19rocblas_complex_numIfELi16ELi16ELi32ELi32ELi8ELi32ELi8ELi8ELi32ELc67ELc78EKPKS2_S5_KPS2_EEvlllT_PT11_llSA_llS8_PT12_llPT13_lli.private_seg_size, 0
	.set _ZN12_GLOBAL__N_127rocblas_gemm_batched_kernelI19rocblas_complex_numIfELi16ELi16ELi32ELi32ELi8ELi32ELi8ELi8ELi32ELc67ELc78EKPKS2_S5_KPS2_EEvlllT_PT11_llSA_llS8_PT12_llPT13_lli.uses_vcc, 1
	.set _ZN12_GLOBAL__N_127rocblas_gemm_batched_kernelI19rocblas_complex_numIfELi16ELi16ELi32ELi32ELi8ELi32ELi8ELi8ELi32ELc67ELc78EKPKS2_S5_KPS2_EEvlllT_PT11_llSA_llS8_PT12_llPT13_lli.uses_flat_scratch, 0
	.set _ZN12_GLOBAL__N_127rocblas_gemm_batched_kernelI19rocblas_complex_numIfELi16ELi16ELi32ELi32ELi8ELi32ELi8ELi8ELi32ELc67ELc78EKPKS2_S5_KPS2_EEvlllT_PT11_llSA_llS8_PT12_llPT13_lli.has_dyn_sized_stack, 0
	.set _ZN12_GLOBAL__N_127rocblas_gemm_batched_kernelI19rocblas_complex_numIfELi16ELi16ELi32ELi32ELi8ELi32ELi8ELi8ELi32ELc67ELc78EKPKS2_S5_KPS2_EEvlllT_PT11_llSA_llS8_PT12_llPT13_lli.has_recursion, 0
	.set _ZN12_GLOBAL__N_127rocblas_gemm_batched_kernelI19rocblas_complex_numIfELi16ELi16ELi32ELi32ELi8ELi32ELi8ELi8ELi32ELc67ELc78EKPKS2_S5_KPS2_EEvlllT_PT11_llSA_llS8_PT12_llPT13_lli.has_indirect_call, 0
	.section	.AMDGPU.csdata,"",@progbits
; Kernel info:
; codeLenInByte = 2532
; TotalNumSgprs: 48
; NumVgprs: 102
; NumAgprs: 0
; TotalNumVgprs: 102
; ScratchSize: 0
; MemoryBound: 0
; FloatMode: 240
; IeeeMode: 1
; LDSByteSize: 4096 bytes/workgroup (compile time only)
; SGPRBlocks: 5
; VGPRBlocks: 12
; NumSGPRsForWavesPerEU: 48
; NumVGPRsForWavesPerEU: 102
; AccumOffset: 104
; Occupancy: 4
; WaveLimiterHint : 1
; COMPUTE_PGM_RSRC2:SCRATCH_EN: 0
; COMPUTE_PGM_RSRC2:USER_SGPR: 2
; COMPUTE_PGM_RSRC2:TRAP_HANDLER: 0
; COMPUTE_PGM_RSRC2:TGID_X_EN: 1
; COMPUTE_PGM_RSRC2:TGID_Y_EN: 1
; COMPUTE_PGM_RSRC2:TGID_Z_EN: 1
; COMPUTE_PGM_RSRC2:TIDIG_COMP_CNT: 1
; COMPUTE_PGM_RSRC3_GFX90A:ACCUM_OFFSET: 25
; COMPUTE_PGM_RSRC3_GFX90A:TG_SPLIT: 0
	.section	.text._ZN12_GLOBAL__N_127rocblas_gemm_batched_kernelI19rocblas_complex_numIfELi16ELi16ELi32ELi32ELi8ELi32ELi8ELi8ELi32ELc67ELc84EKPKS2_S5_KPS2_EEvlllT_PT11_llSA_llS8_PT12_llPT13_lli,"axG",@progbits,_ZN12_GLOBAL__N_127rocblas_gemm_batched_kernelI19rocblas_complex_numIfELi16ELi16ELi32ELi32ELi8ELi32ELi8ELi8ELi32ELc67ELc84EKPKS2_S5_KPS2_EEvlllT_PT11_llSA_llS8_PT12_llPT13_lli,comdat
	.globl	_ZN12_GLOBAL__N_127rocblas_gemm_batched_kernelI19rocblas_complex_numIfELi16ELi16ELi32ELi32ELi8ELi32ELi8ELi8ELi32ELc67ELc84EKPKS2_S5_KPS2_EEvlllT_PT11_llSA_llS8_PT12_llPT13_lli ; -- Begin function _ZN12_GLOBAL__N_127rocblas_gemm_batched_kernelI19rocblas_complex_numIfELi16ELi16ELi32ELi32ELi8ELi32ELi8ELi8ELi32ELc67ELc84EKPKS2_S5_KPS2_EEvlllT_PT11_llSA_llS8_PT12_llPT13_lli
	.p2align	8
	.type	_ZN12_GLOBAL__N_127rocblas_gemm_batched_kernelI19rocblas_complex_numIfELi16ELi16ELi32ELi32ELi8ELi32ELi8ELi8ELi32ELc67ELc84EKPKS2_S5_KPS2_EEvlllT_PT11_llSA_llS8_PT12_llPT13_lli,@function
_ZN12_GLOBAL__N_127rocblas_gemm_batched_kernelI19rocblas_complex_numIfELi16ELi16ELi32ELi32ELi8ELi32ELi8ELi8ELi32ELc67ELc84EKPKS2_S5_KPS2_EEvlllT_PT11_llSA_llS8_PT12_llPT13_lli: ; @_ZN12_GLOBAL__N_127rocblas_gemm_batched_kernelI19rocblas_complex_numIfELi16ELi16ELi32ELi32ELi8ELi32ELi8ELi8ELi32ELc67ELc84EKPKS2_S5_KPS2_EEvlllT_PT11_llSA_llS8_PT12_llPT13_lli
; %bb.0:
	s_load_dwordx16 s[8:23], s[0:1], 0x10
	s_load_dwordx4 s[36:39], s[0:1], 0x78
	s_load_dwordx8 s[24:31], s[0:1], 0x58
	s_load_dwordx2 s[6:7], s[0:1], 0x50
	s_mov_b32 s5, 0
	s_lshl_b64 s[34:35], s[4:5], 3
	s_mov_b32 s40, s3
	s_waitcnt lgkmcnt(0)
	s_add_u32 s0, s24, s34
	s_addc_u32 s1, s25, s35
	s_add_u32 s4, s30, s34
	s_addc_u32 s5, s31, s35
	s_load_dwordx2 s[0:1], s[0:1], 0x0
	v_mov_b32_e32 v27, 0
	s_load_dwordx2 s[4:5], s[4:5], 0x0
	s_ashr_i32 s3, s2, 31
	s_ashr_i32 s41, s40, 31
	v_cmp_lt_i64_e64 s[30:31], s[8:9], 1
	v_bfe_u32 v26, v0, 10, 10
	v_and_b32_e32 v24, 0x3ff, v0
	v_mov_b32_e32 v25, v27
	s_lshl_b64 s[2:3], s[2:3], 5
	s_lshl_b64 s[24:25], s[40:41], 5
	s_and_b64 vcc, exec, s[30:31]
	v_mov_b32_e32 v21, v27
	v_mov_b32_e32 v20, v27
	;; [unrolled: 1-line block ×8, first 2 shown]
	s_cbranch_vccnz .LBB249_3
; %bb.1:
	v_lshl_add_u32 v4, v26, 4, v24
	v_lshrrev_b32_e32 v22, 3, v4
	v_mov_b32_e32 v23, 0
	v_lshl_add_u64 v[0:1], v[22:23], 0, s[24:25]
	v_and_b32_e32 v5, 7, v24
	v_mad_u64_u32 v[0:1], s[30:31], s20, v5, v[0:1]
	s_add_u32 s12, s12, s34
	v_mov_b32_e32 v2, v1
	s_addc_u32 s13, s13, s35
	v_mad_u64_u32 v[2:3], s[30:31], s21, v5, v[2:3]
	v_lshlrev_b32_e32 v5, 3, v5
	s_add_u32 s18, s18, s34
	v_mov_b32_e32 v1, v2
	v_and_b32_e32 v2, 31, v4
	v_mov_b32_e32 v3, v23
	v_lshl_or_b32 v5, v22, 6, v5
	s_load_dwordx2 s[12:13], s[12:13], 0x0
	s_addc_u32 s19, s19, s35
	v_lshrrev_b32_e32 v4, 5, v4
	v_lshlrev_b32_e32 v6, 3, v2
	v_add_u32_e32 v31, 0x800, v5
	v_mov_b32_e32 v5, 0x800
	v_lshl_add_u64 v[2:3], s[2:3], 0, v[2:3]
	s_load_dwordx2 s[18:19], s[18:19], 0x0
	v_lshl_or_b32 v29, v4, 8, v6
	v_lshl_add_u32 v35, v26, 6, v5
	v_mul_lo_u32 v5, s15, v2
	v_mul_lo_u32 v6, s14, v3
	v_mad_u64_u32 v[2:3], s[14:15], s14, v2, 0
	v_add3_u32 v3, v3, v6, v5
	s_lshl_b64 s[14:15], s[16:17], 3
	v_lshl_add_u64 v[2:3], v[2:3], 3, s[14:15]
	v_lshlrev_b32_e32 v22, 3, v4
	v_lshl_add_u64 v[2:3], v[2:3], 0, v[22:23]
	s_waitcnt lgkmcnt(0)
	v_lshl_add_u64 v[36:37], s[12:13], 0, v[2:3]
	s_lshl_b64 s[12:13], s[22:23], 3
	s_add_u32 s12, s18, s12
	s_addc_u32 s13, s19, s13
	v_lshlrev_b32_e32 v33, 3, v24
	v_lshl_add_u64 v[38:39], v[0:1], 3, s[12:13]
	s_lshl_b64 s[12:13], s[20:21], 6
	s_mov_b64 s[14:15], 0
	v_mov_b64_e32 v[40:41], s[8:9]
	v_mov_b32_e32 v22, v23
	v_mov_b32_e32 v30, v23
	v_mov_b32_e32 v28, v23
	v_mov_b32_e32 v34, v23
	v_mov_b32_e32 v32, v23
	v_mov_b32_e32 v20, v23
	v_mov_b32_e32 v21, v23
.LBB249_2:                              ; =>This Inner Loop Header: Depth=1
	flat_load_dwordx2 v[0:1], v[36:37]
	s_add_u32 s14, s14, 8
	s_addc_u32 s15, s15, 0
	v_cmp_lt_i64_e32 vcc, s[14:15], v[40:41]
	v_lshl_add_u64 v[36:37], v[36:37], 0, 64
	s_and_b64 vcc, exec, vcc
	s_waitcnt vmcnt(0) lgkmcnt(0)
	v_xor_b32_e32 v1, 0x80000000, v1
	ds_write_b64 v29, v[0:1]
	flat_load_dwordx2 v[0:1], v[38:39]
	v_lshl_add_u64 v[38:39], v[38:39], 0, s[12:13]
	s_waitcnt vmcnt(0) lgkmcnt(0)
	ds_write_b64 v31, v[0:1]
	s_waitcnt lgkmcnt(0)
	s_barrier
	ds_read2_b64 v[4:7], v33 offset1:16
	ds_read_b128 v[8:11], v35
	ds_read_b128 v[0:3], v35 offset:16
	ds_read2_b64 v[12:15], v33 offset0:32 offset1:48
	ds_read_b128 v[16:19], v35 offset:1024
	ds_read_b128 v[42:45], v35 offset:1040
	ds_read2_b64 v[46:49], v33 offset0:64 offset1:80
	ds_read2_b64 v[50:53], v33 offset0:96 offset1:112
	ds_read2_b64 v[54:57], v33 offset0:128 offset1:144
	ds_read2_b64 v[58:61], v33 offset0:160 offset1:176
	ds_read_b128 v[62:65], v35 offset:1056
	ds_read_b128 v[66:69], v35 offset:32
	;; [unrolled: 1-line block ×3, first 2 shown]
	s_waitcnt lgkmcnt(11)
	v_mul_f32_e32 v78, v9, v5
	v_mul_f32_e32 v80, v8, v5
	;; [unrolled: 1-line block ×4, first 2 shown]
	s_waitcnt lgkmcnt(9)
	v_mul_f32_e32 v82, v11, v13
	v_mul_f32_e32 v83, v10, v13
	;; [unrolled: 1-line block ×4, first 2 shown]
	s_waitcnt lgkmcnt(8)
	v_mul_f32_e32 v86, v17, v5
	v_mul_f32_e32 v87, v16, v5
	v_pk_mul_f32 v[74:75], v[16:17], v[6:7] op_sel:[1,1] op_sel_hi:[0,1]
	v_mul_f32_e32 v5, v19, v13
	v_mul_f32_e32 v88, v18, v13
	v_pk_mul_f32 v[76:77], v[18:19], v[14:15] op_sel:[1,1] op_sel_hi:[0,1]
	v_fma_f32 v89, v8, v4, -v78
	v_fmac_f32_e32 v80, v9, v4
	v_fma_f32 v90, v8, v6, -v79
	v_fmac_f32_e32 v81, v9, v6
	;; [unrolled: 2-line block ×5, first 2 shown]
	v_pk_fma_f32 v[78:79], v[16:17], v[6:7], v[74:75] neg_lo:[0,0,1] neg_hi:[0,0,1]
	v_pk_fma_f32 v[16:17], v[16:17], v[6:7], v[74:75] op_sel_hi:[1,0,1]
	v_fma_f32 v74, v18, v12, -v5
	v_fmac_f32_e32 v88, v19, v12
	v_pk_fma_f32 v[12:13], v[18:19], v[14:15], v[76:77] neg_lo:[0,0,1] neg_hi:[0,0,1]
	v_pk_fma_f32 v[14:15], v[18:19], v[14:15], v[76:77] op_sel_hi:[1,0,1]
	s_waitcnt lgkmcnt(5)
	v_mul_f32_e32 v7, v3, v51
	v_mul_f32_e32 v9, v3, v53
	;; [unrolled: 1-line block ×4, first 2 shown]
	v_pk_mul_f32 v[4:5], v[42:43], v[48:49] op_sel:[1,1] op_sel_hi:[0,1]
	v_mul_f32_e32 v8, v1, v47
	v_mul_f32_e32 v91, v0, v47
	v_mul_f32_e32 v6, v1, v49
	v_mul_f32_e32 v16, v0, v49
	v_mul_f32_e32 v14, v2, v51
	v_mul_f32_e32 v75, v2, v53
	v_fma_f32 v93, v2, v50, -v7
	v_fma_f32 v94, v2, v52, -v9
	v_mul_f32_e32 v2, v45, v51
	v_fma_f32 v96, v42, v46, -v10
	v_fmac_f32_e32 v76, v43, v46
	v_pk_fma_f32 v[18:19], v[42:43], v[48:49], v[4:5] neg_lo:[0,0,1] neg_hi:[0,0,1]
	v_pk_fma_f32 v[42:43], v[42:43], v[48:49], v[4:5] op_sel_hi:[1,0,1]
	s_waitcnt lgkmcnt(1)
	v_mul_f32_e32 v98, v68, v59
	v_mul_f32_e32 v99, v68, v61
	;; [unrolled: 1-line block ×3, first 2 shown]
	v_fma_f32 v77, v0, v46, -v8
	v_fmac_f32_e32 v91, v1, v46
	v_fma_f32 v92, v0, v48, -v6
	v_fmac_f32_e32 v16, v1, v48
	v_fmac_f32_e32 v14, v3, v50
	;; [unrolled: 1-line block ×3, first 2 shown]
	v_mul_f32_e32 v95, v44, v51
	v_pk_mul_f32 v[0:1], v[44:45], v[52:53] op_sel:[1,1] op_sel_hi:[0,1]
	v_fma_f32 v42, v44, v50, -v2
	v_mul_f32_e32 v2, v69, v59
	v_mul_f32_e32 v3, v69, v61
	v_fmac_f32_e32 v98, v69, v58
	v_fmac_f32_e32 v99, v69, v60
	v_fma_f32 v69, v62, v54, -v4
	v_pk_mul_f32 v[4:5], v[62:63], v[56:57] op_sel:[1,1] op_sel_hi:[0,1]
	v_fmac_f32_e32 v95, v45, v50
	v_pk_fma_f32 v[46:47], v[44:45], v[52:53], v[0:1] neg_lo:[0,0,1] neg_hi:[0,0,1]
	v_pk_fma_f32 v[44:45], v[44:45], v[52:53], v[0:1] op_sel_hi:[1,0,1]
	v_pk_fma_f32 v[48:49], v[62:63], v[56:57], v[4:5] neg_lo:[0,0,1] neg_hi:[0,0,1]
	v_pk_fma_f32 v[50:51], v[62:63], v[56:57], v[4:5] op_sel_hi:[1,0,1]
	v_mul_f32_e32 v4, v65, v59
	v_mul_f32_e32 v0, v67, v55
	;; [unrolled: 1-line block ×4, first 2 shown]
	v_fma_f32 v50, v64, v58, -v4
	v_pk_mul_f32 v[4:5], v[64:65], v[60:61] op_sel:[1,1] op_sel_hi:[0,1]
	v_fma_f32 v100, v66, v54, -v0
	v_fmac_f32_e32 v44, v67, v54
	v_fmac_f32_e32 v101, v63, v54
	v_pk_fma_f32 v[52:53], v[64:65], v[60:61], v[4:5] neg_lo:[0,0,1] neg_hi:[0,0,1]
	v_pk_fma_f32 v[54:55], v[64:65], v[60:61], v[4:5] op_sel_hi:[1,0,1]
	ds_read2_b64 v[4:7], v33 offset0:192 offset1:208
	v_mul_f32_e32 v97, v66, v57
	v_mul_f32_e32 v1, v67, v57
	v_fmac_f32_e32 v97, v67, v56
	v_fma_f32 v67, v68, v58, -v2
	s_waitcnt lgkmcnt(0)
	v_mul_f32_e32 v8, v71, v5
	v_fma_f32 v54, v70, v4, -v8
	v_mul_f32_e32 v8, v71, v7
	v_fma_f32 v68, v68, v60, -v3
	v_fma_f32 v60, v70, v6, -v8
	ds_read2_b64 v[8:11], v33 offset0:224 offset1:240
	v_fma_f32 v66, v66, v56, -v1
	ds_read_b128 v[0:3], v35 offset:1072
	v_mul_f32_e32 v59, v64, v59
	v_fmac_f32_e32 v59, v65, v58
	s_waitcnt lgkmcnt(1)
	v_mul_f32_e32 v13, v73, v9
	v_mul_f32_e32 v58, v70, v5
	;; [unrolled: 1-line block ×3, first 2 shown]
	v_fma_f32 v62, v72, v8, -v13
	v_mul_f32_e32 v13, v73, v11
	v_fmac_f32_e32 v58, v71, v4
	v_fmac_f32_e32 v61, v71, v6
	v_fma_f32 v64, v72, v10, -v13
	s_waitcnt lgkmcnt(0)
	v_mul_f32_e32 v13, v1, v5
	v_mul_f32_e32 v71, v0, v5
	v_fma_f32 v70, v0, v4, -v13
	v_fmac_f32_e32 v71, v1, v4
	v_pk_mul_f32 v[4:5], v[0:1], v[6:7] op_sel:[1,1] op_sel_hi:[0,1]
	v_pk_fma_f32 v[56:57], v[0:1], v[6:7], v[4:5] neg_lo:[0,0,1] neg_hi:[0,0,1]
	v_pk_fma_f32 v[0:1], v[0:1], v[6:7], v[4:5] op_sel_hi:[1,0,1]
	v_mul_f32_e32 v63, v72, v9
	v_mul_f32_e32 v0, v3, v9
	;; [unrolled: 1-line block ×3, first 2 shown]
	v_pk_mul_f32 v[4:5], v[2:3], v[10:11] op_sel:[1,1] op_sel_hi:[0,1]
	v_mul_f32_e32 v65, v72, v11
	v_fma_f32 v72, v2, v8, -v0
	v_fmac_f32_e32 v9, v3, v8
	v_pk_fma_f32 v[6:7], v[2:3], v[10:11], v[4:5] neg_lo:[0,0,1] neg_hi:[0,0,1]
	v_pk_fma_f32 v[2:3], v[2:3], v[10:11], v[4:5] op_sel_hi:[1,0,1]
	v_mov_b32_e32 v79, v17
	v_fmac_f32_e32 v63, v73, v8
	v_fmac_f32_e32 v65, v73, v10
	v_add_f32_e32 v2, v32, v89
	v_add_f32_e32 v4, v34, v80
	;; [unrolled: 1-line block ×6, first 2 shown]
	v_mov_b32_e32 v13, v15
	v_mov_b32_e32 v57, v1
	v_pk_add_f32 v[0:1], v[20:21], v[78:79]
	v_mov_b32_e32 v19, v43
	v_mov_b32_e32 v7, v3
	v_add_f32_e32 v2, v2, v82
	v_add_f32_e32 v3, v4, v83
	v_add_f32_e32 v4, v5, v84
	v_add_f32_e32 v5, v8, v85
	v_add_f32_e32 v8, v10, v74
	v_add_f32_e32 v10, v11, v88
	v_pk_add_f32 v[0:1], v[0:1], v[12:13]
	v_mov_b32_e32 v47, v45
	v_add_f32_e32 v2, v2, v77
	v_add_f32_e32 v3, v3, v91
	v_add_f32_e32 v4, v4, v92
	v_add_f32_e32 v5, v5, v16
	v_add_f32_e32 v8, v8, v96
	v_add_f32_e32 v10, v10, v76
	v_pk_add_f32 v[0:1], v[0:1], v[18:19]
	;; [unrolled: 8-line block ×4, first 2 shown]
	v_add_f32_e32 v2, v2, v67
	v_add_f32_e32 v3, v3, v98
	v_add_f32_e32 v4, v4, v68
	v_add_f32_e32 v5, v5, v99
	v_add_f32_e32 v8, v8, v50
	v_add_f32_e32 v10, v10, v59
	v_pk_add_f32 v[0:1], v[0:1], v[52:53]
	v_add_f32_e32 v2, v2, v54
	v_add_f32_e32 v3, v3, v58
	v_add_f32_e32 v4, v4, v60
	v_add_f32_e32 v5, v5, v61
	v_add_f32_e32 v8, v8, v70
	v_add_f32_e32 v10, v10, v71
	v_pk_add_f32 v[0:1], v[0:1], v[56:57]
	;; [unrolled: 7-line block ×3, first 2 shown]
	s_barrier
	s_cbranch_vccnz .LBB249_2
.LBB249_3:
	s_lshl_b64 s[8:9], s[38:39], 3
	s_waitcnt lgkmcnt(0)
	s_add_u32 s4, s4, s8
	s_addc_u32 s5, s5, s9
	s_or_b32 s8, s6, s7
	s_bitset0_b32 s8, 31
	v_lshl_add_u64 v[0:1], s[24:25], 0, v[26:27]
	s_cmp_lg_u32 s8, 0
	v_lshl_add_u64 v[2:3], s[2:3], 0, v[24:25]
	s_mov_b32 s2, s11
	s_mov_b32 s3, s10
	s_cbranch_scc1 .LBB249_5
; %bb.4:
	v_mul_lo_u32 v6, v1, s36
	v_mul_lo_u32 v7, v0, s37
	v_mad_u64_u32 v[4:5], s[8:9], v0, s36, 0
	v_add3_u32 v5, v5, v7, v6
	v_pk_mul_f32 v[10:11], v[34:35], s[2:3] op_sel_hi:[0,1]
	v_lshl_add_u64 v[4:5], v[4:5], 3, s[4:5]
	v_lshlrev_b64 v[6:7], 3, v[2:3]
	v_pk_fma_f32 v[12:13], v[32:33], s[2:3], v[10:11] op_sel:[0,1,0] op_sel_hi:[1,0,1] neg_lo:[0,0,1] neg_hi:[0,0,1]
	v_pk_fma_f32 v[10:11], v[32:33], s[2:3], v[10:11] op_sel:[0,1,0] op_sel_hi:[0,0,1]
	v_lshl_add_u64 v[8:9], v[4:5], 0, v[6:7]
	v_mov_b32_e32 v13, v11
	v_pk_mul_f32 v[10:11], v[30:31], s[2:3] op_sel_hi:[0,1]
	flat_store_dwordx2 v[8:9], v[12:13]
	v_pk_fma_f32 v[12:13], v[28:29], s[2:3], v[10:11] op_sel:[0,1,0] op_sel_hi:[1,0,1] neg_lo:[0,0,1] neg_hi:[0,0,1]
	v_pk_fma_f32 v[10:11], v[28:29], s[2:3], v[10:11] op_sel:[0,1,0] op_sel_hi:[0,0,1]
	s_lshl_b64 s[8:9], s[36:37], 7
	v_mov_b32_e32 v13, v11
	v_lshl_add_u64 v[4:5], v[4:5], 0, s[8:9]
	flat_store_dwordx2 v[8:9], v[12:13] offset:128
	v_lshl_add_u64 v[8:9], v[4:5], 0, v[6:7]
	v_mov_b32_e32 v4, v23
	v_pk_mul_f32 v[4:5], v[4:5], s[2:3] op_sel_hi:[0,1]
	v_pk_fma_f32 v[6:7], v[22:23], s[2:3], v[4:5] op_sel:[0,1,0] op_sel_hi:[1,0,1] neg_lo:[0,0,1] neg_hi:[0,0,1]
	v_pk_fma_f32 v[4:5], v[22:23], s[2:3], v[4:5] op_sel:[0,1,0] op_sel_hi:[0,0,1]
	v_mov_b32_e32 v7, v5
	v_mul_f32_e32 v4, s3, v20
	flat_store_dwordx2 v[8:9], v[6:7]
	v_fma_f32 v7, -v21, s2, v4
	v_pk_mul_f32 v[4:5], v[20:21], s[2:3]
	s_mov_b64 s[8:9], 0x80
	v_add_f32_e32 v6, v4, v5
	v_lshl_add_u64 v[4:5], v[8:9], 0, s[8:9]
	flat_store_dword v[8:9], v7 offset:128
	s_cbranch_execz .LBB249_6
	s_branch .LBB249_7
.LBB249_5:
                                        ; implicit-def: $vgpr6
                                        ; implicit-def: $vgpr4_vgpr5
.LBB249_6:
	s_lshl_b64 s[8:9], s[28:29], 3
	s_add_u32 s0, s0, s8
	s_addc_u32 s1, s1, s9
	v_mul_lo_u32 v6, v1, s26
	v_mul_lo_u32 v7, v0, s27
	v_mad_u64_u32 v[4:5], s[8:9], v0, s26, 0
	v_add3_u32 v5, v5, v7, v6
	v_lshl_add_u64 v[4:5], v[4:5], 3, s[0:1]
	v_lshlrev_b64 v[2:3], 3, v[2:3]
	v_lshl_add_u64 v[6:7], v[4:5], 0, v[2:3]
	flat_load_dwordx2 v[8:9], v[6:7]
	v_mul_lo_u32 v12, v1, s36
	v_mul_lo_u32 v13, v0, s37
	v_mad_u64_u32 v[0:1], s[0:1], v0, s36, 0
	s_mov_b32 s0, s7
	v_pk_mul_f32 v[10:11], v[34:35], s[2:3] op_sel_hi:[0,1]
	v_add3_u32 v1, v1, v13, v12
	v_pk_fma_f32 v[12:13], v[32:33], s[2:3], v[10:11] op_sel:[0,1,0] op_sel_hi:[1,0,1] neg_lo:[0,0,1] neg_hi:[0,0,1]
	v_pk_fma_f32 v[10:11], v[32:33], s[2:3], v[10:11] op_sel:[0,1,0] op_sel_hi:[0,0,1]
	v_lshl_add_u64 v[0:1], v[0:1], 3, s[4:5]
	v_mov_b32_e32 v13, v11
	v_lshl_add_u64 v[10:11], v[0:1], 0, v[2:3]
	s_lshl_b64 s[4:5], s[26:27], 7
	v_lshl_add_u64 v[4:5], v[4:5], 0, s[4:5]
	v_lshl_add_u64 v[4:5], v[4:5], 0, v[2:3]
	s_lshl_b64 s[4:5], s[36:37], 7
	v_lshl_add_u64 v[0:1], v[0:1], 0, s[4:5]
	v_lshl_add_u64 v[0:1], v[0:1], 0, v[2:3]
	s_mov_b32 s11, s6
	s_waitcnt vmcnt(0) lgkmcnt(0)
	v_pk_mul_f32 v[14:15], v[8:9], s[0:1] op_sel_hi:[1,0]
	s_nop 0
	v_pk_fma_f32 v[16:17], v[8:9], s[6:7], v[14:15] op_sel:[0,0,1] op_sel_hi:[1,1,0] neg_lo:[0,0,1] neg_hi:[0,0,1]
	v_pk_fma_f32 v[8:9], v[8:9], s[6:7], v[14:15] op_sel:[0,0,1] op_sel_hi:[1,0,0]
	s_nop 0
	v_mov_b32_e32 v17, v9
	v_pk_add_f32 v[8:9], v[12:13], v[16:17]
	flat_store_dwordx2 v[10:11], v[8:9]
	flat_load_dwordx2 v[6:7], v[6:7] offset:128
	v_pk_mul_f32 v[8:9], v[30:31], s[2:3] op_sel_hi:[0,1]
	v_pk_fma_f32 v[12:13], v[28:29], s[2:3], v[8:9] op_sel:[0,1,0] op_sel_hi:[1,0,1] neg_lo:[0,0,1] neg_hi:[0,0,1]
	v_pk_fma_f32 v[8:9], v[28:29], s[2:3], v[8:9] op_sel:[0,1,0] op_sel_hi:[0,0,1]
	v_mov_b32_e32 v13, v9
	s_waitcnt vmcnt(0) lgkmcnt(0)
	v_pk_mul_f32 v[8:9], v[6:7], s[0:1] op_sel_hi:[1,0]
	s_nop 0
	v_pk_fma_f32 v[14:15], v[6:7], s[6:7], v[8:9] op_sel:[0,0,1] op_sel_hi:[1,1,0] neg_lo:[0,0,1] neg_hi:[0,0,1]
	v_pk_fma_f32 v[6:7], v[6:7], s[6:7], v[8:9] op_sel:[0,0,1] op_sel_hi:[1,0,0]
	v_mov_b32_e32 v8, v23
	v_mov_b32_e32 v15, v7
	v_pk_add_f32 v[6:7], v[12:13], v[14:15]
	flat_store_dwordx2 v[10:11], v[6:7] offset:128
	flat_load_dwordx2 v[6:7], v[4:5]
	v_pk_mul_f32 v[8:9], v[8:9], s[2:3] op_sel_hi:[0,1]
	v_pk_fma_f32 v[10:11], v[22:23], s[2:3], v[8:9] op_sel:[0,1,0] op_sel_hi:[1,0,1] neg_lo:[0,0,1] neg_hi:[0,0,1]
	v_pk_fma_f32 v[8:9], v[22:23], s[2:3], v[8:9] op_sel:[0,1,0] op_sel_hi:[0,0,1]
	v_mov_b32_e32 v11, v9
	s_waitcnt vmcnt(0) lgkmcnt(0)
	v_pk_mul_f32 v[2:3], v[6:7], s[0:1] op_sel_hi:[1,0]
	s_nop 0
	v_pk_fma_f32 v[8:9], v[6:7], s[6:7], v[2:3] op_sel:[0,0,1] op_sel_hi:[1,1,0] neg_lo:[0,0,1] neg_hi:[0,0,1]
	v_pk_fma_f32 v[2:3], v[6:7], s[6:7], v[2:3] op_sel:[0,0,1] op_sel_hi:[1,0,0]
	v_mov_b32_e32 v6, v20
	v_mov_b32_e32 v9, v3
	v_pk_add_f32 v[2:3], v[10:11], v[8:9]
	flat_store_dwordx2 v[0:1], v[2:3]
	flat_load_dwordx2 v[2:3], v[4:5] offset:128
	v_mul_f32_e32 v4, s3, v20
	s_mov_b32 s3, s7
	s_mov_b64 s[0:1], 0x80
	v_fma_f32 v8, -v21, s2, v4
	v_lshl_add_u64 v[4:5], v[0:1], 0, s[0:1]
	s_waitcnt vmcnt(0) lgkmcnt(0)
	v_mul_f32_e32 v9, s7, v3
	v_mov_b32_e32 v7, v2
	v_fma_f32 v9, v2, s6, -v9
	v_mov_b32_e32 v2, v21
	v_pk_mul_f32 v[2:3], v[2:3], s[10:11]
	v_add_f32_e32 v8, v8, v9
	v_pk_fma_f32 v[2:3], v[6:7], s[2:3], v[2:3]
	flat_store_dword v[0:1], v8 offset:128
	v_add_f32_e32 v6, v2, v3
.LBB249_7:
	flat_store_dword v[4:5], v6 offset:4
	s_endpgm
	.section	.rodata,"a",@progbits
	.p2align	6, 0x0
	.amdhsa_kernel _ZN12_GLOBAL__N_127rocblas_gemm_batched_kernelI19rocblas_complex_numIfELi16ELi16ELi32ELi32ELi8ELi32ELi8ELi8ELi32ELc67ELc84EKPKS2_S5_KPS2_EEvlllT_PT11_llSA_llS8_PT12_llPT13_lli
		.amdhsa_group_segment_fixed_size 4096
		.amdhsa_private_segment_fixed_size 0
		.amdhsa_kernarg_size 140
		.amdhsa_user_sgpr_count 2
		.amdhsa_user_sgpr_dispatch_ptr 0
		.amdhsa_user_sgpr_queue_ptr 0
		.amdhsa_user_sgpr_kernarg_segment_ptr 1
		.amdhsa_user_sgpr_dispatch_id 0
		.amdhsa_user_sgpr_kernarg_preload_length 0
		.amdhsa_user_sgpr_kernarg_preload_offset 0
		.amdhsa_user_sgpr_private_segment_size 0
		.amdhsa_uses_dynamic_stack 0
		.amdhsa_enable_private_segment 0
		.amdhsa_system_sgpr_workgroup_id_x 1
		.amdhsa_system_sgpr_workgroup_id_y 1
		.amdhsa_system_sgpr_workgroup_id_z 1
		.amdhsa_system_sgpr_workgroup_info 0
		.amdhsa_system_vgpr_workitem_id 1
		.amdhsa_next_free_vgpr 102
		.amdhsa_next_free_sgpr 42
		.amdhsa_accum_offset 104
		.amdhsa_reserve_vcc 1
		.amdhsa_float_round_mode_32 0
		.amdhsa_float_round_mode_16_64 0
		.amdhsa_float_denorm_mode_32 3
		.amdhsa_float_denorm_mode_16_64 3
		.amdhsa_dx10_clamp 1
		.amdhsa_ieee_mode 1
		.amdhsa_fp16_overflow 0
		.amdhsa_tg_split 0
		.amdhsa_exception_fp_ieee_invalid_op 0
		.amdhsa_exception_fp_denorm_src 0
		.amdhsa_exception_fp_ieee_div_zero 0
		.amdhsa_exception_fp_ieee_overflow 0
		.amdhsa_exception_fp_ieee_underflow 0
		.amdhsa_exception_fp_ieee_inexact 0
		.amdhsa_exception_int_div_zero 0
	.end_amdhsa_kernel
	.section	.text._ZN12_GLOBAL__N_127rocblas_gemm_batched_kernelI19rocblas_complex_numIfELi16ELi16ELi32ELi32ELi8ELi32ELi8ELi8ELi32ELc67ELc84EKPKS2_S5_KPS2_EEvlllT_PT11_llSA_llS8_PT12_llPT13_lli,"axG",@progbits,_ZN12_GLOBAL__N_127rocblas_gemm_batched_kernelI19rocblas_complex_numIfELi16ELi16ELi32ELi32ELi8ELi32ELi8ELi8ELi32ELc67ELc84EKPKS2_S5_KPS2_EEvlllT_PT11_llSA_llS8_PT12_llPT13_lli,comdat
.Lfunc_end249:
	.size	_ZN12_GLOBAL__N_127rocblas_gemm_batched_kernelI19rocblas_complex_numIfELi16ELi16ELi32ELi32ELi8ELi32ELi8ELi8ELi32ELc67ELc84EKPKS2_S5_KPS2_EEvlllT_PT11_llSA_llS8_PT12_llPT13_lli, .Lfunc_end249-_ZN12_GLOBAL__N_127rocblas_gemm_batched_kernelI19rocblas_complex_numIfELi16ELi16ELi32ELi32ELi8ELi32ELi8ELi8ELi32ELc67ELc84EKPKS2_S5_KPS2_EEvlllT_PT11_llSA_llS8_PT12_llPT13_lli
                                        ; -- End function
	.set _ZN12_GLOBAL__N_127rocblas_gemm_batched_kernelI19rocblas_complex_numIfELi16ELi16ELi32ELi32ELi8ELi32ELi8ELi8ELi32ELc67ELc84EKPKS2_S5_KPS2_EEvlllT_PT11_llSA_llS8_PT12_llPT13_lli.num_vgpr, 102
	.set _ZN12_GLOBAL__N_127rocblas_gemm_batched_kernelI19rocblas_complex_numIfELi16ELi16ELi32ELi32ELi8ELi32ELi8ELi8ELi32ELc67ELc84EKPKS2_S5_KPS2_EEvlllT_PT11_llSA_llS8_PT12_llPT13_lli.num_agpr, 0
	.set _ZN12_GLOBAL__N_127rocblas_gemm_batched_kernelI19rocblas_complex_numIfELi16ELi16ELi32ELi32ELi8ELi32ELi8ELi8ELi32ELc67ELc84EKPKS2_S5_KPS2_EEvlllT_PT11_llSA_llS8_PT12_llPT13_lli.numbered_sgpr, 42
	.set _ZN12_GLOBAL__N_127rocblas_gemm_batched_kernelI19rocblas_complex_numIfELi16ELi16ELi32ELi32ELi8ELi32ELi8ELi8ELi32ELc67ELc84EKPKS2_S5_KPS2_EEvlllT_PT11_llSA_llS8_PT12_llPT13_lli.num_named_barrier, 0
	.set _ZN12_GLOBAL__N_127rocblas_gemm_batched_kernelI19rocblas_complex_numIfELi16ELi16ELi32ELi32ELi8ELi32ELi8ELi8ELi32ELc67ELc84EKPKS2_S5_KPS2_EEvlllT_PT11_llSA_llS8_PT12_llPT13_lli.private_seg_size, 0
	.set _ZN12_GLOBAL__N_127rocblas_gemm_batched_kernelI19rocblas_complex_numIfELi16ELi16ELi32ELi32ELi8ELi32ELi8ELi8ELi32ELc67ELc84EKPKS2_S5_KPS2_EEvlllT_PT11_llSA_llS8_PT12_llPT13_lli.uses_vcc, 1
	.set _ZN12_GLOBAL__N_127rocblas_gemm_batched_kernelI19rocblas_complex_numIfELi16ELi16ELi32ELi32ELi8ELi32ELi8ELi8ELi32ELc67ELc84EKPKS2_S5_KPS2_EEvlllT_PT11_llSA_llS8_PT12_llPT13_lli.uses_flat_scratch, 0
	.set _ZN12_GLOBAL__N_127rocblas_gemm_batched_kernelI19rocblas_complex_numIfELi16ELi16ELi32ELi32ELi8ELi32ELi8ELi8ELi32ELc67ELc84EKPKS2_S5_KPS2_EEvlllT_PT11_llSA_llS8_PT12_llPT13_lli.has_dyn_sized_stack, 0
	.set _ZN12_GLOBAL__N_127rocblas_gemm_batched_kernelI19rocblas_complex_numIfELi16ELi16ELi32ELi32ELi8ELi32ELi8ELi8ELi32ELc67ELc84EKPKS2_S5_KPS2_EEvlllT_PT11_llSA_llS8_PT12_llPT13_lli.has_recursion, 0
	.set _ZN12_GLOBAL__N_127rocblas_gemm_batched_kernelI19rocblas_complex_numIfELi16ELi16ELi32ELi32ELi8ELi32ELi8ELi8ELi32ELc67ELc84EKPKS2_S5_KPS2_EEvlllT_PT11_llSA_llS8_PT12_llPT13_lli.has_indirect_call, 0
	.section	.AMDGPU.csdata,"",@progbits
; Kernel info:
; codeLenInByte = 2516
; TotalNumSgprs: 48
; NumVgprs: 102
; NumAgprs: 0
; TotalNumVgprs: 102
; ScratchSize: 0
; MemoryBound: 0
; FloatMode: 240
; IeeeMode: 1
; LDSByteSize: 4096 bytes/workgroup (compile time only)
; SGPRBlocks: 5
; VGPRBlocks: 12
; NumSGPRsForWavesPerEU: 48
; NumVGPRsForWavesPerEU: 102
; AccumOffset: 104
; Occupancy: 4
; WaveLimiterHint : 1
; COMPUTE_PGM_RSRC2:SCRATCH_EN: 0
; COMPUTE_PGM_RSRC2:USER_SGPR: 2
; COMPUTE_PGM_RSRC2:TRAP_HANDLER: 0
; COMPUTE_PGM_RSRC2:TGID_X_EN: 1
; COMPUTE_PGM_RSRC2:TGID_Y_EN: 1
; COMPUTE_PGM_RSRC2:TGID_Z_EN: 1
; COMPUTE_PGM_RSRC2:TIDIG_COMP_CNT: 1
; COMPUTE_PGM_RSRC3_GFX90A:ACCUM_OFFSET: 25
; COMPUTE_PGM_RSRC3_GFX90A:TG_SPLIT: 0
	.section	.text._ZN12_GLOBAL__N_127rocblas_gemm_batched_kernelI19rocblas_complex_numIfELi16ELi16ELi32ELi32ELi8ELi32ELi8ELi8ELi32ELc78ELc67EKPKS2_S5_KPS2_EEvlllT_PT11_llSA_llS8_PT12_llPT13_lli,"axG",@progbits,_ZN12_GLOBAL__N_127rocblas_gemm_batched_kernelI19rocblas_complex_numIfELi16ELi16ELi32ELi32ELi8ELi32ELi8ELi8ELi32ELc78ELc67EKPKS2_S5_KPS2_EEvlllT_PT11_llSA_llS8_PT12_llPT13_lli,comdat
	.globl	_ZN12_GLOBAL__N_127rocblas_gemm_batched_kernelI19rocblas_complex_numIfELi16ELi16ELi32ELi32ELi8ELi32ELi8ELi8ELi32ELc78ELc67EKPKS2_S5_KPS2_EEvlllT_PT11_llSA_llS8_PT12_llPT13_lli ; -- Begin function _ZN12_GLOBAL__N_127rocblas_gemm_batched_kernelI19rocblas_complex_numIfELi16ELi16ELi32ELi32ELi8ELi32ELi8ELi8ELi32ELc78ELc67EKPKS2_S5_KPS2_EEvlllT_PT11_llSA_llS8_PT12_llPT13_lli
	.p2align	8
	.type	_ZN12_GLOBAL__N_127rocblas_gemm_batched_kernelI19rocblas_complex_numIfELi16ELi16ELi32ELi32ELi8ELi32ELi8ELi8ELi32ELc78ELc67EKPKS2_S5_KPS2_EEvlllT_PT11_llSA_llS8_PT12_llPT13_lli,@function
_ZN12_GLOBAL__N_127rocblas_gemm_batched_kernelI19rocblas_complex_numIfELi16ELi16ELi32ELi32ELi8ELi32ELi8ELi8ELi32ELc78ELc67EKPKS2_S5_KPS2_EEvlllT_PT11_llSA_llS8_PT12_llPT13_lli: ; @_ZN12_GLOBAL__N_127rocblas_gemm_batched_kernelI19rocblas_complex_numIfELi16ELi16ELi32ELi32ELi8ELi32ELi8ELi8ELi32ELc78ELc67EKPKS2_S5_KPS2_EEvlllT_PT11_llSA_llS8_PT12_llPT13_lli
; %bb.0:
	s_load_dwordx16 s[8:23], s[0:1], 0x10
	s_load_dwordx4 s[36:39], s[0:1], 0x78
	s_load_dwordx8 s[24:31], s[0:1], 0x58
	s_load_dwordx2 s[6:7], s[0:1], 0x50
	s_mov_b32 s5, 0
	s_lshl_b64 s[34:35], s[4:5], 3
	s_mov_b32 s40, s3
	s_waitcnt lgkmcnt(0)
	s_add_u32 s0, s24, s34
	s_addc_u32 s1, s25, s35
	s_add_u32 s4, s30, s34
	s_addc_u32 s5, s31, s35
	s_load_dwordx2 s[0:1], s[0:1], 0x0
	v_mov_b32_e32 v27, 0
	s_load_dwordx2 s[4:5], s[4:5], 0x0
	s_ashr_i32 s3, s2, 31
	s_ashr_i32 s41, s40, 31
	v_cmp_lt_i64_e64 s[30:31], s[8:9], 1
	v_bfe_u32 v26, v0, 10, 10
	v_and_b32_e32 v24, 0x3ff, v0
	v_mov_b32_e32 v25, v27
	s_lshl_b64 s[2:3], s[2:3], 5
	s_lshl_b64 s[24:25], s[40:41], 5
	s_and_b64 vcc, exec, s[30:31]
	v_mov_b32_e32 v21, v27
	v_mov_b32_e32 v20, v27
	;; [unrolled: 1-line block ×8, first 2 shown]
	s_cbranch_vccnz .LBB250_3
; %bb.1:
	v_lshl_add_u32 v4, v26, 4, v24
	v_lshrrev_b32_e32 v22, 3, v4
	v_mov_b32_e32 v23, 0
	v_lshl_add_u64 v[0:1], v[22:23], 0, s[24:25]
	v_and_b32_e32 v5, 7, v24
	v_mad_u64_u32 v[0:1], s[30:31], s20, v5, v[0:1]
	v_mov_b32_e32 v2, v1
	v_mad_u64_u32 v[2:3], s[30:31], s21, v5, v[2:3]
	v_mov_b32_e32 v1, v2
	v_and_b32_e32 v2, 31, v4
	v_lshrrev_b32_e32 v7, 5, v4
	v_lshlrev_b32_e32 v4, 3, v2
	s_add_u32 s12, s12, s34
	v_lshl_or_b32 v29, v7, 8, v4
	v_lshlrev_b32_e32 v4, 3, v5
	s_addc_u32 s13, s13, s35
	v_lshl_or_b32 v4, v22, 6, v4
	s_load_dwordx2 s[12:13], s[12:13], 0x0
	v_add_u32_e32 v31, 0x800, v4
	v_mov_b32_e32 v4, 0x800
	s_add_u32 s18, s18, s34
	v_lshl_add_u32 v35, v26, 6, v4
	v_mov_b64_e32 v[4:5], s[2:3]
	s_addc_u32 s19, s19, s35
	v_mad_u64_u32 v[4:5], s[30:31], s14, v7, v[4:5]
	s_load_dwordx2 s[18:19], s[18:19], 0x0
	v_mov_b32_e32 v6, v5
	s_lshl_b64 s[16:17], s[16:17], 3
	v_mad_u64_u32 v[6:7], s[30:31], s15, v7, v[6:7]
	v_mov_b32_e32 v3, v23
	v_mov_b32_e32 v5, v6
	s_waitcnt lgkmcnt(0)
	s_add_u32 s12, s12, s16
	v_lshl_add_u64 v[2:3], v[4:5], 0, v[2:3]
	s_addc_u32 s13, s13, s17
	v_lshl_add_u64 v[36:37], v[2:3], 3, s[12:13]
	s_lshl_b64 s[12:13], s[14:15], 6
	s_lshl_b64 s[14:15], s[22:23], 3
	s_add_u32 s14, s18, s14
	s_addc_u32 s15, s19, s15
	v_lshlrev_b32_e32 v33, 3, v24
	v_lshl_add_u64 v[38:39], v[0:1], 3, s[14:15]
	s_lshl_b64 s[14:15], s[20:21], 6
	s_mov_b64 s[16:17], 0
	v_mov_b64_e32 v[40:41], s[8:9]
	v_mov_b32_e32 v22, v23
	v_mov_b32_e32 v30, v23
	;; [unrolled: 1-line block ×7, first 2 shown]
.LBB250_2:                              ; =>This Inner Loop Header: Depth=1
	flat_load_dwordx2 v[0:1], v[36:37]
	s_add_u32 s16, s16, 8
	s_addc_u32 s17, s17, 0
	v_cmp_lt_i64_e32 vcc, s[16:17], v[40:41]
	v_lshl_add_u64 v[36:37], v[36:37], 0, s[12:13]
	s_and_b64 vcc, exec, vcc
	s_waitcnt vmcnt(0) lgkmcnt(0)
	ds_write_b64 v29, v[0:1]
	flat_load_dwordx2 v[0:1], v[38:39]
	v_lshl_add_u64 v[38:39], v[38:39], 0, s[14:15]
	s_waitcnt vmcnt(0) lgkmcnt(0)
	v_xor_b32_e32 v1, 0x80000000, v1
	ds_write_b64 v31, v[0:1]
	s_waitcnt lgkmcnt(0)
	s_barrier
	ds_read2_b64 v[4:7], v33 offset1:16
	ds_read_b128 v[8:11], v35
	ds_read_b128 v[0:3], v35 offset:16
	ds_read2_b64 v[12:15], v33 offset0:32 offset1:48
	ds_read_b128 v[16:19], v35 offset:1024
	ds_read_b128 v[42:45], v35 offset:1040
	ds_read2_b64 v[46:49], v33 offset0:64 offset1:80
	ds_read2_b64 v[50:53], v33 offset0:96 offset1:112
	;; [unrolled: 1-line block ×4, first 2 shown]
	ds_read_b128 v[62:65], v35 offset:1056
	ds_read_b128 v[66:69], v35 offset:32
	ds_read_b128 v[70:73], v35 offset:48
	s_waitcnt lgkmcnt(11)
	v_mul_f32_e32 v78, v9, v5
	v_mul_f32_e32 v80, v8, v5
	;; [unrolled: 1-line block ×4, first 2 shown]
	s_waitcnt lgkmcnt(9)
	v_mul_f32_e32 v82, v11, v13
	v_mul_f32_e32 v83, v10, v13
	;; [unrolled: 1-line block ×4, first 2 shown]
	s_waitcnt lgkmcnt(8)
	v_mul_f32_e32 v86, v17, v5
	v_mul_f32_e32 v87, v16, v5
	v_pk_mul_f32 v[74:75], v[16:17], v[6:7] op_sel:[1,1] op_sel_hi:[0,1]
	v_mul_f32_e32 v5, v19, v13
	v_mul_f32_e32 v88, v18, v13
	v_pk_mul_f32 v[76:77], v[18:19], v[14:15] op_sel:[1,1] op_sel_hi:[0,1]
	v_fma_f32 v89, v8, v4, -v78
	v_fmac_f32_e32 v80, v9, v4
	v_fma_f32 v90, v8, v6, -v79
	v_fmac_f32_e32 v81, v9, v6
	;; [unrolled: 2-line block ×5, first 2 shown]
	v_pk_fma_f32 v[78:79], v[16:17], v[6:7], v[74:75] neg_lo:[0,0,1] neg_hi:[0,0,1]
	v_pk_fma_f32 v[16:17], v[16:17], v[6:7], v[74:75] op_sel_hi:[1,0,1]
	v_fma_f32 v74, v18, v12, -v5
	v_fmac_f32_e32 v88, v19, v12
	v_pk_fma_f32 v[12:13], v[18:19], v[14:15], v[76:77] neg_lo:[0,0,1] neg_hi:[0,0,1]
	v_pk_fma_f32 v[14:15], v[18:19], v[14:15], v[76:77] op_sel_hi:[1,0,1]
	s_waitcnt lgkmcnt(5)
	v_mul_f32_e32 v7, v3, v51
	v_mul_f32_e32 v9, v3, v53
	;; [unrolled: 1-line block ×4, first 2 shown]
	v_pk_mul_f32 v[4:5], v[42:43], v[48:49] op_sel:[1,1] op_sel_hi:[0,1]
	v_mul_f32_e32 v8, v1, v47
	v_mul_f32_e32 v91, v0, v47
	v_mul_f32_e32 v6, v1, v49
	v_mul_f32_e32 v16, v0, v49
	v_mul_f32_e32 v14, v2, v51
	v_mul_f32_e32 v75, v2, v53
	v_fma_f32 v93, v2, v50, -v7
	v_fma_f32 v94, v2, v52, -v9
	v_mul_f32_e32 v2, v45, v51
	v_fma_f32 v96, v42, v46, -v10
	v_fmac_f32_e32 v76, v43, v46
	v_pk_fma_f32 v[18:19], v[42:43], v[48:49], v[4:5] neg_lo:[0,0,1] neg_hi:[0,0,1]
	v_pk_fma_f32 v[42:43], v[42:43], v[48:49], v[4:5] op_sel_hi:[1,0,1]
	s_waitcnt lgkmcnt(1)
	v_mul_f32_e32 v98, v68, v59
	v_mul_f32_e32 v99, v68, v61
	;; [unrolled: 1-line block ×3, first 2 shown]
	v_fma_f32 v77, v0, v46, -v8
	v_fmac_f32_e32 v91, v1, v46
	v_fma_f32 v92, v0, v48, -v6
	v_fmac_f32_e32 v16, v1, v48
	v_fmac_f32_e32 v14, v3, v50
	;; [unrolled: 1-line block ×3, first 2 shown]
	v_mul_f32_e32 v95, v44, v51
	v_pk_mul_f32 v[0:1], v[44:45], v[52:53] op_sel:[1,1] op_sel_hi:[0,1]
	v_fma_f32 v42, v44, v50, -v2
	v_mul_f32_e32 v2, v69, v59
	v_mul_f32_e32 v3, v69, v61
	v_fmac_f32_e32 v98, v69, v58
	v_fmac_f32_e32 v99, v69, v60
	v_fma_f32 v69, v62, v54, -v4
	v_pk_mul_f32 v[4:5], v[62:63], v[56:57] op_sel:[1,1] op_sel_hi:[0,1]
	v_fmac_f32_e32 v95, v45, v50
	v_pk_fma_f32 v[46:47], v[44:45], v[52:53], v[0:1] neg_lo:[0,0,1] neg_hi:[0,0,1]
	v_pk_fma_f32 v[44:45], v[44:45], v[52:53], v[0:1] op_sel_hi:[1,0,1]
	v_pk_fma_f32 v[48:49], v[62:63], v[56:57], v[4:5] neg_lo:[0,0,1] neg_hi:[0,0,1]
	v_pk_fma_f32 v[50:51], v[62:63], v[56:57], v[4:5] op_sel_hi:[1,0,1]
	v_mul_f32_e32 v4, v65, v59
	v_mul_f32_e32 v0, v67, v55
	;; [unrolled: 1-line block ×4, first 2 shown]
	v_fma_f32 v50, v64, v58, -v4
	v_pk_mul_f32 v[4:5], v[64:65], v[60:61] op_sel:[1,1] op_sel_hi:[0,1]
	v_fma_f32 v100, v66, v54, -v0
	v_fmac_f32_e32 v44, v67, v54
	v_fmac_f32_e32 v101, v63, v54
	v_pk_fma_f32 v[52:53], v[64:65], v[60:61], v[4:5] neg_lo:[0,0,1] neg_hi:[0,0,1]
	v_pk_fma_f32 v[54:55], v[64:65], v[60:61], v[4:5] op_sel_hi:[1,0,1]
	ds_read2_b64 v[4:7], v33 offset0:192 offset1:208
	v_mul_f32_e32 v97, v66, v57
	v_mul_f32_e32 v1, v67, v57
	v_fmac_f32_e32 v97, v67, v56
	v_fma_f32 v67, v68, v58, -v2
	s_waitcnt lgkmcnt(0)
	v_mul_f32_e32 v8, v71, v5
	v_fma_f32 v54, v70, v4, -v8
	v_mul_f32_e32 v8, v71, v7
	v_fma_f32 v68, v68, v60, -v3
	v_fma_f32 v60, v70, v6, -v8
	ds_read2_b64 v[8:11], v33 offset0:224 offset1:240
	v_fma_f32 v66, v66, v56, -v1
	ds_read_b128 v[0:3], v35 offset:1072
	v_mul_f32_e32 v59, v64, v59
	v_fmac_f32_e32 v59, v65, v58
	s_waitcnt lgkmcnt(1)
	v_mul_f32_e32 v13, v73, v9
	v_mul_f32_e32 v58, v70, v5
	;; [unrolled: 1-line block ×3, first 2 shown]
	v_fma_f32 v62, v72, v8, -v13
	v_mul_f32_e32 v13, v73, v11
	v_fmac_f32_e32 v58, v71, v4
	v_fmac_f32_e32 v61, v71, v6
	v_fma_f32 v64, v72, v10, -v13
	s_waitcnt lgkmcnt(0)
	v_mul_f32_e32 v13, v1, v5
	v_mul_f32_e32 v71, v0, v5
	v_fma_f32 v70, v0, v4, -v13
	v_fmac_f32_e32 v71, v1, v4
	v_pk_mul_f32 v[4:5], v[0:1], v[6:7] op_sel:[1,1] op_sel_hi:[0,1]
	v_pk_fma_f32 v[56:57], v[0:1], v[6:7], v[4:5] neg_lo:[0,0,1] neg_hi:[0,0,1]
	v_pk_fma_f32 v[0:1], v[0:1], v[6:7], v[4:5] op_sel_hi:[1,0,1]
	v_mul_f32_e32 v63, v72, v9
	v_mul_f32_e32 v0, v3, v9
	;; [unrolled: 1-line block ×3, first 2 shown]
	v_pk_mul_f32 v[4:5], v[2:3], v[10:11] op_sel:[1,1] op_sel_hi:[0,1]
	v_mul_f32_e32 v65, v72, v11
	v_fma_f32 v72, v2, v8, -v0
	v_fmac_f32_e32 v9, v3, v8
	v_pk_fma_f32 v[6:7], v[2:3], v[10:11], v[4:5] neg_lo:[0,0,1] neg_hi:[0,0,1]
	v_pk_fma_f32 v[2:3], v[2:3], v[10:11], v[4:5] op_sel_hi:[1,0,1]
	v_mov_b32_e32 v79, v17
	v_fmac_f32_e32 v63, v73, v8
	v_fmac_f32_e32 v65, v73, v10
	v_add_f32_e32 v2, v32, v89
	v_add_f32_e32 v4, v34, v80
	;; [unrolled: 1-line block ×6, first 2 shown]
	v_mov_b32_e32 v13, v15
	v_mov_b32_e32 v57, v1
	v_pk_add_f32 v[0:1], v[20:21], v[78:79]
	v_mov_b32_e32 v19, v43
	v_mov_b32_e32 v7, v3
	v_add_f32_e32 v2, v2, v82
	v_add_f32_e32 v3, v4, v83
	v_add_f32_e32 v4, v5, v84
	v_add_f32_e32 v5, v8, v85
	v_add_f32_e32 v8, v10, v74
	v_add_f32_e32 v10, v11, v88
	v_pk_add_f32 v[0:1], v[0:1], v[12:13]
	v_mov_b32_e32 v47, v45
	v_add_f32_e32 v2, v2, v77
	v_add_f32_e32 v3, v3, v91
	v_add_f32_e32 v4, v4, v92
	v_add_f32_e32 v5, v5, v16
	v_add_f32_e32 v8, v8, v96
	v_add_f32_e32 v10, v10, v76
	v_pk_add_f32 v[0:1], v[0:1], v[18:19]
	;; [unrolled: 8-line block ×4, first 2 shown]
	v_add_f32_e32 v2, v2, v67
	v_add_f32_e32 v3, v3, v98
	v_add_f32_e32 v4, v4, v68
	v_add_f32_e32 v5, v5, v99
	v_add_f32_e32 v8, v8, v50
	v_add_f32_e32 v10, v10, v59
	v_pk_add_f32 v[0:1], v[0:1], v[52:53]
	v_add_f32_e32 v2, v2, v54
	v_add_f32_e32 v3, v3, v58
	v_add_f32_e32 v4, v4, v60
	v_add_f32_e32 v5, v5, v61
	v_add_f32_e32 v8, v8, v70
	v_add_f32_e32 v10, v10, v71
	v_pk_add_f32 v[0:1], v[0:1], v[56:57]
	;; [unrolled: 7-line block ×3, first 2 shown]
	s_barrier
	s_cbranch_vccnz .LBB250_2
.LBB250_3:
	s_lshl_b64 s[8:9], s[38:39], 3
	s_waitcnt lgkmcnt(0)
	s_add_u32 s4, s4, s8
	s_addc_u32 s5, s5, s9
	s_or_b32 s8, s6, s7
	s_bitset0_b32 s8, 31
	v_lshl_add_u64 v[0:1], s[24:25], 0, v[26:27]
	s_cmp_lg_u32 s8, 0
	v_lshl_add_u64 v[2:3], s[2:3], 0, v[24:25]
	s_mov_b32 s2, s11
	s_mov_b32 s3, s10
	s_cbranch_scc1 .LBB250_5
; %bb.4:
	v_mul_lo_u32 v6, v1, s36
	v_mul_lo_u32 v7, v0, s37
	v_mad_u64_u32 v[4:5], s[8:9], v0, s36, 0
	v_add3_u32 v5, v5, v7, v6
	v_pk_mul_f32 v[10:11], v[34:35], s[2:3] op_sel_hi:[0,1]
	v_lshl_add_u64 v[4:5], v[4:5], 3, s[4:5]
	v_lshlrev_b64 v[6:7], 3, v[2:3]
	v_pk_fma_f32 v[12:13], v[32:33], s[2:3], v[10:11] op_sel:[0,1,0] op_sel_hi:[1,0,1] neg_lo:[0,0,1] neg_hi:[0,0,1]
	v_pk_fma_f32 v[10:11], v[32:33], s[2:3], v[10:11] op_sel:[0,1,0] op_sel_hi:[0,0,1]
	v_lshl_add_u64 v[8:9], v[4:5], 0, v[6:7]
	v_mov_b32_e32 v13, v11
	v_pk_mul_f32 v[10:11], v[30:31], s[2:3] op_sel_hi:[0,1]
	flat_store_dwordx2 v[8:9], v[12:13]
	v_pk_fma_f32 v[12:13], v[28:29], s[2:3], v[10:11] op_sel:[0,1,0] op_sel_hi:[1,0,1] neg_lo:[0,0,1] neg_hi:[0,0,1]
	v_pk_fma_f32 v[10:11], v[28:29], s[2:3], v[10:11] op_sel:[0,1,0] op_sel_hi:[0,0,1]
	s_lshl_b64 s[8:9], s[36:37], 7
	v_mov_b32_e32 v13, v11
	v_lshl_add_u64 v[4:5], v[4:5], 0, s[8:9]
	flat_store_dwordx2 v[8:9], v[12:13] offset:128
	v_lshl_add_u64 v[8:9], v[4:5], 0, v[6:7]
	v_mov_b32_e32 v4, v23
	v_pk_mul_f32 v[4:5], v[4:5], s[2:3] op_sel_hi:[0,1]
	v_pk_fma_f32 v[6:7], v[22:23], s[2:3], v[4:5] op_sel:[0,1,0] op_sel_hi:[1,0,1] neg_lo:[0,0,1] neg_hi:[0,0,1]
	v_pk_fma_f32 v[4:5], v[22:23], s[2:3], v[4:5] op_sel:[0,1,0] op_sel_hi:[0,0,1]
	v_mov_b32_e32 v7, v5
	v_mul_f32_e32 v4, s3, v20
	flat_store_dwordx2 v[8:9], v[6:7]
	v_fma_f32 v7, -v21, s2, v4
	v_pk_mul_f32 v[4:5], v[20:21], s[2:3]
	s_mov_b64 s[8:9], 0x80
	v_add_f32_e32 v6, v4, v5
	v_lshl_add_u64 v[4:5], v[8:9], 0, s[8:9]
	flat_store_dword v[8:9], v7 offset:128
	s_cbranch_execz .LBB250_6
	s_branch .LBB250_7
.LBB250_5:
                                        ; implicit-def: $vgpr6
                                        ; implicit-def: $vgpr4_vgpr5
.LBB250_6:
	s_lshl_b64 s[8:9], s[28:29], 3
	s_add_u32 s0, s0, s8
	s_addc_u32 s1, s1, s9
	v_mul_lo_u32 v6, v1, s26
	v_mul_lo_u32 v7, v0, s27
	v_mad_u64_u32 v[4:5], s[8:9], v0, s26, 0
	v_add3_u32 v5, v5, v7, v6
	v_lshl_add_u64 v[4:5], v[4:5], 3, s[0:1]
	v_lshlrev_b64 v[2:3], 3, v[2:3]
	v_lshl_add_u64 v[6:7], v[4:5], 0, v[2:3]
	flat_load_dwordx2 v[8:9], v[6:7]
	v_mul_lo_u32 v12, v1, s36
	v_mul_lo_u32 v13, v0, s37
	v_mad_u64_u32 v[0:1], s[0:1], v0, s36, 0
	s_mov_b32 s0, s7
	v_pk_mul_f32 v[10:11], v[34:35], s[2:3] op_sel_hi:[0,1]
	v_add3_u32 v1, v1, v13, v12
	v_pk_fma_f32 v[12:13], v[32:33], s[2:3], v[10:11] op_sel:[0,1,0] op_sel_hi:[1,0,1] neg_lo:[0,0,1] neg_hi:[0,0,1]
	v_pk_fma_f32 v[10:11], v[32:33], s[2:3], v[10:11] op_sel:[0,1,0] op_sel_hi:[0,0,1]
	v_lshl_add_u64 v[0:1], v[0:1], 3, s[4:5]
	v_mov_b32_e32 v13, v11
	v_lshl_add_u64 v[10:11], v[0:1], 0, v[2:3]
	s_lshl_b64 s[4:5], s[26:27], 7
	v_lshl_add_u64 v[4:5], v[4:5], 0, s[4:5]
	v_lshl_add_u64 v[4:5], v[4:5], 0, v[2:3]
	s_lshl_b64 s[4:5], s[36:37], 7
	v_lshl_add_u64 v[0:1], v[0:1], 0, s[4:5]
	v_lshl_add_u64 v[0:1], v[0:1], 0, v[2:3]
	s_mov_b32 s11, s6
	s_waitcnt vmcnt(0) lgkmcnt(0)
	v_pk_mul_f32 v[14:15], v[8:9], s[0:1] op_sel_hi:[1,0]
	s_nop 0
	v_pk_fma_f32 v[16:17], v[8:9], s[6:7], v[14:15] op_sel:[0,0,1] op_sel_hi:[1,1,0] neg_lo:[0,0,1] neg_hi:[0,0,1]
	v_pk_fma_f32 v[8:9], v[8:9], s[6:7], v[14:15] op_sel:[0,0,1] op_sel_hi:[1,0,0]
	s_nop 0
	v_mov_b32_e32 v17, v9
	v_pk_add_f32 v[8:9], v[12:13], v[16:17]
	flat_store_dwordx2 v[10:11], v[8:9]
	flat_load_dwordx2 v[6:7], v[6:7] offset:128
	v_pk_mul_f32 v[8:9], v[30:31], s[2:3] op_sel_hi:[0,1]
	v_pk_fma_f32 v[12:13], v[28:29], s[2:3], v[8:9] op_sel:[0,1,0] op_sel_hi:[1,0,1] neg_lo:[0,0,1] neg_hi:[0,0,1]
	v_pk_fma_f32 v[8:9], v[28:29], s[2:3], v[8:9] op_sel:[0,1,0] op_sel_hi:[0,0,1]
	v_mov_b32_e32 v13, v9
	s_waitcnt vmcnt(0) lgkmcnt(0)
	v_pk_mul_f32 v[8:9], v[6:7], s[0:1] op_sel_hi:[1,0]
	s_nop 0
	v_pk_fma_f32 v[14:15], v[6:7], s[6:7], v[8:9] op_sel:[0,0,1] op_sel_hi:[1,1,0] neg_lo:[0,0,1] neg_hi:[0,0,1]
	v_pk_fma_f32 v[6:7], v[6:7], s[6:7], v[8:9] op_sel:[0,0,1] op_sel_hi:[1,0,0]
	v_mov_b32_e32 v8, v23
	v_mov_b32_e32 v15, v7
	v_pk_add_f32 v[6:7], v[12:13], v[14:15]
	flat_store_dwordx2 v[10:11], v[6:7] offset:128
	flat_load_dwordx2 v[6:7], v[4:5]
	v_pk_mul_f32 v[8:9], v[8:9], s[2:3] op_sel_hi:[0,1]
	v_pk_fma_f32 v[10:11], v[22:23], s[2:3], v[8:9] op_sel:[0,1,0] op_sel_hi:[1,0,1] neg_lo:[0,0,1] neg_hi:[0,0,1]
	v_pk_fma_f32 v[8:9], v[22:23], s[2:3], v[8:9] op_sel:[0,1,0] op_sel_hi:[0,0,1]
	v_mov_b32_e32 v11, v9
	s_waitcnt vmcnt(0) lgkmcnt(0)
	v_pk_mul_f32 v[2:3], v[6:7], s[0:1] op_sel_hi:[1,0]
	s_nop 0
	v_pk_fma_f32 v[8:9], v[6:7], s[6:7], v[2:3] op_sel:[0,0,1] op_sel_hi:[1,1,0] neg_lo:[0,0,1] neg_hi:[0,0,1]
	v_pk_fma_f32 v[2:3], v[6:7], s[6:7], v[2:3] op_sel:[0,0,1] op_sel_hi:[1,0,0]
	v_mov_b32_e32 v6, v20
	v_mov_b32_e32 v9, v3
	v_pk_add_f32 v[2:3], v[10:11], v[8:9]
	flat_store_dwordx2 v[0:1], v[2:3]
	flat_load_dwordx2 v[2:3], v[4:5] offset:128
	v_mul_f32_e32 v4, s3, v20
	s_mov_b32 s3, s7
	s_mov_b64 s[0:1], 0x80
	v_fma_f32 v8, -v21, s2, v4
	v_lshl_add_u64 v[4:5], v[0:1], 0, s[0:1]
	s_waitcnt vmcnt(0) lgkmcnt(0)
	v_mul_f32_e32 v9, s7, v3
	v_mov_b32_e32 v7, v2
	v_fma_f32 v9, v2, s6, -v9
	v_mov_b32_e32 v2, v21
	v_pk_mul_f32 v[2:3], v[2:3], s[10:11]
	v_add_f32_e32 v8, v8, v9
	v_pk_fma_f32 v[2:3], v[6:7], s[2:3], v[2:3]
	flat_store_dword v[0:1], v8 offset:128
	v_add_f32_e32 v6, v2, v3
.LBB250_7:
	flat_store_dword v[4:5], v6 offset:4
	s_endpgm
	.section	.rodata,"a",@progbits
	.p2align	6, 0x0
	.amdhsa_kernel _ZN12_GLOBAL__N_127rocblas_gemm_batched_kernelI19rocblas_complex_numIfELi16ELi16ELi32ELi32ELi8ELi32ELi8ELi8ELi32ELc78ELc67EKPKS2_S5_KPS2_EEvlllT_PT11_llSA_llS8_PT12_llPT13_lli
		.amdhsa_group_segment_fixed_size 4096
		.amdhsa_private_segment_fixed_size 0
		.amdhsa_kernarg_size 140
		.amdhsa_user_sgpr_count 2
		.amdhsa_user_sgpr_dispatch_ptr 0
		.amdhsa_user_sgpr_queue_ptr 0
		.amdhsa_user_sgpr_kernarg_segment_ptr 1
		.amdhsa_user_sgpr_dispatch_id 0
		.amdhsa_user_sgpr_kernarg_preload_length 0
		.amdhsa_user_sgpr_kernarg_preload_offset 0
		.amdhsa_user_sgpr_private_segment_size 0
		.amdhsa_uses_dynamic_stack 0
		.amdhsa_enable_private_segment 0
		.amdhsa_system_sgpr_workgroup_id_x 1
		.amdhsa_system_sgpr_workgroup_id_y 1
		.amdhsa_system_sgpr_workgroup_id_z 1
		.amdhsa_system_sgpr_workgroup_info 0
		.amdhsa_system_vgpr_workitem_id 1
		.amdhsa_next_free_vgpr 102
		.amdhsa_next_free_sgpr 42
		.amdhsa_accum_offset 104
		.amdhsa_reserve_vcc 1
		.amdhsa_float_round_mode_32 0
		.amdhsa_float_round_mode_16_64 0
		.amdhsa_float_denorm_mode_32 3
		.amdhsa_float_denorm_mode_16_64 3
		.amdhsa_dx10_clamp 1
		.amdhsa_ieee_mode 1
		.amdhsa_fp16_overflow 0
		.amdhsa_tg_split 0
		.amdhsa_exception_fp_ieee_invalid_op 0
		.amdhsa_exception_fp_denorm_src 0
		.amdhsa_exception_fp_ieee_div_zero 0
		.amdhsa_exception_fp_ieee_overflow 0
		.amdhsa_exception_fp_ieee_underflow 0
		.amdhsa_exception_fp_ieee_inexact 0
		.amdhsa_exception_int_div_zero 0
	.end_amdhsa_kernel
	.section	.text._ZN12_GLOBAL__N_127rocblas_gemm_batched_kernelI19rocblas_complex_numIfELi16ELi16ELi32ELi32ELi8ELi32ELi8ELi8ELi32ELc78ELc67EKPKS2_S5_KPS2_EEvlllT_PT11_llSA_llS8_PT12_llPT13_lli,"axG",@progbits,_ZN12_GLOBAL__N_127rocblas_gemm_batched_kernelI19rocblas_complex_numIfELi16ELi16ELi32ELi32ELi8ELi32ELi8ELi8ELi32ELc78ELc67EKPKS2_S5_KPS2_EEvlllT_PT11_llSA_llS8_PT12_llPT13_lli,comdat
.Lfunc_end250:
	.size	_ZN12_GLOBAL__N_127rocblas_gemm_batched_kernelI19rocblas_complex_numIfELi16ELi16ELi32ELi32ELi8ELi32ELi8ELi8ELi32ELc78ELc67EKPKS2_S5_KPS2_EEvlllT_PT11_llSA_llS8_PT12_llPT13_lli, .Lfunc_end250-_ZN12_GLOBAL__N_127rocblas_gemm_batched_kernelI19rocblas_complex_numIfELi16ELi16ELi32ELi32ELi8ELi32ELi8ELi8ELi32ELc78ELc67EKPKS2_S5_KPS2_EEvlllT_PT11_llSA_llS8_PT12_llPT13_lli
                                        ; -- End function
	.set _ZN12_GLOBAL__N_127rocblas_gemm_batched_kernelI19rocblas_complex_numIfELi16ELi16ELi32ELi32ELi8ELi32ELi8ELi8ELi32ELc78ELc67EKPKS2_S5_KPS2_EEvlllT_PT11_llSA_llS8_PT12_llPT13_lli.num_vgpr, 102
	.set _ZN12_GLOBAL__N_127rocblas_gemm_batched_kernelI19rocblas_complex_numIfELi16ELi16ELi32ELi32ELi8ELi32ELi8ELi8ELi32ELc78ELc67EKPKS2_S5_KPS2_EEvlllT_PT11_llSA_llS8_PT12_llPT13_lli.num_agpr, 0
	.set _ZN12_GLOBAL__N_127rocblas_gemm_batched_kernelI19rocblas_complex_numIfELi16ELi16ELi32ELi32ELi8ELi32ELi8ELi8ELi32ELc78ELc67EKPKS2_S5_KPS2_EEvlllT_PT11_llSA_llS8_PT12_llPT13_lli.numbered_sgpr, 42
	.set _ZN12_GLOBAL__N_127rocblas_gemm_batched_kernelI19rocblas_complex_numIfELi16ELi16ELi32ELi32ELi8ELi32ELi8ELi8ELi32ELc78ELc67EKPKS2_S5_KPS2_EEvlllT_PT11_llSA_llS8_PT12_llPT13_lli.num_named_barrier, 0
	.set _ZN12_GLOBAL__N_127rocblas_gemm_batched_kernelI19rocblas_complex_numIfELi16ELi16ELi32ELi32ELi8ELi32ELi8ELi8ELi32ELc78ELc67EKPKS2_S5_KPS2_EEvlllT_PT11_llSA_llS8_PT12_llPT13_lli.private_seg_size, 0
	.set _ZN12_GLOBAL__N_127rocblas_gemm_batched_kernelI19rocblas_complex_numIfELi16ELi16ELi32ELi32ELi8ELi32ELi8ELi8ELi32ELc78ELc67EKPKS2_S5_KPS2_EEvlllT_PT11_llSA_llS8_PT12_llPT13_lli.uses_vcc, 1
	.set _ZN12_GLOBAL__N_127rocblas_gemm_batched_kernelI19rocblas_complex_numIfELi16ELi16ELi32ELi32ELi8ELi32ELi8ELi8ELi32ELc78ELc67EKPKS2_S5_KPS2_EEvlllT_PT11_llSA_llS8_PT12_llPT13_lli.uses_flat_scratch, 0
	.set _ZN12_GLOBAL__N_127rocblas_gemm_batched_kernelI19rocblas_complex_numIfELi16ELi16ELi32ELi32ELi8ELi32ELi8ELi8ELi32ELc78ELc67EKPKS2_S5_KPS2_EEvlllT_PT11_llSA_llS8_PT12_llPT13_lli.has_dyn_sized_stack, 0
	.set _ZN12_GLOBAL__N_127rocblas_gemm_batched_kernelI19rocblas_complex_numIfELi16ELi16ELi32ELi32ELi8ELi32ELi8ELi8ELi32ELc78ELc67EKPKS2_S5_KPS2_EEvlllT_PT11_llSA_llS8_PT12_llPT13_lli.has_recursion, 0
	.set _ZN12_GLOBAL__N_127rocblas_gemm_batched_kernelI19rocblas_complex_numIfELi16ELi16ELi32ELi32ELi8ELi32ELi8ELi8ELi32ELc78ELc67EKPKS2_S5_KPS2_EEvlllT_PT11_llSA_llS8_PT12_llPT13_lli.has_indirect_call, 0
	.section	.AMDGPU.csdata,"",@progbits
; Kernel info:
; codeLenInByte = 2504
; TotalNumSgprs: 48
; NumVgprs: 102
; NumAgprs: 0
; TotalNumVgprs: 102
; ScratchSize: 0
; MemoryBound: 0
; FloatMode: 240
; IeeeMode: 1
; LDSByteSize: 4096 bytes/workgroup (compile time only)
; SGPRBlocks: 5
; VGPRBlocks: 12
; NumSGPRsForWavesPerEU: 48
; NumVGPRsForWavesPerEU: 102
; AccumOffset: 104
; Occupancy: 4
; WaveLimiterHint : 1
; COMPUTE_PGM_RSRC2:SCRATCH_EN: 0
; COMPUTE_PGM_RSRC2:USER_SGPR: 2
; COMPUTE_PGM_RSRC2:TRAP_HANDLER: 0
; COMPUTE_PGM_RSRC2:TGID_X_EN: 1
; COMPUTE_PGM_RSRC2:TGID_Y_EN: 1
; COMPUTE_PGM_RSRC2:TGID_Z_EN: 1
; COMPUTE_PGM_RSRC2:TIDIG_COMP_CNT: 1
; COMPUTE_PGM_RSRC3_GFX90A:ACCUM_OFFSET: 25
; COMPUTE_PGM_RSRC3_GFX90A:TG_SPLIT: 0
	.section	.text._ZN12_GLOBAL__N_127rocblas_gemm_batched_kernelI19rocblas_complex_numIfELi16ELi16ELi32ELi32ELi8ELi32ELi8ELi8ELi32ELc84ELc67EKPKS2_S5_KPS2_EEvlllT_PT11_llSA_llS8_PT12_llPT13_lli,"axG",@progbits,_ZN12_GLOBAL__N_127rocblas_gemm_batched_kernelI19rocblas_complex_numIfELi16ELi16ELi32ELi32ELi8ELi32ELi8ELi8ELi32ELc84ELc67EKPKS2_S5_KPS2_EEvlllT_PT11_llSA_llS8_PT12_llPT13_lli,comdat
	.globl	_ZN12_GLOBAL__N_127rocblas_gemm_batched_kernelI19rocblas_complex_numIfELi16ELi16ELi32ELi32ELi8ELi32ELi8ELi8ELi32ELc84ELc67EKPKS2_S5_KPS2_EEvlllT_PT11_llSA_llS8_PT12_llPT13_lli ; -- Begin function _ZN12_GLOBAL__N_127rocblas_gemm_batched_kernelI19rocblas_complex_numIfELi16ELi16ELi32ELi32ELi8ELi32ELi8ELi8ELi32ELc84ELc67EKPKS2_S5_KPS2_EEvlllT_PT11_llSA_llS8_PT12_llPT13_lli
	.p2align	8
	.type	_ZN12_GLOBAL__N_127rocblas_gemm_batched_kernelI19rocblas_complex_numIfELi16ELi16ELi32ELi32ELi8ELi32ELi8ELi8ELi32ELc84ELc67EKPKS2_S5_KPS2_EEvlllT_PT11_llSA_llS8_PT12_llPT13_lli,@function
_ZN12_GLOBAL__N_127rocblas_gemm_batched_kernelI19rocblas_complex_numIfELi16ELi16ELi32ELi32ELi8ELi32ELi8ELi8ELi32ELc84ELc67EKPKS2_S5_KPS2_EEvlllT_PT11_llSA_llS8_PT12_llPT13_lli: ; @_ZN12_GLOBAL__N_127rocblas_gemm_batched_kernelI19rocblas_complex_numIfELi16ELi16ELi32ELi32ELi8ELi32ELi8ELi8ELi32ELc84ELc67EKPKS2_S5_KPS2_EEvlllT_PT11_llSA_llS8_PT12_llPT13_lli
; %bb.0:
	s_load_dwordx16 s[8:23], s[0:1], 0x10
	s_load_dwordx4 s[36:39], s[0:1], 0x78
	s_load_dwordx8 s[24:31], s[0:1], 0x58
	s_load_dwordx2 s[6:7], s[0:1], 0x50
	s_mov_b32 s5, 0
	s_lshl_b64 s[34:35], s[4:5], 3
	s_mov_b32 s40, s3
	s_waitcnt lgkmcnt(0)
	s_add_u32 s0, s24, s34
	s_addc_u32 s1, s25, s35
	s_add_u32 s4, s30, s34
	s_addc_u32 s5, s31, s35
	s_load_dwordx2 s[0:1], s[0:1], 0x0
	v_mov_b32_e32 v27, 0
	s_load_dwordx2 s[4:5], s[4:5], 0x0
	s_ashr_i32 s3, s2, 31
	s_ashr_i32 s41, s40, 31
	v_cmp_lt_i64_e64 s[30:31], s[8:9], 1
	v_bfe_u32 v26, v0, 10, 10
	v_and_b32_e32 v24, 0x3ff, v0
	v_mov_b32_e32 v25, v27
	s_lshl_b64 s[2:3], s[2:3], 5
	s_lshl_b64 s[24:25], s[40:41], 5
	s_and_b64 vcc, exec, s[30:31]
	v_mov_b32_e32 v21, v27
	v_mov_b32_e32 v20, v27
	;; [unrolled: 1-line block ×8, first 2 shown]
	s_cbranch_vccnz .LBB251_3
; %bb.1:
	v_lshl_add_u32 v4, v26, 4, v24
	v_lshrrev_b32_e32 v22, 3, v4
	v_mov_b32_e32 v23, 0
	v_lshl_add_u64 v[0:1], v[22:23], 0, s[24:25]
	v_and_b32_e32 v5, 7, v24
	v_mad_u64_u32 v[0:1], s[30:31], s20, v5, v[0:1]
	s_add_u32 s12, s12, s34
	v_mov_b32_e32 v2, v1
	s_addc_u32 s13, s13, s35
	v_mad_u64_u32 v[2:3], s[30:31], s21, v5, v[2:3]
	v_lshlrev_b32_e32 v5, 3, v5
	s_add_u32 s18, s18, s34
	v_mov_b32_e32 v1, v2
	v_and_b32_e32 v2, 31, v4
	v_mov_b32_e32 v3, v23
	v_lshl_or_b32 v5, v22, 6, v5
	s_load_dwordx2 s[12:13], s[12:13], 0x0
	s_addc_u32 s19, s19, s35
	v_lshrrev_b32_e32 v4, 5, v4
	v_lshlrev_b32_e32 v6, 3, v2
	v_add_u32_e32 v31, 0x800, v5
	v_mov_b32_e32 v5, 0x800
	v_lshl_add_u64 v[2:3], s[2:3], 0, v[2:3]
	s_load_dwordx2 s[18:19], s[18:19], 0x0
	v_lshl_or_b32 v29, v4, 8, v6
	v_lshl_add_u32 v35, v26, 6, v5
	v_mul_lo_u32 v5, s15, v2
	v_mul_lo_u32 v6, s14, v3
	v_mad_u64_u32 v[2:3], s[14:15], s14, v2, 0
	v_add3_u32 v3, v3, v6, v5
	s_lshl_b64 s[14:15], s[16:17], 3
	v_lshl_add_u64 v[2:3], v[2:3], 3, s[14:15]
	v_lshlrev_b32_e32 v22, 3, v4
	v_lshl_add_u64 v[2:3], v[2:3], 0, v[22:23]
	s_waitcnt lgkmcnt(0)
	v_lshl_add_u64 v[36:37], s[12:13], 0, v[2:3]
	s_lshl_b64 s[12:13], s[22:23], 3
	s_add_u32 s12, s18, s12
	s_addc_u32 s13, s19, s13
	v_lshlrev_b32_e32 v33, 3, v24
	v_lshl_add_u64 v[38:39], v[0:1], 3, s[12:13]
	s_lshl_b64 s[12:13], s[20:21], 6
	s_mov_b64 s[14:15], 0
	v_mov_b64_e32 v[40:41], s[8:9]
	v_mov_b32_e32 v22, v23
	v_mov_b32_e32 v30, v23
	;; [unrolled: 1-line block ×7, first 2 shown]
.LBB251_2:                              ; =>This Inner Loop Header: Depth=1
	flat_load_dwordx2 v[0:1], v[36:37]
	s_add_u32 s14, s14, 8
	s_addc_u32 s15, s15, 0
	v_cmp_lt_i64_e32 vcc, s[14:15], v[40:41]
	v_lshl_add_u64 v[36:37], v[36:37], 0, 64
	s_and_b64 vcc, exec, vcc
	s_waitcnt vmcnt(0) lgkmcnt(0)
	ds_write_b64 v29, v[0:1]
	flat_load_dwordx2 v[0:1], v[38:39]
	v_lshl_add_u64 v[38:39], v[38:39], 0, s[12:13]
	s_waitcnt vmcnt(0) lgkmcnt(0)
	v_xor_b32_e32 v1, 0x80000000, v1
	ds_write_b64 v31, v[0:1]
	s_waitcnt lgkmcnt(0)
	s_barrier
	ds_read2_b64 v[4:7], v33 offset1:16
	ds_read_b128 v[8:11], v35
	ds_read_b128 v[0:3], v35 offset:16
	ds_read2_b64 v[12:15], v33 offset0:32 offset1:48
	ds_read_b128 v[16:19], v35 offset:1024
	ds_read_b128 v[42:45], v35 offset:1040
	ds_read2_b64 v[46:49], v33 offset0:64 offset1:80
	ds_read2_b64 v[50:53], v33 offset0:96 offset1:112
	;; [unrolled: 1-line block ×4, first 2 shown]
	ds_read_b128 v[62:65], v35 offset:1056
	ds_read_b128 v[66:69], v35 offset:32
	;; [unrolled: 1-line block ×3, first 2 shown]
	s_waitcnt lgkmcnt(11)
	v_mul_f32_e32 v78, v9, v5
	v_mul_f32_e32 v80, v8, v5
	v_mul_f32_e32 v79, v9, v7
	v_mul_f32_e32 v81, v8, v7
	s_waitcnt lgkmcnt(9)
	v_mul_f32_e32 v82, v11, v13
	v_mul_f32_e32 v83, v10, v13
	;; [unrolled: 1-line block ×4, first 2 shown]
	s_waitcnt lgkmcnt(8)
	v_mul_f32_e32 v86, v17, v5
	v_mul_f32_e32 v87, v16, v5
	v_pk_mul_f32 v[74:75], v[16:17], v[6:7] op_sel:[1,1] op_sel_hi:[0,1]
	v_mul_f32_e32 v5, v19, v13
	v_mul_f32_e32 v88, v18, v13
	v_pk_mul_f32 v[76:77], v[18:19], v[14:15] op_sel:[1,1] op_sel_hi:[0,1]
	v_fma_f32 v89, v8, v4, -v78
	v_fmac_f32_e32 v80, v9, v4
	v_fma_f32 v90, v8, v6, -v79
	v_fmac_f32_e32 v81, v9, v6
	;; [unrolled: 2-line block ×5, first 2 shown]
	v_pk_fma_f32 v[78:79], v[16:17], v[6:7], v[74:75] neg_lo:[0,0,1] neg_hi:[0,0,1]
	v_pk_fma_f32 v[16:17], v[16:17], v[6:7], v[74:75] op_sel_hi:[1,0,1]
	v_fma_f32 v74, v18, v12, -v5
	v_fmac_f32_e32 v88, v19, v12
	v_pk_fma_f32 v[12:13], v[18:19], v[14:15], v[76:77] neg_lo:[0,0,1] neg_hi:[0,0,1]
	v_pk_fma_f32 v[14:15], v[18:19], v[14:15], v[76:77] op_sel_hi:[1,0,1]
	s_waitcnt lgkmcnt(5)
	v_mul_f32_e32 v7, v3, v51
	v_mul_f32_e32 v9, v3, v53
	;; [unrolled: 1-line block ×4, first 2 shown]
	v_pk_mul_f32 v[4:5], v[42:43], v[48:49] op_sel:[1,1] op_sel_hi:[0,1]
	v_mul_f32_e32 v8, v1, v47
	v_mul_f32_e32 v91, v0, v47
	v_mul_f32_e32 v6, v1, v49
	v_mul_f32_e32 v16, v0, v49
	v_mul_f32_e32 v14, v2, v51
	v_mul_f32_e32 v75, v2, v53
	v_fma_f32 v93, v2, v50, -v7
	v_fma_f32 v94, v2, v52, -v9
	v_mul_f32_e32 v2, v45, v51
	v_fma_f32 v96, v42, v46, -v10
	v_fmac_f32_e32 v76, v43, v46
	v_pk_fma_f32 v[18:19], v[42:43], v[48:49], v[4:5] neg_lo:[0,0,1] neg_hi:[0,0,1]
	v_pk_fma_f32 v[42:43], v[42:43], v[48:49], v[4:5] op_sel_hi:[1,0,1]
	s_waitcnt lgkmcnt(1)
	v_mul_f32_e32 v98, v68, v59
	v_mul_f32_e32 v99, v68, v61
	;; [unrolled: 1-line block ×3, first 2 shown]
	v_fma_f32 v77, v0, v46, -v8
	v_fmac_f32_e32 v91, v1, v46
	v_fma_f32 v92, v0, v48, -v6
	v_fmac_f32_e32 v16, v1, v48
	v_fmac_f32_e32 v14, v3, v50
	v_fmac_f32_e32 v75, v3, v52
	v_mul_f32_e32 v95, v44, v51
	v_pk_mul_f32 v[0:1], v[44:45], v[52:53] op_sel:[1,1] op_sel_hi:[0,1]
	v_fma_f32 v42, v44, v50, -v2
	v_mul_f32_e32 v2, v69, v59
	v_mul_f32_e32 v3, v69, v61
	v_fmac_f32_e32 v98, v69, v58
	v_fmac_f32_e32 v99, v69, v60
	v_fma_f32 v69, v62, v54, -v4
	v_pk_mul_f32 v[4:5], v[62:63], v[56:57] op_sel:[1,1] op_sel_hi:[0,1]
	v_fmac_f32_e32 v95, v45, v50
	v_pk_fma_f32 v[46:47], v[44:45], v[52:53], v[0:1] neg_lo:[0,0,1] neg_hi:[0,0,1]
	v_pk_fma_f32 v[44:45], v[44:45], v[52:53], v[0:1] op_sel_hi:[1,0,1]
	v_pk_fma_f32 v[48:49], v[62:63], v[56:57], v[4:5] neg_lo:[0,0,1] neg_hi:[0,0,1]
	v_pk_fma_f32 v[50:51], v[62:63], v[56:57], v[4:5] op_sel_hi:[1,0,1]
	v_mul_f32_e32 v4, v65, v59
	v_mul_f32_e32 v0, v67, v55
	;; [unrolled: 1-line block ×4, first 2 shown]
	v_fma_f32 v50, v64, v58, -v4
	v_pk_mul_f32 v[4:5], v[64:65], v[60:61] op_sel:[1,1] op_sel_hi:[0,1]
	v_fma_f32 v100, v66, v54, -v0
	v_fmac_f32_e32 v44, v67, v54
	v_fmac_f32_e32 v101, v63, v54
	v_pk_fma_f32 v[52:53], v[64:65], v[60:61], v[4:5] neg_lo:[0,0,1] neg_hi:[0,0,1]
	v_pk_fma_f32 v[54:55], v[64:65], v[60:61], v[4:5] op_sel_hi:[1,0,1]
	ds_read2_b64 v[4:7], v33 offset0:192 offset1:208
	v_mul_f32_e32 v97, v66, v57
	v_mul_f32_e32 v1, v67, v57
	v_fmac_f32_e32 v97, v67, v56
	v_fma_f32 v67, v68, v58, -v2
	s_waitcnt lgkmcnt(0)
	v_mul_f32_e32 v8, v71, v5
	v_fma_f32 v54, v70, v4, -v8
	v_mul_f32_e32 v8, v71, v7
	v_fma_f32 v68, v68, v60, -v3
	v_fma_f32 v60, v70, v6, -v8
	ds_read2_b64 v[8:11], v33 offset0:224 offset1:240
	v_fma_f32 v66, v66, v56, -v1
	ds_read_b128 v[0:3], v35 offset:1072
	v_mul_f32_e32 v59, v64, v59
	v_fmac_f32_e32 v59, v65, v58
	s_waitcnt lgkmcnt(1)
	v_mul_f32_e32 v13, v73, v9
	v_mul_f32_e32 v58, v70, v5
	;; [unrolled: 1-line block ×3, first 2 shown]
	v_fma_f32 v62, v72, v8, -v13
	v_mul_f32_e32 v13, v73, v11
	v_fmac_f32_e32 v58, v71, v4
	v_fmac_f32_e32 v61, v71, v6
	v_fma_f32 v64, v72, v10, -v13
	s_waitcnt lgkmcnt(0)
	v_mul_f32_e32 v13, v1, v5
	v_mul_f32_e32 v71, v0, v5
	v_fma_f32 v70, v0, v4, -v13
	v_fmac_f32_e32 v71, v1, v4
	v_pk_mul_f32 v[4:5], v[0:1], v[6:7] op_sel:[1,1] op_sel_hi:[0,1]
	v_pk_fma_f32 v[56:57], v[0:1], v[6:7], v[4:5] neg_lo:[0,0,1] neg_hi:[0,0,1]
	v_pk_fma_f32 v[0:1], v[0:1], v[6:7], v[4:5] op_sel_hi:[1,0,1]
	v_mul_f32_e32 v63, v72, v9
	v_mul_f32_e32 v0, v3, v9
	;; [unrolled: 1-line block ×3, first 2 shown]
	v_pk_mul_f32 v[4:5], v[2:3], v[10:11] op_sel:[1,1] op_sel_hi:[0,1]
	v_mul_f32_e32 v65, v72, v11
	v_fma_f32 v72, v2, v8, -v0
	v_fmac_f32_e32 v9, v3, v8
	v_pk_fma_f32 v[6:7], v[2:3], v[10:11], v[4:5] neg_lo:[0,0,1] neg_hi:[0,0,1]
	v_pk_fma_f32 v[2:3], v[2:3], v[10:11], v[4:5] op_sel_hi:[1,0,1]
	v_mov_b32_e32 v79, v17
	v_fmac_f32_e32 v63, v73, v8
	v_fmac_f32_e32 v65, v73, v10
	v_add_f32_e32 v2, v32, v89
	v_add_f32_e32 v4, v34, v80
	;; [unrolled: 1-line block ×6, first 2 shown]
	v_mov_b32_e32 v13, v15
	v_mov_b32_e32 v57, v1
	v_pk_add_f32 v[0:1], v[20:21], v[78:79]
	v_mov_b32_e32 v19, v43
	v_mov_b32_e32 v7, v3
	v_add_f32_e32 v2, v2, v82
	v_add_f32_e32 v3, v4, v83
	v_add_f32_e32 v4, v5, v84
	v_add_f32_e32 v5, v8, v85
	v_add_f32_e32 v8, v10, v74
	v_add_f32_e32 v10, v11, v88
	v_pk_add_f32 v[0:1], v[0:1], v[12:13]
	v_mov_b32_e32 v47, v45
	v_add_f32_e32 v2, v2, v77
	v_add_f32_e32 v3, v3, v91
	v_add_f32_e32 v4, v4, v92
	v_add_f32_e32 v5, v5, v16
	v_add_f32_e32 v8, v8, v96
	v_add_f32_e32 v10, v10, v76
	v_pk_add_f32 v[0:1], v[0:1], v[18:19]
	;; [unrolled: 8-line block ×4, first 2 shown]
	v_add_f32_e32 v2, v2, v67
	v_add_f32_e32 v3, v3, v98
	v_add_f32_e32 v4, v4, v68
	v_add_f32_e32 v5, v5, v99
	v_add_f32_e32 v8, v8, v50
	v_add_f32_e32 v10, v10, v59
	v_pk_add_f32 v[0:1], v[0:1], v[52:53]
	v_add_f32_e32 v2, v2, v54
	v_add_f32_e32 v3, v3, v58
	v_add_f32_e32 v4, v4, v60
	v_add_f32_e32 v5, v5, v61
	v_add_f32_e32 v8, v8, v70
	v_add_f32_e32 v10, v10, v71
	v_pk_add_f32 v[0:1], v[0:1], v[56:57]
	;; [unrolled: 7-line block ×3, first 2 shown]
	s_barrier
	s_cbranch_vccnz .LBB251_2
.LBB251_3:
	s_lshl_b64 s[8:9], s[38:39], 3
	s_waitcnt lgkmcnt(0)
	s_add_u32 s4, s4, s8
	s_addc_u32 s5, s5, s9
	s_or_b32 s8, s6, s7
	s_bitset0_b32 s8, 31
	v_lshl_add_u64 v[0:1], s[24:25], 0, v[26:27]
	s_cmp_lg_u32 s8, 0
	v_lshl_add_u64 v[2:3], s[2:3], 0, v[24:25]
	s_mov_b32 s2, s11
	s_mov_b32 s3, s10
	s_cbranch_scc1 .LBB251_5
; %bb.4:
	v_mul_lo_u32 v6, v1, s36
	v_mul_lo_u32 v7, v0, s37
	v_mad_u64_u32 v[4:5], s[8:9], v0, s36, 0
	v_add3_u32 v5, v5, v7, v6
	v_pk_mul_f32 v[10:11], v[34:35], s[2:3] op_sel_hi:[0,1]
	v_lshl_add_u64 v[4:5], v[4:5], 3, s[4:5]
	v_lshlrev_b64 v[6:7], 3, v[2:3]
	v_pk_fma_f32 v[12:13], v[32:33], s[2:3], v[10:11] op_sel:[0,1,0] op_sel_hi:[1,0,1] neg_lo:[0,0,1] neg_hi:[0,0,1]
	v_pk_fma_f32 v[10:11], v[32:33], s[2:3], v[10:11] op_sel:[0,1,0] op_sel_hi:[0,0,1]
	v_lshl_add_u64 v[8:9], v[4:5], 0, v[6:7]
	v_mov_b32_e32 v13, v11
	v_pk_mul_f32 v[10:11], v[30:31], s[2:3] op_sel_hi:[0,1]
	flat_store_dwordx2 v[8:9], v[12:13]
	v_pk_fma_f32 v[12:13], v[28:29], s[2:3], v[10:11] op_sel:[0,1,0] op_sel_hi:[1,0,1] neg_lo:[0,0,1] neg_hi:[0,0,1]
	v_pk_fma_f32 v[10:11], v[28:29], s[2:3], v[10:11] op_sel:[0,1,0] op_sel_hi:[0,0,1]
	s_lshl_b64 s[8:9], s[36:37], 7
	v_mov_b32_e32 v13, v11
	v_lshl_add_u64 v[4:5], v[4:5], 0, s[8:9]
	flat_store_dwordx2 v[8:9], v[12:13] offset:128
	v_lshl_add_u64 v[8:9], v[4:5], 0, v[6:7]
	v_mov_b32_e32 v4, v23
	v_pk_mul_f32 v[4:5], v[4:5], s[2:3] op_sel_hi:[0,1]
	v_pk_fma_f32 v[6:7], v[22:23], s[2:3], v[4:5] op_sel:[0,1,0] op_sel_hi:[1,0,1] neg_lo:[0,0,1] neg_hi:[0,0,1]
	v_pk_fma_f32 v[4:5], v[22:23], s[2:3], v[4:5] op_sel:[0,1,0] op_sel_hi:[0,0,1]
	v_mov_b32_e32 v7, v5
	v_mul_f32_e32 v4, s3, v20
	flat_store_dwordx2 v[8:9], v[6:7]
	v_fma_f32 v7, -v21, s2, v4
	v_pk_mul_f32 v[4:5], v[20:21], s[2:3]
	s_mov_b64 s[8:9], 0x80
	v_add_f32_e32 v6, v4, v5
	v_lshl_add_u64 v[4:5], v[8:9], 0, s[8:9]
	flat_store_dword v[8:9], v7 offset:128
	s_cbranch_execz .LBB251_6
	s_branch .LBB251_7
.LBB251_5:
                                        ; implicit-def: $vgpr6
                                        ; implicit-def: $vgpr4_vgpr5
.LBB251_6:
	s_lshl_b64 s[8:9], s[28:29], 3
	s_add_u32 s0, s0, s8
	s_addc_u32 s1, s1, s9
	v_mul_lo_u32 v6, v1, s26
	v_mul_lo_u32 v7, v0, s27
	v_mad_u64_u32 v[4:5], s[8:9], v0, s26, 0
	v_add3_u32 v5, v5, v7, v6
	v_lshl_add_u64 v[4:5], v[4:5], 3, s[0:1]
	v_lshlrev_b64 v[2:3], 3, v[2:3]
	v_lshl_add_u64 v[6:7], v[4:5], 0, v[2:3]
	flat_load_dwordx2 v[8:9], v[6:7]
	v_mul_lo_u32 v12, v1, s36
	v_mul_lo_u32 v13, v0, s37
	v_mad_u64_u32 v[0:1], s[0:1], v0, s36, 0
	s_mov_b32 s0, s7
	v_pk_mul_f32 v[10:11], v[34:35], s[2:3] op_sel_hi:[0,1]
	v_add3_u32 v1, v1, v13, v12
	v_pk_fma_f32 v[12:13], v[32:33], s[2:3], v[10:11] op_sel:[0,1,0] op_sel_hi:[1,0,1] neg_lo:[0,0,1] neg_hi:[0,0,1]
	v_pk_fma_f32 v[10:11], v[32:33], s[2:3], v[10:11] op_sel:[0,1,0] op_sel_hi:[0,0,1]
	v_lshl_add_u64 v[0:1], v[0:1], 3, s[4:5]
	v_mov_b32_e32 v13, v11
	v_lshl_add_u64 v[10:11], v[0:1], 0, v[2:3]
	s_lshl_b64 s[4:5], s[26:27], 7
	v_lshl_add_u64 v[4:5], v[4:5], 0, s[4:5]
	v_lshl_add_u64 v[4:5], v[4:5], 0, v[2:3]
	s_lshl_b64 s[4:5], s[36:37], 7
	v_lshl_add_u64 v[0:1], v[0:1], 0, s[4:5]
	v_lshl_add_u64 v[0:1], v[0:1], 0, v[2:3]
	s_mov_b32 s11, s6
	s_waitcnt vmcnt(0) lgkmcnt(0)
	v_pk_mul_f32 v[14:15], v[8:9], s[0:1] op_sel_hi:[1,0]
	s_nop 0
	v_pk_fma_f32 v[16:17], v[8:9], s[6:7], v[14:15] op_sel:[0,0,1] op_sel_hi:[1,1,0] neg_lo:[0,0,1] neg_hi:[0,0,1]
	v_pk_fma_f32 v[8:9], v[8:9], s[6:7], v[14:15] op_sel:[0,0,1] op_sel_hi:[1,0,0]
	s_nop 0
	v_mov_b32_e32 v17, v9
	v_pk_add_f32 v[8:9], v[12:13], v[16:17]
	flat_store_dwordx2 v[10:11], v[8:9]
	flat_load_dwordx2 v[6:7], v[6:7] offset:128
	v_pk_mul_f32 v[8:9], v[30:31], s[2:3] op_sel_hi:[0,1]
	v_pk_fma_f32 v[12:13], v[28:29], s[2:3], v[8:9] op_sel:[0,1,0] op_sel_hi:[1,0,1] neg_lo:[0,0,1] neg_hi:[0,0,1]
	v_pk_fma_f32 v[8:9], v[28:29], s[2:3], v[8:9] op_sel:[0,1,0] op_sel_hi:[0,0,1]
	v_mov_b32_e32 v13, v9
	s_waitcnt vmcnt(0) lgkmcnt(0)
	v_pk_mul_f32 v[8:9], v[6:7], s[0:1] op_sel_hi:[1,0]
	s_nop 0
	v_pk_fma_f32 v[14:15], v[6:7], s[6:7], v[8:9] op_sel:[0,0,1] op_sel_hi:[1,1,0] neg_lo:[0,0,1] neg_hi:[0,0,1]
	v_pk_fma_f32 v[6:7], v[6:7], s[6:7], v[8:9] op_sel:[0,0,1] op_sel_hi:[1,0,0]
	v_mov_b32_e32 v8, v23
	v_mov_b32_e32 v15, v7
	v_pk_add_f32 v[6:7], v[12:13], v[14:15]
	flat_store_dwordx2 v[10:11], v[6:7] offset:128
	flat_load_dwordx2 v[6:7], v[4:5]
	v_pk_mul_f32 v[8:9], v[8:9], s[2:3] op_sel_hi:[0,1]
	v_pk_fma_f32 v[10:11], v[22:23], s[2:3], v[8:9] op_sel:[0,1,0] op_sel_hi:[1,0,1] neg_lo:[0,0,1] neg_hi:[0,0,1]
	v_pk_fma_f32 v[8:9], v[22:23], s[2:3], v[8:9] op_sel:[0,1,0] op_sel_hi:[0,0,1]
	v_mov_b32_e32 v11, v9
	s_waitcnt vmcnt(0) lgkmcnt(0)
	v_pk_mul_f32 v[2:3], v[6:7], s[0:1] op_sel_hi:[1,0]
	s_nop 0
	v_pk_fma_f32 v[8:9], v[6:7], s[6:7], v[2:3] op_sel:[0,0,1] op_sel_hi:[1,1,0] neg_lo:[0,0,1] neg_hi:[0,0,1]
	v_pk_fma_f32 v[2:3], v[6:7], s[6:7], v[2:3] op_sel:[0,0,1] op_sel_hi:[1,0,0]
	v_mov_b32_e32 v6, v20
	v_mov_b32_e32 v9, v3
	v_pk_add_f32 v[2:3], v[10:11], v[8:9]
	flat_store_dwordx2 v[0:1], v[2:3]
	flat_load_dwordx2 v[2:3], v[4:5] offset:128
	v_mul_f32_e32 v4, s3, v20
	s_mov_b32 s3, s7
	s_mov_b64 s[0:1], 0x80
	v_fma_f32 v8, -v21, s2, v4
	v_lshl_add_u64 v[4:5], v[0:1], 0, s[0:1]
	s_waitcnt vmcnt(0) lgkmcnt(0)
	v_mul_f32_e32 v9, s7, v3
	v_mov_b32_e32 v7, v2
	v_fma_f32 v9, v2, s6, -v9
	v_mov_b32_e32 v2, v21
	v_pk_mul_f32 v[2:3], v[2:3], s[10:11]
	v_add_f32_e32 v8, v8, v9
	v_pk_fma_f32 v[2:3], v[6:7], s[2:3], v[2:3]
	flat_store_dword v[0:1], v8 offset:128
	v_add_f32_e32 v6, v2, v3
.LBB251_7:
	flat_store_dword v[4:5], v6 offset:4
	s_endpgm
	.section	.rodata,"a",@progbits
	.p2align	6, 0x0
	.amdhsa_kernel _ZN12_GLOBAL__N_127rocblas_gemm_batched_kernelI19rocblas_complex_numIfELi16ELi16ELi32ELi32ELi8ELi32ELi8ELi8ELi32ELc84ELc67EKPKS2_S5_KPS2_EEvlllT_PT11_llSA_llS8_PT12_llPT13_lli
		.amdhsa_group_segment_fixed_size 4096
		.amdhsa_private_segment_fixed_size 0
		.amdhsa_kernarg_size 140
		.amdhsa_user_sgpr_count 2
		.amdhsa_user_sgpr_dispatch_ptr 0
		.amdhsa_user_sgpr_queue_ptr 0
		.amdhsa_user_sgpr_kernarg_segment_ptr 1
		.amdhsa_user_sgpr_dispatch_id 0
		.amdhsa_user_sgpr_kernarg_preload_length 0
		.amdhsa_user_sgpr_kernarg_preload_offset 0
		.amdhsa_user_sgpr_private_segment_size 0
		.amdhsa_uses_dynamic_stack 0
		.amdhsa_enable_private_segment 0
		.amdhsa_system_sgpr_workgroup_id_x 1
		.amdhsa_system_sgpr_workgroup_id_y 1
		.amdhsa_system_sgpr_workgroup_id_z 1
		.amdhsa_system_sgpr_workgroup_info 0
		.amdhsa_system_vgpr_workitem_id 1
		.amdhsa_next_free_vgpr 102
		.amdhsa_next_free_sgpr 42
		.amdhsa_accum_offset 104
		.amdhsa_reserve_vcc 1
		.amdhsa_float_round_mode_32 0
		.amdhsa_float_round_mode_16_64 0
		.amdhsa_float_denorm_mode_32 3
		.amdhsa_float_denorm_mode_16_64 3
		.amdhsa_dx10_clamp 1
		.amdhsa_ieee_mode 1
		.amdhsa_fp16_overflow 0
		.amdhsa_tg_split 0
		.amdhsa_exception_fp_ieee_invalid_op 0
		.amdhsa_exception_fp_denorm_src 0
		.amdhsa_exception_fp_ieee_div_zero 0
		.amdhsa_exception_fp_ieee_overflow 0
		.amdhsa_exception_fp_ieee_underflow 0
		.amdhsa_exception_fp_ieee_inexact 0
		.amdhsa_exception_int_div_zero 0
	.end_amdhsa_kernel
	.section	.text._ZN12_GLOBAL__N_127rocblas_gemm_batched_kernelI19rocblas_complex_numIfELi16ELi16ELi32ELi32ELi8ELi32ELi8ELi8ELi32ELc84ELc67EKPKS2_S5_KPS2_EEvlllT_PT11_llSA_llS8_PT12_llPT13_lli,"axG",@progbits,_ZN12_GLOBAL__N_127rocblas_gemm_batched_kernelI19rocblas_complex_numIfELi16ELi16ELi32ELi32ELi8ELi32ELi8ELi8ELi32ELc84ELc67EKPKS2_S5_KPS2_EEvlllT_PT11_llSA_llS8_PT12_llPT13_lli,comdat
.Lfunc_end251:
	.size	_ZN12_GLOBAL__N_127rocblas_gemm_batched_kernelI19rocblas_complex_numIfELi16ELi16ELi32ELi32ELi8ELi32ELi8ELi8ELi32ELc84ELc67EKPKS2_S5_KPS2_EEvlllT_PT11_llSA_llS8_PT12_llPT13_lli, .Lfunc_end251-_ZN12_GLOBAL__N_127rocblas_gemm_batched_kernelI19rocblas_complex_numIfELi16ELi16ELi32ELi32ELi8ELi32ELi8ELi8ELi32ELc84ELc67EKPKS2_S5_KPS2_EEvlllT_PT11_llSA_llS8_PT12_llPT13_lli
                                        ; -- End function
	.set _ZN12_GLOBAL__N_127rocblas_gemm_batched_kernelI19rocblas_complex_numIfELi16ELi16ELi32ELi32ELi8ELi32ELi8ELi8ELi32ELc84ELc67EKPKS2_S5_KPS2_EEvlllT_PT11_llSA_llS8_PT12_llPT13_lli.num_vgpr, 102
	.set _ZN12_GLOBAL__N_127rocblas_gemm_batched_kernelI19rocblas_complex_numIfELi16ELi16ELi32ELi32ELi8ELi32ELi8ELi8ELi32ELc84ELc67EKPKS2_S5_KPS2_EEvlllT_PT11_llSA_llS8_PT12_llPT13_lli.num_agpr, 0
	.set _ZN12_GLOBAL__N_127rocblas_gemm_batched_kernelI19rocblas_complex_numIfELi16ELi16ELi32ELi32ELi8ELi32ELi8ELi8ELi32ELc84ELc67EKPKS2_S5_KPS2_EEvlllT_PT11_llSA_llS8_PT12_llPT13_lli.numbered_sgpr, 42
	.set _ZN12_GLOBAL__N_127rocblas_gemm_batched_kernelI19rocblas_complex_numIfELi16ELi16ELi32ELi32ELi8ELi32ELi8ELi8ELi32ELc84ELc67EKPKS2_S5_KPS2_EEvlllT_PT11_llSA_llS8_PT12_llPT13_lli.num_named_barrier, 0
	.set _ZN12_GLOBAL__N_127rocblas_gemm_batched_kernelI19rocblas_complex_numIfELi16ELi16ELi32ELi32ELi8ELi32ELi8ELi8ELi32ELc84ELc67EKPKS2_S5_KPS2_EEvlllT_PT11_llSA_llS8_PT12_llPT13_lli.private_seg_size, 0
	.set _ZN12_GLOBAL__N_127rocblas_gemm_batched_kernelI19rocblas_complex_numIfELi16ELi16ELi32ELi32ELi8ELi32ELi8ELi8ELi32ELc84ELc67EKPKS2_S5_KPS2_EEvlllT_PT11_llSA_llS8_PT12_llPT13_lli.uses_vcc, 1
	.set _ZN12_GLOBAL__N_127rocblas_gemm_batched_kernelI19rocblas_complex_numIfELi16ELi16ELi32ELi32ELi8ELi32ELi8ELi8ELi32ELc84ELc67EKPKS2_S5_KPS2_EEvlllT_PT11_llSA_llS8_PT12_llPT13_lli.uses_flat_scratch, 0
	.set _ZN12_GLOBAL__N_127rocblas_gemm_batched_kernelI19rocblas_complex_numIfELi16ELi16ELi32ELi32ELi8ELi32ELi8ELi8ELi32ELc84ELc67EKPKS2_S5_KPS2_EEvlllT_PT11_llSA_llS8_PT12_llPT13_lli.has_dyn_sized_stack, 0
	.set _ZN12_GLOBAL__N_127rocblas_gemm_batched_kernelI19rocblas_complex_numIfELi16ELi16ELi32ELi32ELi8ELi32ELi8ELi8ELi32ELc84ELc67EKPKS2_S5_KPS2_EEvlllT_PT11_llSA_llS8_PT12_llPT13_lli.has_recursion, 0
	.set _ZN12_GLOBAL__N_127rocblas_gemm_batched_kernelI19rocblas_complex_numIfELi16ELi16ELi32ELi32ELi8ELi32ELi8ELi8ELi32ELc84ELc67EKPKS2_S5_KPS2_EEvlllT_PT11_llSA_llS8_PT12_llPT13_lli.has_indirect_call, 0
	.section	.AMDGPU.csdata,"",@progbits
; Kernel info:
; codeLenInByte = 2516
; TotalNumSgprs: 48
; NumVgprs: 102
; NumAgprs: 0
; TotalNumVgprs: 102
; ScratchSize: 0
; MemoryBound: 0
; FloatMode: 240
; IeeeMode: 1
; LDSByteSize: 4096 bytes/workgroup (compile time only)
; SGPRBlocks: 5
; VGPRBlocks: 12
; NumSGPRsForWavesPerEU: 48
; NumVGPRsForWavesPerEU: 102
; AccumOffset: 104
; Occupancy: 4
; WaveLimiterHint : 1
; COMPUTE_PGM_RSRC2:SCRATCH_EN: 0
; COMPUTE_PGM_RSRC2:USER_SGPR: 2
; COMPUTE_PGM_RSRC2:TRAP_HANDLER: 0
; COMPUTE_PGM_RSRC2:TGID_X_EN: 1
; COMPUTE_PGM_RSRC2:TGID_Y_EN: 1
; COMPUTE_PGM_RSRC2:TGID_Z_EN: 1
; COMPUTE_PGM_RSRC2:TIDIG_COMP_CNT: 1
; COMPUTE_PGM_RSRC3_GFX90A:ACCUM_OFFSET: 25
; COMPUTE_PGM_RSRC3_GFX90A:TG_SPLIT: 0
	.section	.text._ZN12_GLOBAL__N_135rocblas_gemm_batched_general_kernelI19rocblas_complex_numIfELi16ELi16ELi32ELi32ELi8ELi32ELi8ELi8ELi32ELc78ELc78EKPKS2_S5_KPS2_EEvlllT_PT11_llSA_llS8_PT12_llPT13_lli,"axG",@progbits,_ZN12_GLOBAL__N_135rocblas_gemm_batched_general_kernelI19rocblas_complex_numIfELi16ELi16ELi32ELi32ELi8ELi32ELi8ELi8ELi32ELc78ELc78EKPKS2_S5_KPS2_EEvlllT_PT11_llSA_llS8_PT12_llPT13_lli,comdat
	.globl	_ZN12_GLOBAL__N_135rocblas_gemm_batched_general_kernelI19rocblas_complex_numIfELi16ELi16ELi32ELi32ELi8ELi32ELi8ELi8ELi32ELc78ELc78EKPKS2_S5_KPS2_EEvlllT_PT11_llSA_llS8_PT12_llPT13_lli ; -- Begin function _ZN12_GLOBAL__N_135rocblas_gemm_batched_general_kernelI19rocblas_complex_numIfELi16ELi16ELi32ELi32ELi8ELi32ELi8ELi8ELi32ELc78ELc78EKPKS2_S5_KPS2_EEvlllT_PT11_llSA_llS8_PT12_llPT13_lli
	.p2align	8
	.type	_ZN12_GLOBAL__N_135rocblas_gemm_batched_general_kernelI19rocblas_complex_numIfELi16ELi16ELi32ELi32ELi8ELi32ELi8ELi8ELi32ELc78ELc78EKPKS2_S5_KPS2_EEvlllT_PT11_llSA_llS8_PT12_llPT13_lli,@function
_ZN12_GLOBAL__N_135rocblas_gemm_batched_general_kernelI19rocblas_complex_numIfELi16ELi16ELi32ELi32ELi8ELi32ELi8ELi8ELi32ELc78ELc78EKPKS2_S5_KPS2_EEvlllT_PT11_llSA_llS8_PT12_llPT13_lli: ; @_ZN12_GLOBAL__N_135rocblas_gemm_batched_general_kernelI19rocblas_complex_numIfELi16ELi16ELi32ELi32ELi8ELi32ELi8ELi8ELi32ELc78ELc78EKPKS2_S5_KPS2_EEvlllT_PT11_llSA_llS8_PT12_llPT13_lli
; %bb.0:
	s_load_dwordx16 s[8:23], s[0:1], 0x0
	s_load_dwordx4 s[36:39], s[0:1], 0x78
	s_load_dwordx8 s[24:31], s[0:1], 0x58
	s_load_dwordx2 s[6:7], s[0:1], 0x50
	s_mov_b32 s5, 0
	s_lshl_b64 s[4:5], s[4:5], 3
	s_mov_b32 s34, s3
	s_waitcnt lgkmcnt(0)
	s_add_u32 s24, s24, s4
	s_addc_u32 s25, s25, s5
	s_add_u32 s30, s30, s4
	s_addc_u32 s31, s31, s5
	s_load_dwordx2 s[24:25], s[24:25], 0x0
	v_mov_b32_e32 v23, 0
	s_load_dwordx2 s[40:41], s[30:31], 0x0
	s_ashr_i32 s3, s2, 31
	s_ashr_i32 s35, s34, 31
	v_cmp_lt_i64_e64 s[42:43], s[12:13], 1
	v_and_b32_e32 v12, 0x3ff, v0
	v_bfe_u32 v22, v0, 10, 10
	v_mov_b32_e32 v13, v23
	s_lshl_b64 s[30:31], s[2:3], 5
	s_lshl_b64 s[34:35], s[34:35], 5
	s_and_b64 vcc, exec, s[42:43]
	v_mov_b32_e32 v21, v23
	v_mov_b32_e32 v20, v23
	;; [unrolled: 1-line block ×8, first 2 shown]
	s_cbranch_vccnz .LBB252_7
; %bb.1:
	s_load_dwordx4 s[44:47], s[0:1], 0x40
	v_lshl_add_u32 v4, v22, 4, v12
	v_mov_b32_e32 v25, 0
	v_and_b32_e32 v26, 7, v12
	s_add_u32 s0, s22, s4
	s_addc_u32 s1, s23, s5
	v_lshrrev_b32_e32 v0, 3, v4
	v_mov_b32_e32 v1, v25
	v_lshlrev_b32_e32 v6, 3, v26
	s_load_dwordx2 s[22:23], s[0:1], 0x0
	s_add_u32 s0, s16, s4
	v_lshl_add_u64 v[2:3], v[0:1], 0, s[34:35]
	v_and_b32_e32 v1, 31, v4
	v_lshl_or_b32 v0, v0, 6, v6
	v_lshrrev_b32_e32 v24, 5, v4
	s_addc_u32 s1, s17, s5
	v_or_b32_e32 v4, s30, v1
	v_mov_b32_e32 v5, s31
	v_add_u32_e32 v45, 0x800, v0
	v_mov_b32_e32 v0, 0x800
	s_load_dwordx2 s[16:17], s[0:1], 0x0
	v_cmp_gt_i64_e64 s[0:1], s[8:9], v[4:5]
	v_lshlrev_b32_e32 v4, 3, v1
	v_cmp_gt_i64_e64 s[4:5], s[10:11], v[2:3]
	v_lshl_add_u32 v47, v22, 6, v0
	s_waitcnt lgkmcnt(0)
	v_mul_lo_u32 v5, s45, v2
	v_mul_lo_u32 v3, s44, v3
	v_mad_u64_u32 v[0:1], s[42:43], s44, v2, 0
	v_add3_u32 v1, v1, v3, v5
	s_lshl_b64 s[42:43], s[46:47], 3
	v_lshl_add_u64 v[0:1], v[0:1], 3, s[42:43]
	v_mov_b32_e32 v7, v25
	v_lshl_add_u64 v[0:1], v[0:1], 0, v[6:7]
	v_lshl_add_u64 v[28:29], s[22:23], 0, v[0:1]
	v_mad_u64_u32 v[0:1], s[22:23], s18, v24, 0
	v_mov_b32_e32 v2, v1
	s_lshl_b64 s[2:3], s[2:3], 8
	s_lshl_b64 s[20:21], s[20:21], 3
	v_mad_u64_u32 v[2:3], s[22:23], s19, v24, v[2:3]
	s_add_u32 s2, s20, s2
	v_mov_b32_e32 v1, v2
	s_addc_u32 s3, s21, s3
	v_lshl_add_u64 v[0:1], v[0:1], 3, s[2:3]
	v_mov_b32_e32 v5, v25
	v_lshl_add_u64 v[0:1], v[0:1], 0, v[4:5]
	v_mov_b32_e32 v27, v25
	v_lshl_or_b32 v44, v24, 8, v4
	v_lshlrev_b32_e32 v46, 3, v12
	v_lshl_add_u64 v[30:31], s[16:17], 0, v[0:1]
	s_lshl_b64 s[2:3], s[18:19], 6
	s_mov_b64 s[16:17], 0
	v_mov_b64_e32 v[32:33], s[12:13]
	v_mov_b32_e32 v14, v25
	v_mov_b32_e32 v15, v25
	;; [unrolled: 1-line block ×8, first 2 shown]
	s_branch .LBB252_3
.LBB252_2:                              ;   in Loop: Header=BB252_3 Depth=1
	s_or_b64 exec, exec, s[18:19]
	s_waitcnt vmcnt(0) lgkmcnt(0)
	ds_write_b64 v45, v[0:1]
	s_waitcnt lgkmcnt(0)
	s_barrier
	ds_read2_b64 v[4:7], v46 offset1:16
	ds_read_b128 v[48:51], v47
	ds_read2_b64 v[8:11], v46 offset0:32 offset1:48
	ds_read_b128 v[0:3], v47 offset:16
	ds_read_b128 v[52:55], v47 offset:1024
	s_add_u32 s16, s16, 8
	s_waitcnt lgkmcnt(3)
	v_pk_mul_f32 v[36:37], v[48:49], v[4:5] op_sel:[0,1]
	v_pk_mul_f32 v[56:57], v[48:49], v[6:7] op_sel:[0,1]
	v_pk_fma_f32 v[34:35], v[48:49], v[4:5], v[36:37] op_sel:[0,0,1] op_sel_hi:[1,1,0] neg_lo:[0,0,1] neg_hi:[0,0,1]
	v_pk_fma_f32 v[36:37], v[48:49], v[4:5], v[36:37] op_sel:[0,0,1] op_sel_hi:[1,0,0]
	s_waitcnt lgkmcnt(2)
	v_pk_mul_f32 v[40:41], v[50:51], v[8:9] op_sel:[0,1]
	v_pk_fma_f32 v[42:43], v[48:49], v[6:7], v[56:57] op_sel:[0,0,1] op_sel_hi:[1,1,0] neg_lo:[0,0,1] neg_hi:[0,0,1]
	v_pk_fma_f32 v[72:73], v[48:49], v[6:7], v[56:57] op_sel:[0,0,1] op_sel_hi:[1,0,0]
	v_pk_mul_f32 v[48:49], v[50:51], v[10:11] op_sel:[0,1]
	v_pk_fma_f32 v[38:39], v[50:51], v[8:9], v[40:41] op_sel:[0,0,1] op_sel_hi:[1,1,0] neg_lo:[0,0,1] neg_hi:[0,0,1]
	v_pk_fma_f32 v[40:41], v[50:51], v[8:9], v[40:41] op_sel:[0,0,1] op_sel_hi:[1,0,0]
	v_pk_fma_f32 v[74:75], v[50:51], v[10:11], v[48:49] op_sel:[0,0,1] op_sel_hi:[1,1,0] neg_lo:[0,0,1] neg_hi:[0,0,1]
	v_pk_fma_f32 v[76:77], v[50:51], v[10:11], v[48:49] op_sel:[0,0,1] op_sel_hi:[1,0,0]
	ds_read_b128 v[48:51], v47 offset:1040
	s_waitcnt lgkmcnt(1)
	v_pk_mul_f32 v[56:57], v[52:53], v[4:5] op_sel:[0,1]
	v_mov_b32_e32 v35, v37
	v_pk_fma_f32 v[78:79], v[52:53], v[4:5], v[56:57] op_sel:[0,0,1] op_sel_hi:[1,1,0] neg_lo:[0,0,1] neg_hi:[0,0,1]
	v_pk_fma_f32 v[80:81], v[52:53], v[4:5], v[56:57] op_sel:[0,0,1] op_sel_hi:[1,0,0]
	v_pk_mul_f32 v[4:5], v[52:53], v[6:7] op_sel:[0,1]
	ds_read2_b64 v[56:59], v46 offset0:96 offset1:112
	v_pk_fma_f32 v[82:83], v[52:53], v[6:7], v[4:5] op_sel:[0,0,1] op_sel_hi:[1,1,0] neg_lo:[0,0,1] neg_hi:[0,0,1]
	v_pk_fma_f32 v[84:85], v[52:53], v[6:7], v[4:5] op_sel:[0,0,1] op_sel_hi:[1,0,0]
	v_pk_mul_f32 v[4:5], v[54:55], v[8:9] op_sel:[0,1]
	v_pk_add_f32 v[20:21], v[20:21], v[34:35]
	v_pk_fma_f32 v[86:87], v[54:55], v[8:9], v[4:5] op_sel:[0,0,1] op_sel_hi:[1,1,0] neg_lo:[0,0,1] neg_hi:[0,0,1]
	v_pk_fma_f32 v[88:89], v[54:55], v[8:9], v[4:5] op_sel:[0,0,1] op_sel_hi:[1,0,0]
	ds_read2_b64 v[4:7], v46 offset0:64 offset1:80
	v_pk_mul_f32 v[8:9], v[54:55], v[10:11] op_sel:[0,1]
	v_mov_b32_e32 v79, v81
	v_pk_fma_f32 v[90:91], v[54:55], v[10:11], v[8:9] op_sel:[0,0,1] op_sel_hi:[1,1,0] neg_lo:[0,0,1] neg_hi:[0,0,1]
	v_pk_fma_f32 v[92:93], v[54:55], v[10:11], v[8:9] op_sel:[0,0,1] op_sel_hi:[1,0,0]
	s_waitcnt lgkmcnt(0)
	v_pk_mul_f32 v[8:9], v[0:1], v[4:5] op_sel:[0,1]
	v_pk_mul_f32 v[60:61], v[0:1], v[6:7] op_sel:[0,1]
	v_pk_fma_f32 v[94:95], v[0:1], v[4:5], v[8:9] op_sel:[0,0,1] op_sel_hi:[1,1,0] neg_lo:[0,0,1] neg_hi:[0,0,1]
	v_pk_fma_f32 v[96:97], v[0:1], v[4:5], v[8:9] op_sel:[0,0,1] op_sel_hi:[1,0,0]
	v_pk_mul_f32 v[8:9], v[2:3], v[56:57] op_sel:[0,1]
	v_pk_mul_f32 v[34:35], v[48:49], v[4:5] op_sel:[0,1]
	v_pk_fma_f32 v[98:99], v[2:3], v[56:57], v[8:9] op_sel:[0,0,1] op_sel_hi:[1,1,0] neg_lo:[0,0,1] neg_hi:[0,0,1]
	v_pk_fma_f32 v[100:101], v[2:3], v[56:57], v[8:9] op_sel:[0,0,1] op_sel_hi:[1,0,0]
	ds_read2_b64 v[8:11], v46 offset0:128 offset1:144
	ds_read_b128 v[52:55], v47 offset:32
	v_pk_fma_f32 v[102:103], v[0:1], v[6:7], v[60:61] op_sel:[0,0,1] op_sel_hi:[1,1,0] neg_lo:[0,0,1] neg_hi:[0,0,1]
	v_pk_fma_f32 v[104:105], v[0:1], v[6:7], v[60:61] op_sel:[0,0,1] op_sel_hi:[1,0,0]
	v_pk_mul_f32 v[0:1], v[2:3], v[58:59] op_sel:[0,1]
	v_pk_add_f32 v[16:17], v[16:17], v[78:79]
	v_mov_b32_e32 v87, v89
	v_pk_fma_f32 v[36:37], v[48:49], v[4:5], v[34:35] op_sel:[0,0,1] op_sel_hi:[1,1,0] neg_lo:[0,0,1] neg_hi:[0,0,1]
	v_pk_fma_f32 v[4:5], v[48:49], v[4:5], v[34:35] op_sel:[0,0,1] op_sel_hi:[1,0,0]
	v_pk_fma_f32 v[106:107], v[2:3], v[58:59], v[0:1] op_sel:[0,0,1] op_sel_hi:[1,1,0] neg_lo:[0,0,1] neg_hi:[0,0,1]
	v_pk_fma_f32 v[108:109], v[2:3], v[58:59], v[0:1] op_sel:[0,0,1] op_sel_hi:[1,0,0]
	ds_read2_b64 v[0:3], v46 offset0:160 offset1:176
	ds_read_b128 v[60:63], v47 offset:48
	v_pk_add_f32 v[16:17], v[16:17], v[86:87]
	v_mov_b32_e32 v37, v5
	v_pk_add_f32 v[4:5], v[16:17], v[36:37]
	ds_read_b128 v[34:37], v47 offset:1056
	s_waitcnt lgkmcnt(3)
	v_pk_mul_f32 v[64:65], v[52:53], v[8:9] op_sel:[0,1]
	v_mov_b32_e32 v39, v41
	v_pk_mul_f32 v[16:17], v[50:51], v[56:57] op_sel:[0,1]
	v_pk_fma_f32 v[110:111], v[52:53], v[8:9], v[64:65] op_sel:[0,0,1] op_sel_hi:[1,1,0] neg_lo:[0,0,1] neg_hi:[0,0,1]
	v_pk_fma_f32 v[112:113], v[52:53], v[8:9], v[64:65] op_sel:[0,0,1] op_sel_hi:[1,0,0]
	s_waitcnt lgkmcnt(2)
	v_pk_mul_f32 v[64:65], v[54:55], v[0:1] op_sel:[0,1]
	v_pk_add_f32 v[20:21], v[20:21], v[38:39]
	v_pk_fma_f32 v[38:39], v[50:51], v[56:57], v[16:17] op_sel:[0,0,1] op_sel_hi:[1,1,0] neg_lo:[0,0,1] neg_hi:[0,0,1]
	v_pk_fma_f32 v[16:17], v[50:51], v[56:57], v[16:17] op_sel:[0,0,1] op_sel_hi:[1,0,0]
	v_pk_fma_f32 v[114:115], v[54:55], v[0:1], v[64:65] op_sel:[0,0,1] op_sel_hi:[1,1,0] neg_lo:[0,0,1] neg_hi:[0,0,1]
	v_pk_fma_f32 v[116:117], v[54:55], v[0:1], v[64:65] op_sel:[0,0,1] op_sel_hi:[1,0,0]
	v_pk_mul_f32 v[64:65], v[52:53], v[10:11] op_sel:[0,1]
	v_mov_b32_e32 v39, v17
	v_pk_fma_f32 v[118:119], v[52:53], v[10:11], v[64:65] op_sel:[0,0,1] op_sel_hi:[1,1,0] neg_lo:[0,0,1] neg_hi:[0,0,1]
	v_pk_fma_f32 v[52:53], v[52:53], v[10:11], v[64:65] op_sel:[0,0,1] op_sel_hi:[1,0,0]
	ds_read2_b64 v[64:67], v46 offset0:192 offset1:208
	v_mov_b32_e32 v43, v73
	v_pk_add_f32 v[4:5], v[4:5], v[38:39]
	ds_read_b128 v[38:41], v47 offset:1072
	s_waitcnt lgkmcnt(2)
	v_pk_mul_f32 v[16:17], v[34:35], v[8:9] op_sel:[0,1]
	v_pk_add_f32 v[18:19], v[18:19], v[42:43]
	v_pk_fma_f32 v[42:43], v[34:35], v[8:9], v[16:17] op_sel:[0,0,1] op_sel_hi:[1,1,0] neg_lo:[0,0,1] neg_hi:[0,0,1]
	v_pk_fma_f32 v[8:9], v[34:35], v[8:9], v[16:17] op_sel:[0,0,1] op_sel_hi:[1,0,0]
	ds_read2_b64 v[68:71], v46 offset0:224 offset1:240
	v_mov_b32_e32 v43, v9
	v_pk_mul_f32 v[8:9], v[36:37], v[0:1] op_sel:[0,1]
	v_pk_add_f32 v[4:5], v[4:5], v[42:43]
	v_pk_fma_f32 v[16:17], v[36:37], v[0:1], v[8:9] op_sel:[0,0,1] op_sel_hi:[1,1,0] neg_lo:[0,0,1] neg_hi:[0,0,1]
	v_pk_fma_f32 v[0:1], v[36:37], v[0:1], v[8:9] op_sel:[0,0,1] op_sel_hi:[1,0,0]
	v_mov_b32_e32 v83, v85
	v_mov_b32_e32 v17, v1
	v_pk_add_f32 v[0:1], v[4:5], v[16:17]
	s_waitcnt lgkmcnt(1)
	v_pk_mul_f32 v[4:5], v[38:39], v[64:65] op_sel:[0,1]
	v_mov_b32_e32 v91, v93
	v_pk_fma_f32 v[8:9], v[38:39], v[64:65], v[4:5] op_sel:[0,0,1] op_sel_hi:[1,1,0] neg_lo:[0,0,1] neg_hi:[0,0,1]
	v_pk_fma_f32 v[4:5], v[38:39], v[64:65], v[4:5] op_sel:[0,0,1] op_sel_hi:[1,0,0]
	v_pk_mul_f32 v[120:121], v[54:55], v[2:3] op_sel:[0,1]
	v_mov_b32_e32 v9, v5
	s_waitcnt lgkmcnt(0)
	v_pk_mul_f32 v[4:5], v[40:41], v[68:69] op_sel:[0,1]
	v_pk_add_f32 v[0:1], v[0:1], v[8:9]
	v_pk_fma_f32 v[8:9], v[40:41], v[68:69], v[4:5] op_sel:[0,0,1] op_sel_hi:[1,1,0] neg_lo:[0,0,1] neg_hi:[0,0,1]
	v_pk_fma_f32 v[4:5], v[40:41], v[68:69], v[4:5] op_sel:[0,0,1] op_sel_hi:[1,0,0]
	v_mov_b32_e32 v75, v77
	v_mov_b32_e32 v9, v5
	v_pk_mul_f32 v[4:5], v[48:49], v[6:7] op_sel:[0,1]
	v_pk_add_f32 v[16:17], v[0:1], v[8:9]
	v_pk_fma_f32 v[8:9], v[48:49], v[6:7], v[4:5] op_sel:[0,0,1] op_sel_hi:[1,1,0] neg_lo:[0,0,1] neg_hi:[0,0,1]
	v_pk_fma_f32 v[4:5], v[48:49], v[6:7], v[4:5] op_sel:[0,0,1] op_sel_hi:[1,0,0]
	v_pk_add_f32 v[0:1], v[14:15], v[82:83]
	v_mov_b32_e32 v9, v5
	v_pk_mul_f32 v[4:5], v[50:51], v[58:59] op_sel:[0,1]
	v_pk_add_f32 v[0:1], v[0:1], v[90:91]
	v_pk_fma_f32 v[6:7], v[50:51], v[58:59], v[4:5] op_sel:[0,0,1] op_sel_hi:[1,1,0] neg_lo:[0,0,1] neg_hi:[0,0,1]
	v_pk_fma_f32 v[4:5], v[50:51], v[58:59], v[4:5] op_sel:[0,0,1] op_sel_hi:[1,0,0]
	v_pk_add_f32 v[0:1], v[0:1], v[8:9]
	v_mov_b32_e32 v7, v5
	v_pk_mul_f32 v[4:5], v[34:35], v[10:11] op_sel:[0,1]
	v_pk_add_f32 v[0:1], v[0:1], v[6:7]
	v_pk_fma_f32 v[6:7], v[34:35], v[10:11], v[4:5] op_sel:[0,0,1] op_sel_hi:[1,1,0] neg_lo:[0,0,1] neg_hi:[0,0,1]
	v_pk_fma_f32 v[4:5], v[34:35], v[10:11], v[4:5] op_sel:[0,0,1] op_sel_hi:[1,0,0]
	v_pk_fma_f32 v[122:123], v[54:55], v[2:3], v[120:121] op_sel:[0,0,1] op_sel_hi:[1,1,0] neg_lo:[0,0,1] neg_hi:[0,0,1]
	v_mov_b32_e32 v7, v5
	v_pk_mul_f32 v[4:5], v[36:37], v[2:3] op_sel:[0,1]
	v_pk_fma_f32 v[54:55], v[54:55], v[2:3], v[120:121] op_sel:[0,0,1] op_sel_hi:[1,0,0]
	v_mov_b32_e32 v95, v97
	v_pk_add_f32 v[18:19], v[18:19], v[74:75]
	v_mov_b32_e32 v103, v105
	v_pk_add_f32 v[0:1], v[0:1], v[6:7]
	v_pk_fma_f32 v[6:7], v[36:37], v[2:3], v[4:5] op_sel:[0,0,1] op_sel_hi:[1,1,0] neg_lo:[0,0,1] neg_hi:[0,0,1]
	v_pk_fma_f32 v[2:3], v[36:37], v[2:3], v[4:5] op_sel:[0,0,1] op_sel_hi:[1,0,0]
	v_pk_add_f32 v[20:21], v[20:21], v[94:95]
	v_mov_b32_e32 v99, v101
	v_pk_add_f32 v[18:19], v[18:19], v[102:103]
	v_mov_b32_e32 v107, v109
	v_mov_b32_e32 v7, v3
	v_pk_mul_f32 v[2:3], v[38:39], v[66:67] op_sel:[0,1]
	v_pk_mul_f32 v[120:121], v[60:61], v[64:65] op_sel:[0,1]
	;; [unrolled: 1-line block ×3, first 2 shown]
	v_pk_add_f32 v[20:21], v[20:21], v[98:99]
	v_mov_b32_e32 v111, v113
	v_pk_add_f32 v[18:19], v[18:19], v[106:107]
	v_mov_b32_e32 v119, v53
	v_pk_fma_f32 v[4:5], v[38:39], v[66:67], v[2:3] op_sel:[0,0,1] op_sel_hi:[1,1,0] neg_lo:[0,0,1] neg_hi:[0,0,1]
	v_pk_fma_f32 v[2:3], v[38:39], v[66:67], v[2:3] op_sel:[0,0,1] op_sel_hi:[1,0,0]
	v_pk_fma_f32 v[124:125], v[60:61], v[64:65], v[120:121] op_sel:[0,0,1] op_sel_hi:[1,1,0] neg_lo:[0,0,1] neg_hi:[0,0,1]
	v_pk_fma_f32 v[120:121], v[60:61], v[64:65], v[120:121] op_sel:[0,0,1] op_sel_hi:[1,0,0]
	v_pk_mul_f32 v[126:127], v[62:63], v[68:69] op_sel:[0,1]
	v_pk_fma_f32 v[132:133], v[60:61], v[66:67], v[130:131] op_sel:[0,0,1] op_sel_hi:[1,1,0] neg_lo:[0,0,1] neg_hi:[0,0,1]
	v_pk_fma_f32 v[60:61], v[60:61], v[66:67], v[130:131] op_sel:[0,0,1] op_sel_hi:[1,0,0]
	v_pk_mul_f32 v[130:131], v[62:63], v[70:71] op_sel:[0,1]
	v_pk_add_f32 v[20:21], v[20:21], v[110:111]
	v_mov_b32_e32 v115, v117
	v_pk_add_f32 v[18:19], v[18:19], v[118:119]
	v_mov_b32_e32 v123, v55
	v_pk_add_f32 v[0:1], v[0:1], v[6:7]
	v_mov_b32_e32 v5, v3
	v_pk_mul_f32 v[2:3], v[40:41], v[70:71] op_sel:[0,1]
	v_pk_fma_f32 v[128:129], v[62:63], v[68:69], v[126:127] op_sel:[0,0,1] op_sel_hi:[1,1,0] neg_lo:[0,0,1] neg_hi:[0,0,1]
	v_pk_fma_f32 v[126:127], v[62:63], v[68:69], v[126:127] op_sel:[0,0,1] op_sel_hi:[1,0,0]
	v_pk_fma_f32 v[134:135], v[62:63], v[70:71], v[130:131] op_sel:[0,0,1] op_sel_hi:[1,1,0] neg_lo:[0,0,1] neg_hi:[0,0,1]
	v_pk_fma_f32 v[62:63], v[62:63], v[70:71], v[130:131] op_sel:[0,0,1] op_sel_hi:[1,0,0]
	v_pk_add_f32 v[20:21], v[20:21], v[114:115]
	v_mov_b32_e32 v125, v121
	v_pk_add_f32 v[18:19], v[18:19], v[122:123]
	v_mov_b32_e32 v133, v61
	v_pk_add_f32 v[0:1], v[0:1], v[4:5]
	v_pk_fma_f32 v[4:5], v[40:41], v[70:71], v[2:3] op_sel:[0,0,1] op_sel_hi:[1,1,0] neg_lo:[0,0,1] neg_hi:[0,0,1]
	v_pk_fma_f32 v[2:3], v[40:41], v[70:71], v[2:3] op_sel:[0,0,1] op_sel_hi:[1,0,0]
	s_addc_u32 s17, s17, 0
	v_pk_add_f32 v[20:21], v[20:21], v[124:125]
	v_mov_b32_e32 v129, v127
	v_pk_add_f32 v[18:19], v[18:19], v[132:133]
	v_mov_b32_e32 v135, v63
	v_mov_b32_e32 v5, v3
	v_cmp_lt_i64_e32 vcc, s[16:17], v[32:33]
	v_pk_add_f32 v[20:21], v[20:21], v[128:129]
	v_pk_add_f32 v[18:19], v[18:19], v[134:135]
	;; [unrolled: 1-line block ×3, first 2 shown]
	v_lshl_add_u64 v[28:29], v[28:29], 0, 64
	v_lshl_add_u64 v[30:31], v[30:31], 0, s[2:3]
	s_barrier
	s_cbranch_vccz .LBB252_7
.LBB252_3:                              ; =>This Inner Loop Header: Depth=1
	v_lshl_add_u64 v[0:1], v[24:25], 0, s[16:17]
	v_cmp_gt_i64_e32 vcc, s[12:13], v[0:1]
	s_and_b64 s[20:21], s[0:1], vcc
	v_mov_b32_e32 v0, 0
	v_mov_b32_e32 v1, 0
	s_and_saveexec_b64 s[18:19], s[20:21]
	s_cbranch_execz .LBB252_5
; %bb.4:                                ;   in Loop: Header=BB252_3 Depth=1
	flat_load_dwordx2 v[0:1], v[30:31]
.LBB252_5:                              ;   in Loop: Header=BB252_3 Depth=1
	s_or_b64 exec, exec, s[18:19]
	s_waitcnt vmcnt(0) lgkmcnt(0)
	ds_write_b64 v44, v[0:1]
	v_lshl_add_u64 v[0:1], v[26:27], 0, s[16:17]
	v_cmp_gt_i64_e32 vcc, s[12:13], v[0:1]
	s_and_b64 s[20:21], vcc, s[4:5]
	v_mov_b32_e32 v0, 0
	v_mov_b32_e32 v1, 0
	s_and_saveexec_b64 s[18:19], s[20:21]
	s_cbranch_execz .LBB252_2
; %bb.6:                                ;   in Loop: Header=BB252_3 Depth=1
	flat_load_dwordx2 v[0:1], v[28:29]
	s_branch .LBB252_2
.LBB252_7:
	s_lshl_b64 s[0:1], s[38:39], 3
	s_waitcnt lgkmcnt(0)
	s_add_u32 s12, s40, s0
	s_addc_u32 s13, s41, s1
	s_or_b32 s0, s6, s7
	v_lshl_add_u64 v[0:1], s[34:35], 0, v[22:23]
	s_bitset0_b32 s0, 31
	s_cmp_lg_u32 s0, 0
	v_cmp_gt_i64_e64 s[0:1], s[10:11], v[0:1]
	s_mov_b64 s[2:3], -1
	s_cbranch_scc1 .LBB252_19
; %bb.8:
	s_and_saveexec_b64 s[16:17], s[0:1]
	s_cbranch_execz .LBB252_18
; %bb.9:
	v_mul_lo_u32 v6, v1, s36
	v_mul_lo_u32 v7, v0, s37
	v_mad_u64_u32 v[4:5], s[2:3], v0, s36, 0
	v_add3_u32 v5, v5, v7, v6
	v_lshl_add_u64 v[2:3], s[30:31], 0, v[12:13]
	v_lshl_add_u64 v[4:5], v[4:5], 3, s[12:13]
	v_cmp_gt_i64_e32 vcc, s[8:9], v[2:3]
	s_mov_b32 s18, s14
	s_mov_b32 s19, s14
	;; [unrolled: 1-line block ×4, first 2 shown]
	v_lshl_add_u64 v[6:7], v[2:3], 3, v[4:5]
	s_and_saveexec_b64 s[2:3], vcc
	s_cbranch_execz .LBB252_11
; %bb.10:
	v_pk_mul_f32 v[8:9], v[20:21], s[20:21]
	s_nop 0
	v_pk_fma_f32 v[10:11], v[20:21], s[18:19], v[8:9] op_sel:[0,0,1] op_sel_hi:[1,1,0] neg_lo:[0,0,1] neg_hi:[0,0,1]
	v_pk_fma_f32 v[8:9], v[20:21], s[18:19], v[8:9] op_sel:[0,0,1] op_sel_hi:[1,1,0]
	s_nop 0
	v_mov_b32_e32 v11, v9
	flat_store_dwordx2 v[6:7], v[10:11]
.LBB252_11:
	s_or_b64 exec, exec, s[2:3]
	v_lshl_add_u64 v[8:9], v[2:3], 0, 16
	v_cmp_gt_i64_e64 s[2:3], s[8:9], v[8:9]
	s_and_saveexec_b64 s[4:5], s[2:3]
	s_cbranch_execz .LBB252_13
; %bb.12:
	v_pk_mul_f32 v[8:9], v[18:19], s[20:21]
	s_nop 0
	v_pk_fma_f32 v[10:11], v[18:19], s[18:19], v[8:9] op_sel:[0,0,1] op_sel_hi:[1,1,0] neg_lo:[0,0,1] neg_hi:[0,0,1]
	v_pk_fma_f32 v[8:9], v[18:19], s[18:19], v[8:9] op_sel:[0,0,1] op_sel_hi:[1,1,0]
	s_nop 0
	v_mov_b32_e32 v11, v9
	flat_store_dwordx2 v[6:7], v[10:11] offset:128
.LBB252_13:
	s_or_b64 exec, exec, s[4:5]
	v_lshl_add_u64 v[6:7], v[0:1], 0, 16
	v_cmp_gt_i64_e64 s[4:5], s[10:11], v[6:7]
	s_and_b64 exec, exec, s[4:5]
	s_cbranch_execz .LBB252_18
; %bb.14:
	s_lshl_b64 s[4:5], s[36:37], 7
	v_lshl_add_u64 v[4:5], v[4:5], 0, s[4:5]
	v_lshl_add_u64 v[2:3], v[2:3], 3, v[4:5]
	s_and_saveexec_b64 s[4:5], vcc
	s_cbranch_execz .LBB252_16
; %bb.15:
	v_pk_mul_f32 v[4:5], v[16:17], s[20:21]
	s_nop 0
	v_pk_fma_f32 v[6:7], v[16:17], s[18:19], v[4:5] op_sel:[0,0,1] op_sel_hi:[1,1,0] neg_lo:[0,0,1] neg_hi:[0,0,1]
	v_pk_fma_f32 v[4:5], v[16:17], s[18:19], v[4:5] op_sel:[0,0,1] op_sel_hi:[1,1,0]
	s_nop 0
	v_mov_b32_e32 v7, v5
	flat_store_dwordx2 v[2:3], v[6:7]
.LBB252_16:
	s_or_b64 exec, exec, s[4:5]
	s_and_b64 exec, exec, s[2:3]
	s_cbranch_execz .LBB252_18
; %bb.17:
	v_pk_mul_f32 v[4:5], v[14:15], s[20:21]
	s_nop 0
	v_pk_fma_f32 v[6:7], v[14:15], s[18:19], v[4:5] op_sel:[0,0,1] op_sel_hi:[1,1,0] neg_lo:[0,0,1] neg_hi:[0,0,1]
	v_pk_fma_f32 v[4:5], v[14:15], s[18:19], v[4:5] op_sel:[0,0,1] op_sel_hi:[1,1,0]
	s_nop 0
	v_mov_b32_e32 v7, v5
	flat_store_dwordx2 v[2:3], v[6:7] offset:128
.LBB252_18:
	s_or_b64 exec, exec, s[16:17]
	s_mov_b64 s[2:3], 0
.LBB252_19:
	s_andn2_b64 vcc, exec, s[2:3]
	s_cbranch_vccnz .LBB252_30
; %bb.20:
	s_and_saveexec_b64 s[2:3], s[0:1]
	s_cbranch_execz .LBB252_30
; %bb.21:
	s_lshl_b64 s[0:1], s[28:29], 3
	v_mul_lo_u32 v4, v1, s26
	v_mul_lo_u32 v5, v0, s27
	v_mad_u64_u32 v[2:3], s[2:3], v0, s26, 0
	s_add_u32 s0, s24, s0
	v_add3_u32 v3, v3, v5, v4
	v_mul_lo_u32 v6, v1, s36
	v_mul_lo_u32 v7, v0, s37
	v_mad_u64_u32 v[4:5], s[2:3], v0, s36, 0
	s_addc_u32 s1, s25, s1
	v_lshl_add_u64 v[8:9], s[30:31], 0, v[12:13]
	v_add3_u32 v5, v5, v7, v6
	v_cmp_gt_i64_e32 vcc, s[8:9], v[8:9]
	s_mov_b32 s4, s14
	s_mov_b32 s5, s14
	;; [unrolled: 1-line block ×6, first 2 shown]
	v_lshl_add_u64 v[6:7], v[2:3], 3, s[0:1]
	v_lshl_add_u64 v[4:5], v[4:5], 3, s[12:13]
	v_lshlrev_b64 v[2:3], 3, v[8:9]
	s_and_saveexec_b64 s[0:1], vcc
	s_cbranch_execz .LBB252_23
; %bb.22:
	v_lshl_add_u64 v[10:11], v[6:7], 0, v[2:3]
	flat_load_dwordx2 v[10:11], v[10:11]
	v_pk_mul_f32 v[22:23], v[20:21], s[14:15]
	v_lshl_add_u64 v[12:13], v[4:5], 0, v[2:3]
	v_pk_fma_f32 v[24:25], v[20:21], s[4:5], v[22:23] op_sel:[0,0,1] op_sel_hi:[1,1,0] neg_lo:[0,0,1] neg_hi:[0,0,1]
	v_pk_fma_f32 v[20:21], v[20:21], s[4:5], v[22:23] op_sel:[0,0,1] op_sel_hi:[1,1,0]
	s_nop 0
	v_mov_b32_e32 v25, v21
	s_waitcnt vmcnt(0) lgkmcnt(0)
	v_pk_mul_f32 v[20:21], v[10:11], s[6:7]
	s_nop 0
	v_pk_fma_f32 v[22:23], v[10:11], s[16:17], v[20:21] op_sel:[0,0,1] op_sel_hi:[1,1,0] neg_lo:[0,0,1] neg_hi:[0,0,1]
	v_pk_fma_f32 v[10:11], v[10:11], s[16:17], v[20:21] op_sel:[0,0,1] op_sel_hi:[1,1,0]
	s_nop 0
	v_mov_b32_e32 v23, v11
	v_pk_add_f32 v[10:11], v[24:25], v[22:23]
	flat_store_dwordx2 v[12:13], v[10:11]
.LBB252_23:
	s_or_b64 exec, exec, s[0:1]
	v_lshl_add_u64 v[8:9], v[8:9], 0, 16
	v_cmp_gt_i64_e64 s[0:1], s[8:9], v[8:9]
	s_and_saveexec_b64 s[2:3], s[0:1]
	s_cbranch_execz .LBB252_25
; %bb.24:
	v_lshl_add_u64 v[8:9], v[6:7], 0, v[2:3]
	flat_load_dwordx2 v[8:9], v[8:9] offset:128
	v_pk_mul_f32 v[12:13], v[18:19], s[14:15]
	v_lshl_add_u64 v[10:11], v[4:5], 0, v[2:3]
	v_pk_fma_f32 v[20:21], v[18:19], s[4:5], v[12:13] op_sel:[0,0,1] op_sel_hi:[1,1,0] neg_lo:[0,0,1] neg_hi:[0,0,1]
	v_pk_fma_f32 v[12:13], v[18:19], s[4:5], v[12:13] op_sel:[0,0,1] op_sel_hi:[1,1,0]
	s_nop 0
	v_mov_b32_e32 v21, v13
	s_waitcnt vmcnt(0) lgkmcnt(0)
	v_pk_mul_f32 v[12:13], v[8:9], s[6:7]
	s_nop 0
	v_pk_fma_f32 v[18:19], v[8:9], s[16:17], v[12:13] op_sel:[0,0,1] op_sel_hi:[1,1,0] neg_lo:[0,0,1] neg_hi:[0,0,1]
	v_pk_fma_f32 v[8:9], v[8:9], s[16:17], v[12:13] op_sel:[0,0,1] op_sel_hi:[1,1,0]
	s_nop 0
	v_mov_b32_e32 v19, v9
	v_pk_add_f32 v[8:9], v[20:21], v[18:19]
	flat_store_dwordx2 v[10:11], v[8:9] offset:128
.LBB252_25:
	s_or_b64 exec, exec, s[2:3]
	v_lshl_add_u64 v[0:1], v[0:1], 0, 16
	v_cmp_gt_i64_e64 s[2:3], s[10:11], v[0:1]
	s_and_b64 exec, exec, s[2:3]
	s_cbranch_execz .LBB252_30
; %bb.26:
	s_lshl_b64 s[2:3], s[26:27], 7
	v_lshl_add_u64 v[0:1], v[6:7], 0, s[2:3]
	s_lshl_b64 s[2:3], s[36:37], 7
	v_lshl_add_u64 v[6:7], v[4:5], 0, s[2:3]
	v_lshl_add_u64 v[4:5], v[0:1], 0, v[2:3]
	;; [unrolled: 1-line block ×3, first 2 shown]
	s_and_saveexec_b64 s[2:3], vcc
	s_cbranch_execz .LBB252_28
; %bb.27:
	flat_load_dwordx2 v[2:3], v[4:5]
	v_pk_mul_f32 v[6:7], v[16:17], s[14:15]
	s_nop 0
	v_pk_fma_f32 v[8:9], v[16:17], s[4:5], v[6:7] op_sel:[0,0,1] op_sel_hi:[1,1,0] neg_lo:[0,0,1] neg_hi:[0,0,1]
	v_pk_fma_f32 v[6:7], v[16:17], s[4:5], v[6:7] op_sel:[0,0,1] op_sel_hi:[1,1,0]
	s_nop 0
	v_mov_b32_e32 v9, v7
	s_waitcnt vmcnt(0) lgkmcnt(0)
	v_pk_mul_f32 v[6:7], v[2:3], s[6:7]
	s_nop 0
	v_pk_fma_f32 v[10:11], v[2:3], s[16:17], v[6:7] op_sel:[0,0,1] op_sel_hi:[1,1,0] neg_lo:[0,0,1] neg_hi:[0,0,1]
	v_pk_fma_f32 v[2:3], v[2:3], s[16:17], v[6:7] op_sel:[0,0,1] op_sel_hi:[1,1,0]
	s_nop 0
	v_mov_b32_e32 v11, v3
	v_pk_add_f32 v[2:3], v[8:9], v[10:11]
	flat_store_dwordx2 v[0:1], v[2:3]
.LBB252_28:
	s_or_b64 exec, exec, s[2:3]
	s_and_b64 exec, exec, s[0:1]
	s_cbranch_execz .LBB252_30
; %bb.29:
	flat_load_dwordx2 v[2:3], v[4:5] offset:128
	v_pk_mul_f32 v[4:5], v[14:15], s[14:15]
	s_nop 0
	v_pk_fma_f32 v[6:7], v[14:15], s[4:5], v[4:5] op_sel:[0,0,1] op_sel_hi:[1,1,0] neg_lo:[0,0,1] neg_hi:[0,0,1]
	v_pk_fma_f32 v[4:5], v[14:15], s[4:5], v[4:5] op_sel:[0,0,1] op_sel_hi:[1,1,0]
	s_nop 0
	v_mov_b32_e32 v7, v5
	s_waitcnt vmcnt(0) lgkmcnt(0)
	v_pk_mul_f32 v[4:5], v[2:3], s[6:7]
	s_nop 0
	v_pk_fma_f32 v[8:9], v[2:3], s[16:17], v[4:5] op_sel:[0,0,1] op_sel_hi:[1,1,0] neg_lo:[0,0,1] neg_hi:[0,0,1]
	v_pk_fma_f32 v[2:3], v[2:3], s[16:17], v[4:5] op_sel:[0,0,1] op_sel_hi:[1,1,0]
	s_nop 0
	v_mov_b32_e32 v9, v3
	v_pk_add_f32 v[2:3], v[6:7], v[8:9]
	flat_store_dwordx2 v[0:1], v[2:3] offset:128
.LBB252_30:
	s_endpgm
	.section	.rodata,"a",@progbits
	.p2align	6, 0x0
	.amdhsa_kernel _ZN12_GLOBAL__N_135rocblas_gemm_batched_general_kernelI19rocblas_complex_numIfELi16ELi16ELi32ELi32ELi8ELi32ELi8ELi8ELi32ELc78ELc78EKPKS2_S5_KPS2_EEvlllT_PT11_llSA_llS8_PT12_llPT13_lli
		.amdhsa_group_segment_fixed_size 4096
		.amdhsa_private_segment_fixed_size 0
		.amdhsa_kernarg_size 140
		.amdhsa_user_sgpr_count 2
		.amdhsa_user_sgpr_dispatch_ptr 0
		.amdhsa_user_sgpr_queue_ptr 0
		.amdhsa_user_sgpr_kernarg_segment_ptr 1
		.amdhsa_user_sgpr_dispatch_id 0
		.amdhsa_user_sgpr_kernarg_preload_length 0
		.amdhsa_user_sgpr_kernarg_preload_offset 0
		.amdhsa_user_sgpr_private_segment_size 0
		.amdhsa_uses_dynamic_stack 0
		.amdhsa_enable_private_segment 0
		.amdhsa_system_sgpr_workgroup_id_x 1
		.amdhsa_system_sgpr_workgroup_id_y 1
		.amdhsa_system_sgpr_workgroup_id_z 1
		.amdhsa_system_sgpr_workgroup_info 0
		.amdhsa_system_vgpr_workitem_id 1
		.amdhsa_next_free_vgpr 136
		.amdhsa_next_free_sgpr 48
		.amdhsa_accum_offset 136
		.amdhsa_reserve_vcc 1
		.amdhsa_float_round_mode_32 0
		.amdhsa_float_round_mode_16_64 0
		.amdhsa_float_denorm_mode_32 3
		.amdhsa_float_denorm_mode_16_64 3
		.amdhsa_dx10_clamp 1
		.amdhsa_ieee_mode 1
		.amdhsa_fp16_overflow 0
		.amdhsa_tg_split 0
		.amdhsa_exception_fp_ieee_invalid_op 0
		.amdhsa_exception_fp_denorm_src 0
		.amdhsa_exception_fp_ieee_div_zero 0
		.amdhsa_exception_fp_ieee_overflow 0
		.amdhsa_exception_fp_ieee_underflow 0
		.amdhsa_exception_fp_ieee_inexact 0
		.amdhsa_exception_int_div_zero 0
	.end_amdhsa_kernel
	.section	.text._ZN12_GLOBAL__N_135rocblas_gemm_batched_general_kernelI19rocblas_complex_numIfELi16ELi16ELi32ELi32ELi8ELi32ELi8ELi8ELi32ELc78ELc78EKPKS2_S5_KPS2_EEvlllT_PT11_llSA_llS8_PT12_llPT13_lli,"axG",@progbits,_ZN12_GLOBAL__N_135rocblas_gemm_batched_general_kernelI19rocblas_complex_numIfELi16ELi16ELi32ELi32ELi8ELi32ELi8ELi8ELi32ELc78ELc78EKPKS2_S5_KPS2_EEvlllT_PT11_llSA_llS8_PT12_llPT13_lli,comdat
.Lfunc_end252:
	.size	_ZN12_GLOBAL__N_135rocblas_gemm_batched_general_kernelI19rocblas_complex_numIfELi16ELi16ELi32ELi32ELi8ELi32ELi8ELi8ELi32ELc78ELc78EKPKS2_S5_KPS2_EEvlllT_PT11_llSA_llS8_PT12_llPT13_lli, .Lfunc_end252-_ZN12_GLOBAL__N_135rocblas_gemm_batched_general_kernelI19rocblas_complex_numIfELi16ELi16ELi32ELi32ELi8ELi32ELi8ELi8ELi32ELc78ELc78EKPKS2_S5_KPS2_EEvlllT_PT11_llSA_llS8_PT12_llPT13_lli
                                        ; -- End function
	.set _ZN12_GLOBAL__N_135rocblas_gemm_batched_general_kernelI19rocblas_complex_numIfELi16ELi16ELi32ELi32ELi8ELi32ELi8ELi8ELi32ELc78ELc78EKPKS2_S5_KPS2_EEvlllT_PT11_llSA_llS8_PT12_llPT13_lli.num_vgpr, 136
	.set _ZN12_GLOBAL__N_135rocblas_gemm_batched_general_kernelI19rocblas_complex_numIfELi16ELi16ELi32ELi32ELi8ELi32ELi8ELi8ELi32ELc78ELc78EKPKS2_S5_KPS2_EEvlllT_PT11_llSA_llS8_PT12_llPT13_lli.num_agpr, 0
	.set _ZN12_GLOBAL__N_135rocblas_gemm_batched_general_kernelI19rocblas_complex_numIfELi16ELi16ELi32ELi32ELi8ELi32ELi8ELi8ELi32ELc78ELc78EKPKS2_S5_KPS2_EEvlllT_PT11_llSA_llS8_PT12_llPT13_lli.numbered_sgpr, 48
	.set _ZN12_GLOBAL__N_135rocblas_gemm_batched_general_kernelI19rocblas_complex_numIfELi16ELi16ELi32ELi32ELi8ELi32ELi8ELi8ELi32ELc78ELc78EKPKS2_S5_KPS2_EEvlllT_PT11_llSA_llS8_PT12_llPT13_lli.num_named_barrier, 0
	.set _ZN12_GLOBAL__N_135rocblas_gemm_batched_general_kernelI19rocblas_complex_numIfELi16ELi16ELi32ELi32ELi8ELi32ELi8ELi8ELi32ELc78ELc78EKPKS2_S5_KPS2_EEvlllT_PT11_llSA_llS8_PT12_llPT13_lli.private_seg_size, 0
	.set _ZN12_GLOBAL__N_135rocblas_gemm_batched_general_kernelI19rocblas_complex_numIfELi16ELi16ELi32ELi32ELi8ELi32ELi8ELi8ELi32ELc78ELc78EKPKS2_S5_KPS2_EEvlllT_PT11_llSA_llS8_PT12_llPT13_lli.uses_vcc, 1
	.set _ZN12_GLOBAL__N_135rocblas_gemm_batched_general_kernelI19rocblas_complex_numIfELi16ELi16ELi32ELi32ELi8ELi32ELi8ELi8ELi32ELc78ELc78EKPKS2_S5_KPS2_EEvlllT_PT11_llSA_llS8_PT12_llPT13_lli.uses_flat_scratch, 0
	.set _ZN12_GLOBAL__N_135rocblas_gemm_batched_general_kernelI19rocblas_complex_numIfELi16ELi16ELi32ELi32ELi8ELi32ELi8ELi8ELi32ELc78ELc78EKPKS2_S5_KPS2_EEvlllT_PT11_llSA_llS8_PT12_llPT13_lli.has_dyn_sized_stack, 0
	.set _ZN12_GLOBAL__N_135rocblas_gemm_batched_general_kernelI19rocblas_complex_numIfELi16ELi16ELi32ELi32ELi8ELi32ELi8ELi8ELi32ELc78ELc78EKPKS2_S5_KPS2_EEvlllT_PT11_llSA_llS8_PT12_llPT13_lli.has_recursion, 0
	.set _ZN12_GLOBAL__N_135rocblas_gemm_batched_general_kernelI19rocblas_complex_numIfELi16ELi16ELi32ELi32ELi8ELi32ELi8ELi8ELi32ELc78ELc78EKPKS2_S5_KPS2_EEvlllT_PT11_llSA_llS8_PT12_llPT13_lli.has_indirect_call, 0
	.section	.AMDGPU.csdata,"",@progbits
; Kernel info:
; codeLenInByte = 3116
; TotalNumSgprs: 54
; NumVgprs: 136
; NumAgprs: 0
; TotalNumVgprs: 136
; ScratchSize: 0
; MemoryBound: 0
; FloatMode: 240
; IeeeMode: 1
; LDSByteSize: 4096 bytes/workgroup (compile time only)
; SGPRBlocks: 6
; VGPRBlocks: 16
; NumSGPRsForWavesPerEU: 54
; NumVGPRsForWavesPerEU: 136
; AccumOffset: 136
; Occupancy: 3
; WaveLimiterHint : 1
; COMPUTE_PGM_RSRC2:SCRATCH_EN: 0
; COMPUTE_PGM_RSRC2:USER_SGPR: 2
; COMPUTE_PGM_RSRC2:TRAP_HANDLER: 0
; COMPUTE_PGM_RSRC2:TGID_X_EN: 1
; COMPUTE_PGM_RSRC2:TGID_Y_EN: 1
; COMPUTE_PGM_RSRC2:TGID_Z_EN: 1
; COMPUTE_PGM_RSRC2:TIDIG_COMP_CNT: 1
; COMPUTE_PGM_RSRC3_GFX90A:ACCUM_OFFSET: 33
; COMPUTE_PGM_RSRC3_GFX90A:TG_SPLIT: 0
	.section	.text._ZN12_GLOBAL__N_135rocblas_gemm_batched_general_kernelI19rocblas_complex_numIfELi16ELi16ELi32ELi32ELi8ELi32ELi8ELi8ELi32ELc84ELc78EKPKS2_S5_KPS2_EEvlllT_PT11_llSA_llS8_PT12_llPT13_lli,"axG",@progbits,_ZN12_GLOBAL__N_135rocblas_gemm_batched_general_kernelI19rocblas_complex_numIfELi16ELi16ELi32ELi32ELi8ELi32ELi8ELi8ELi32ELc84ELc78EKPKS2_S5_KPS2_EEvlllT_PT11_llSA_llS8_PT12_llPT13_lli,comdat
	.globl	_ZN12_GLOBAL__N_135rocblas_gemm_batched_general_kernelI19rocblas_complex_numIfELi16ELi16ELi32ELi32ELi8ELi32ELi8ELi8ELi32ELc84ELc78EKPKS2_S5_KPS2_EEvlllT_PT11_llSA_llS8_PT12_llPT13_lli ; -- Begin function _ZN12_GLOBAL__N_135rocblas_gemm_batched_general_kernelI19rocblas_complex_numIfELi16ELi16ELi32ELi32ELi8ELi32ELi8ELi8ELi32ELc84ELc78EKPKS2_S5_KPS2_EEvlllT_PT11_llSA_llS8_PT12_llPT13_lli
	.p2align	8
	.type	_ZN12_GLOBAL__N_135rocblas_gemm_batched_general_kernelI19rocblas_complex_numIfELi16ELi16ELi32ELi32ELi8ELi32ELi8ELi8ELi32ELc84ELc78EKPKS2_S5_KPS2_EEvlllT_PT11_llSA_llS8_PT12_llPT13_lli,@function
_ZN12_GLOBAL__N_135rocblas_gemm_batched_general_kernelI19rocblas_complex_numIfELi16ELi16ELi32ELi32ELi8ELi32ELi8ELi8ELi32ELc84ELc78EKPKS2_S5_KPS2_EEvlllT_PT11_llSA_llS8_PT12_llPT13_lli: ; @_ZN12_GLOBAL__N_135rocblas_gemm_batched_general_kernelI19rocblas_complex_numIfELi16ELi16ELi32ELi32ELi8ELi32ELi8ELi8ELi32ELc84ELc78EKPKS2_S5_KPS2_EEvlllT_PT11_llSA_llS8_PT12_llPT13_lli
; %bb.0:
	s_load_dwordx16 s[8:23], s[0:1], 0x0
	s_load_dwordx4 s[36:39], s[0:1], 0x78
	s_load_dwordx8 s[24:31], s[0:1], 0x58
	s_load_dwordx2 s[6:7], s[0:1], 0x50
	s_mov_b32 s5, 0
	s_lshl_b64 s[40:41], s[4:5], 3
	s_mov_b32 s42, s3
	s_waitcnt lgkmcnt(0)
	s_add_u32 s4, s24, s40
	s_addc_u32 s5, s25, s41
	s_load_dwordx2 s[24:25], s[4:5], 0x0
	s_add_u32 s4, s30, s40
	s_addc_u32 s5, s31, s41
	s_load_dwordx2 s[34:35], s[4:5], 0x0
	s_ashr_i32 s3, s2, 31
	v_mov_b32_e32 v23, 0
	s_lshl_b64 s[30:31], s[2:3], 5
	s_ashr_i32 s43, s42, 31
	v_cmp_lt_i64_e64 s[2:3], s[12:13], 1
	v_and_b32_e32 v12, 0x3ff, v0
	v_bfe_u32 v22, v0, 10, 10
	v_mov_b32_e32 v13, v23
	s_lshl_b64 s[4:5], s[42:43], 5
	s_and_b64 vcc, exec, s[2:3]
	v_mov_b32_e32 v21, v23
	v_mov_b32_e32 v20, v23
	;; [unrolled: 1-line block ×8, first 2 shown]
	s_cbranch_vccnz .LBB253_7
; %bb.1:
	s_load_dwordx4 s[44:47], s[0:1], 0x40
	s_add_u32 s0, s22, s40
	v_lshl_add_u32 v4, v22, 4, v12
	s_addc_u32 s1, s23, s41
	v_lshrrev_b32_e32 v24, 5, v4
	s_load_dwordx2 s[22:23], s[0:1], 0x0
	s_add_u32 s0, s16, s40
	v_lshrrev_b32_e32 v0, 3, v4
	v_and_b32_e32 v4, 31, v4
	v_mov_b32_e32 v25, 0
	v_and_b32_e32 v26, 7, v12
	s_addc_u32 s1, s17, s41
	v_or_b32_e32 v6, s30, v4
	v_mov_b32_e32 v7, s31
	s_load_dwordx2 s[16:17], s[0:1], 0x0
	v_mov_b32_e32 v1, v25
	v_cmp_gt_i64_e64 s[0:1], s[8:9], v[6:7]
	v_lshlrev_b32_e32 v6, 3, v26
	v_lshl_add_u64 v[2:3], v[0:1], 0, s[4:5]
	v_lshl_or_b32 v0, v0, 6, v6
	v_lshlrev_b32_e32 v1, 3, v4
	v_add_u32_e32 v45, 0x800, v0
	v_mov_b32_e32 v0, 0x800
	v_lshl_or_b32 v44, v24, 8, v1
	v_cmp_gt_i64_e64 s[2:3], s[10:11], v[2:3]
	v_lshl_add_u32 v47, v22, 6, v0
	s_waitcnt lgkmcnt(0)
	v_mul_lo_u32 v7, s45, v2
	v_mul_lo_u32 v3, s44, v3
	v_mad_u64_u32 v[0:1], s[40:41], s44, v2, 0
	v_add3_u32 v1, v1, v3, v7
	s_lshl_b64 s[40:41], s[46:47], 3
	v_lshl_add_u64 v[0:1], v[0:1], 3, s[40:41]
	v_mov_b32_e32 v7, v25
	v_mov_b32_e32 v5, v25
	v_lshl_add_u64 v[0:1], v[0:1], 0, v[6:7]
	v_lshl_add_u64 v[28:29], s[22:23], 0, v[0:1]
	v_lshl_add_u64 v[0:1], s[30:31], 0, v[4:5]
	v_mul_lo_u32 v2, s19, v0
	v_mul_lo_u32 v3, s18, v1
	v_mad_u64_u32 v[0:1], s[18:19], s18, v0, 0
	v_add3_u32 v1, v1, v3, v2
	s_lshl_b64 s[18:19], s[20:21], 3
	v_lshl_add_u64 v[0:1], v[0:1], 3, s[18:19]
	v_lshlrev_b32_e32 v2, 3, v24
	v_mov_b32_e32 v3, v25
	v_lshl_add_u64 v[0:1], v[0:1], 0, v[2:3]
	v_mov_b32_e32 v27, v25
	v_lshlrev_b32_e32 v46, 3, v12
	v_lshl_add_u64 v[30:31], s[16:17], 0, v[0:1]
	s_mov_b64 s[16:17], 0
	v_mov_b64_e32 v[32:33], s[12:13]
	v_mov_b32_e32 v14, v25
	v_mov_b32_e32 v15, v25
	;; [unrolled: 1-line block ×8, first 2 shown]
	s_branch .LBB253_3
.LBB253_2:                              ;   in Loop: Header=BB253_3 Depth=1
	s_or_b64 exec, exec, s[18:19]
	s_waitcnt vmcnt(0) lgkmcnt(0)
	ds_write_b64 v45, v[0:1]
	s_waitcnt lgkmcnt(0)
	s_barrier
	ds_read2_b64 v[4:7], v46 offset1:16
	ds_read_b128 v[48:51], v47
	ds_read2_b64 v[8:11], v46 offset0:32 offset1:48
	ds_read_b128 v[0:3], v47 offset:16
	ds_read_b128 v[52:55], v47 offset:1024
	s_add_u32 s16, s16, 8
	s_waitcnt lgkmcnt(3)
	v_pk_mul_f32 v[36:37], v[48:49], v[4:5] op_sel:[0,1]
	v_pk_mul_f32 v[56:57], v[48:49], v[6:7] op_sel:[0,1]
	v_pk_fma_f32 v[34:35], v[48:49], v[4:5], v[36:37] op_sel:[0,0,1] op_sel_hi:[1,1,0] neg_lo:[0,0,1] neg_hi:[0,0,1]
	v_pk_fma_f32 v[36:37], v[48:49], v[4:5], v[36:37] op_sel:[0,0,1] op_sel_hi:[1,0,0]
	s_waitcnt lgkmcnt(2)
	v_pk_mul_f32 v[40:41], v[50:51], v[8:9] op_sel:[0,1]
	v_pk_fma_f32 v[42:43], v[48:49], v[6:7], v[56:57] op_sel:[0,0,1] op_sel_hi:[1,1,0] neg_lo:[0,0,1] neg_hi:[0,0,1]
	v_pk_fma_f32 v[72:73], v[48:49], v[6:7], v[56:57] op_sel:[0,0,1] op_sel_hi:[1,0,0]
	v_pk_mul_f32 v[48:49], v[50:51], v[10:11] op_sel:[0,1]
	v_pk_fma_f32 v[38:39], v[50:51], v[8:9], v[40:41] op_sel:[0,0,1] op_sel_hi:[1,1,0] neg_lo:[0,0,1] neg_hi:[0,0,1]
	v_pk_fma_f32 v[40:41], v[50:51], v[8:9], v[40:41] op_sel:[0,0,1] op_sel_hi:[1,0,0]
	v_pk_fma_f32 v[74:75], v[50:51], v[10:11], v[48:49] op_sel:[0,0,1] op_sel_hi:[1,1,0] neg_lo:[0,0,1] neg_hi:[0,0,1]
	v_pk_fma_f32 v[76:77], v[50:51], v[10:11], v[48:49] op_sel:[0,0,1] op_sel_hi:[1,0,0]
	ds_read_b128 v[48:51], v47 offset:1040
	s_waitcnt lgkmcnt(1)
	v_pk_mul_f32 v[56:57], v[52:53], v[4:5] op_sel:[0,1]
	v_mov_b32_e32 v35, v37
	v_pk_fma_f32 v[78:79], v[52:53], v[4:5], v[56:57] op_sel:[0,0,1] op_sel_hi:[1,1,0] neg_lo:[0,0,1] neg_hi:[0,0,1]
	v_pk_fma_f32 v[80:81], v[52:53], v[4:5], v[56:57] op_sel:[0,0,1] op_sel_hi:[1,0,0]
	v_pk_mul_f32 v[4:5], v[52:53], v[6:7] op_sel:[0,1]
	ds_read2_b64 v[56:59], v46 offset0:96 offset1:112
	v_pk_fma_f32 v[82:83], v[52:53], v[6:7], v[4:5] op_sel:[0,0,1] op_sel_hi:[1,1,0] neg_lo:[0,0,1] neg_hi:[0,0,1]
	v_pk_fma_f32 v[84:85], v[52:53], v[6:7], v[4:5] op_sel:[0,0,1] op_sel_hi:[1,0,0]
	v_pk_mul_f32 v[4:5], v[54:55], v[8:9] op_sel:[0,1]
	v_pk_add_f32 v[20:21], v[20:21], v[34:35]
	v_pk_fma_f32 v[86:87], v[54:55], v[8:9], v[4:5] op_sel:[0,0,1] op_sel_hi:[1,1,0] neg_lo:[0,0,1] neg_hi:[0,0,1]
	v_pk_fma_f32 v[88:89], v[54:55], v[8:9], v[4:5] op_sel:[0,0,1] op_sel_hi:[1,0,0]
	ds_read2_b64 v[4:7], v46 offset0:64 offset1:80
	v_pk_mul_f32 v[8:9], v[54:55], v[10:11] op_sel:[0,1]
	v_mov_b32_e32 v79, v81
	v_pk_fma_f32 v[90:91], v[54:55], v[10:11], v[8:9] op_sel:[0,0,1] op_sel_hi:[1,1,0] neg_lo:[0,0,1] neg_hi:[0,0,1]
	v_pk_fma_f32 v[92:93], v[54:55], v[10:11], v[8:9] op_sel:[0,0,1] op_sel_hi:[1,0,0]
	s_waitcnt lgkmcnt(0)
	v_pk_mul_f32 v[8:9], v[0:1], v[4:5] op_sel:[0,1]
	v_pk_mul_f32 v[60:61], v[0:1], v[6:7] op_sel:[0,1]
	v_pk_fma_f32 v[94:95], v[0:1], v[4:5], v[8:9] op_sel:[0,0,1] op_sel_hi:[1,1,0] neg_lo:[0,0,1] neg_hi:[0,0,1]
	v_pk_fma_f32 v[96:97], v[0:1], v[4:5], v[8:9] op_sel:[0,0,1] op_sel_hi:[1,0,0]
	v_pk_mul_f32 v[8:9], v[2:3], v[56:57] op_sel:[0,1]
	v_pk_mul_f32 v[34:35], v[48:49], v[4:5] op_sel:[0,1]
	v_pk_fma_f32 v[98:99], v[2:3], v[56:57], v[8:9] op_sel:[0,0,1] op_sel_hi:[1,1,0] neg_lo:[0,0,1] neg_hi:[0,0,1]
	v_pk_fma_f32 v[100:101], v[2:3], v[56:57], v[8:9] op_sel:[0,0,1] op_sel_hi:[1,0,0]
	ds_read2_b64 v[8:11], v46 offset0:128 offset1:144
	ds_read_b128 v[52:55], v47 offset:32
	v_pk_fma_f32 v[102:103], v[0:1], v[6:7], v[60:61] op_sel:[0,0,1] op_sel_hi:[1,1,0] neg_lo:[0,0,1] neg_hi:[0,0,1]
	v_pk_fma_f32 v[104:105], v[0:1], v[6:7], v[60:61] op_sel:[0,0,1] op_sel_hi:[1,0,0]
	v_pk_mul_f32 v[0:1], v[2:3], v[58:59] op_sel:[0,1]
	v_pk_add_f32 v[16:17], v[16:17], v[78:79]
	v_mov_b32_e32 v87, v89
	v_pk_fma_f32 v[36:37], v[48:49], v[4:5], v[34:35] op_sel:[0,0,1] op_sel_hi:[1,1,0] neg_lo:[0,0,1] neg_hi:[0,0,1]
	v_pk_fma_f32 v[4:5], v[48:49], v[4:5], v[34:35] op_sel:[0,0,1] op_sel_hi:[1,0,0]
	v_pk_fma_f32 v[106:107], v[2:3], v[58:59], v[0:1] op_sel:[0,0,1] op_sel_hi:[1,1,0] neg_lo:[0,0,1] neg_hi:[0,0,1]
	v_pk_fma_f32 v[108:109], v[2:3], v[58:59], v[0:1] op_sel:[0,0,1] op_sel_hi:[1,0,0]
	ds_read2_b64 v[0:3], v46 offset0:160 offset1:176
	ds_read_b128 v[60:63], v47 offset:48
	v_pk_add_f32 v[16:17], v[16:17], v[86:87]
	v_mov_b32_e32 v37, v5
	v_pk_add_f32 v[4:5], v[16:17], v[36:37]
	ds_read_b128 v[34:37], v47 offset:1056
	s_waitcnt lgkmcnt(3)
	v_pk_mul_f32 v[64:65], v[52:53], v[8:9] op_sel:[0,1]
	v_mov_b32_e32 v39, v41
	v_pk_mul_f32 v[16:17], v[50:51], v[56:57] op_sel:[0,1]
	v_pk_fma_f32 v[110:111], v[52:53], v[8:9], v[64:65] op_sel:[0,0,1] op_sel_hi:[1,1,0] neg_lo:[0,0,1] neg_hi:[0,0,1]
	v_pk_fma_f32 v[112:113], v[52:53], v[8:9], v[64:65] op_sel:[0,0,1] op_sel_hi:[1,0,0]
	s_waitcnt lgkmcnt(2)
	v_pk_mul_f32 v[64:65], v[54:55], v[0:1] op_sel:[0,1]
	v_pk_add_f32 v[20:21], v[20:21], v[38:39]
	v_pk_fma_f32 v[38:39], v[50:51], v[56:57], v[16:17] op_sel:[0,0,1] op_sel_hi:[1,1,0] neg_lo:[0,0,1] neg_hi:[0,0,1]
	v_pk_fma_f32 v[16:17], v[50:51], v[56:57], v[16:17] op_sel:[0,0,1] op_sel_hi:[1,0,0]
	v_pk_fma_f32 v[114:115], v[54:55], v[0:1], v[64:65] op_sel:[0,0,1] op_sel_hi:[1,1,0] neg_lo:[0,0,1] neg_hi:[0,0,1]
	v_pk_fma_f32 v[116:117], v[54:55], v[0:1], v[64:65] op_sel:[0,0,1] op_sel_hi:[1,0,0]
	v_pk_mul_f32 v[64:65], v[52:53], v[10:11] op_sel:[0,1]
	v_mov_b32_e32 v39, v17
	v_pk_fma_f32 v[118:119], v[52:53], v[10:11], v[64:65] op_sel:[0,0,1] op_sel_hi:[1,1,0] neg_lo:[0,0,1] neg_hi:[0,0,1]
	v_pk_fma_f32 v[52:53], v[52:53], v[10:11], v[64:65] op_sel:[0,0,1] op_sel_hi:[1,0,0]
	ds_read2_b64 v[64:67], v46 offset0:192 offset1:208
	v_mov_b32_e32 v43, v73
	v_pk_add_f32 v[4:5], v[4:5], v[38:39]
	ds_read_b128 v[38:41], v47 offset:1072
	s_waitcnt lgkmcnt(2)
	v_pk_mul_f32 v[16:17], v[34:35], v[8:9] op_sel:[0,1]
	v_pk_add_f32 v[18:19], v[18:19], v[42:43]
	v_pk_fma_f32 v[42:43], v[34:35], v[8:9], v[16:17] op_sel:[0,0,1] op_sel_hi:[1,1,0] neg_lo:[0,0,1] neg_hi:[0,0,1]
	v_pk_fma_f32 v[8:9], v[34:35], v[8:9], v[16:17] op_sel:[0,0,1] op_sel_hi:[1,0,0]
	ds_read2_b64 v[68:71], v46 offset0:224 offset1:240
	v_mov_b32_e32 v43, v9
	v_pk_mul_f32 v[8:9], v[36:37], v[0:1] op_sel:[0,1]
	v_pk_add_f32 v[4:5], v[4:5], v[42:43]
	v_pk_fma_f32 v[16:17], v[36:37], v[0:1], v[8:9] op_sel:[0,0,1] op_sel_hi:[1,1,0] neg_lo:[0,0,1] neg_hi:[0,0,1]
	v_pk_fma_f32 v[0:1], v[36:37], v[0:1], v[8:9] op_sel:[0,0,1] op_sel_hi:[1,0,0]
	v_mov_b32_e32 v83, v85
	v_mov_b32_e32 v17, v1
	v_pk_add_f32 v[0:1], v[4:5], v[16:17]
	s_waitcnt lgkmcnt(1)
	v_pk_mul_f32 v[4:5], v[38:39], v[64:65] op_sel:[0,1]
	v_mov_b32_e32 v91, v93
	v_pk_fma_f32 v[8:9], v[38:39], v[64:65], v[4:5] op_sel:[0,0,1] op_sel_hi:[1,1,0] neg_lo:[0,0,1] neg_hi:[0,0,1]
	v_pk_fma_f32 v[4:5], v[38:39], v[64:65], v[4:5] op_sel:[0,0,1] op_sel_hi:[1,0,0]
	v_pk_mul_f32 v[120:121], v[54:55], v[2:3] op_sel:[0,1]
	v_mov_b32_e32 v9, v5
	s_waitcnt lgkmcnt(0)
	v_pk_mul_f32 v[4:5], v[40:41], v[68:69] op_sel:[0,1]
	v_pk_add_f32 v[0:1], v[0:1], v[8:9]
	v_pk_fma_f32 v[8:9], v[40:41], v[68:69], v[4:5] op_sel:[0,0,1] op_sel_hi:[1,1,0] neg_lo:[0,0,1] neg_hi:[0,0,1]
	v_pk_fma_f32 v[4:5], v[40:41], v[68:69], v[4:5] op_sel:[0,0,1] op_sel_hi:[1,0,0]
	v_mov_b32_e32 v75, v77
	v_mov_b32_e32 v9, v5
	v_pk_mul_f32 v[4:5], v[48:49], v[6:7] op_sel:[0,1]
	v_pk_add_f32 v[16:17], v[0:1], v[8:9]
	v_pk_fma_f32 v[8:9], v[48:49], v[6:7], v[4:5] op_sel:[0,0,1] op_sel_hi:[1,1,0] neg_lo:[0,0,1] neg_hi:[0,0,1]
	v_pk_fma_f32 v[4:5], v[48:49], v[6:7], v[4:5] op_sel:[0,0,1] op_sel_hi:[1,0,0]
	v_pk_add_f32 v[0:1], v[14:15], v[82:83]
	v_mov_b32_e32 v9, v5
	v_pk_mul_f32 v[4:5], v[50:51], v[58:59] op_sel:[0,1]
	v_pk_add_f32 v[0:1], v[0:1], v[90:91]
	v_pk_fma_f32 v[6:7], v[50:51], v[58:59], v[4:5] op_sel:[0,0,1] op_sel_hi:[1,1,0] neg_lo:[0,0,1] neg_hi:[0,0,1]
	v_pk_fma_f32 v[4:5], v[50:51], v[58:59], v[4:5] op_sel:[0,0,1] op_sel_hi:[1,0,0]
	v_pk_add_f32 v[0:1], v[0:1], v[8:9]
	v_mov_b32_e32 v7, v5
	v_pk_mul_f32 v[4:5], v[34:35], v[10:11] op_sel:[0,1]
	v_pk_add_f32 v[0:1], v[0:1], v[6:7]
	v_pk_fma_f32 v[6:7], v[34:35], v[10:11], v[4:5] op_sel:[0,0,1] op_sel_hi:[1,1,0] neg_lo:[0,0,1] neg_hi:[0,0,1]
	v_pk_fma_f32 v[4:5], v[34:35], v[10:11], v[4:5] op_sel:[0,0,1] op_sel_hi:[1,0,0]
	v_pk_fma_f32 v[122:123], v[54:55], v[2:3], v[120:121] op_sel:[0,0,1] op_sel_hi:[1,1,0] neg_lo:[0,0,1] neg_hi:[0,0,1]
	v_mov_b32_e32 v7, v5
	v_pk_mul_f32 v[4:5], v[36:37], v[2:3] op_sel:[0,1]
	v_pk_fma_f32 v[54:55], v[54:55], v[2:3], v[120:121] op_sel:[0,0,1] op_sel_hi:[1,0,0]
	v_mov_b32_e32 v95, v97
	v_pk_add_f32 v[18:19], v[18:19], v[74:75]
	v_mov_b32_e32 v103, v105
	v_pk_add_f32 v[0:1], v[0:1], v[6:7]
	v_pk_fma_f32 v[6:7], v[36:37], v[2:3], v[4:5] op_sel:[0,0,1] op_sel_hi:[1,1,0] neg_lo:[0,0,1] neg_hi:[0,0,1]
	v_pk_fma_f32 v[2:3], v[36:37], v[2:3], v[4:5] op_sel:[0,0,1] op_sel_hi:[1,0,0]
	v_pk_add_f32 v[20:21], v[20:21], v[94:95]
	v_mov_b32_e32 v99, v101
	v_pk_add_f32 v[18:19], v[18:19], v[102:103]
	v_mov_b32_e32 v107, v109
	v_mov_b32_e32 v7, v3
	v_pk_mul_f32 v[2:3], v[38:39], v[66:67] op_sel:[0,1]
	v_pk_mul_f32 v[120:121], v[60:61], v[64:65] op_sel:[0,1]
	;; [unrolled: 1-line block ×3, first 2 shown]
	v_pk_add_f32 v[20:21], v[20:21], v[98:99]
	v_mov_b32_e32 v111, v113
	v_pk_add_f32 v[18:19], v[18:19], v[106:107]
	v_mov_b32_e32 v119, v53
	v_pk_fma_f32 v[4:5], v[38:39], v[66:67], v[2:3] op_sel:[0,0,1] op_sel_hi:[1,1,0] neg_lo:[0,0,1] neg_hi:[0,0,1]
	v_pk_fma_f32 v[2:3], v[38:39], v[66:67], v[2:3] op_sel:[0,0,1] op_sel_hi:[1,0,0]
	v_pk_fma_f32 v[124:125], v[60:61], v[64:65], v[120:121] op_sel:[0,0,1] op_sel_hi:[1,1,0] neg_lo:[0,0,1] neg_hi:[0,0,1]
	v_pk_fma_f32 v[120:121], v[60:61], v[64:65], v[120:121] op_sel:[0,0,1] op_sel_hi:[1,0,0]
	v_pk_mul_f32 v[126:127], v[62:63], v[68:69] op_sel:[0,1]
	v_pk_fma_f32 v[132:133], v[60:61], v[66:67], v[130:131] op_sel:[0,0,1] op_sel_hi:[1,1,0] neg_lo:[0,0,1] neg_hi:[0,0,1]
	v_pk_fma_f32 v[60:61], v[60:61], v[66:67], v[130:131] op_sel:[0,0,1] op_sel_hi:[1,0,0]
	v_pk_mul_f32 v[130:131], v[62:63], v[70:71] op_sel:[0,1]
	v_pk_add_f32 v[20:21], v[20:21], v[110:111]
	v_mov_b32_e32 v115, v117
	v_pk_add_f32 v[18:19], v[18:19], v[118:119]
	v_mov_b32_e32 v123, v55
	;; [unrolled: 2-line block ×3, first 2 shown]
	v_pk_mul_f32 v[2:3], v[40:41], v[70:71] op_sel:[0,1]
	v_pk_fma_f32 v[128:129], v[62:63], v[68:69], v[126:127] op_sel:[0,0,1] op_sel_hi:[1,1,0] neg_lo:[0,0,1] neg_hi:[0,0,1]
	v_pk_fma_f32 v[126:127], v[62:63], v[68:69], v[126:127] op_sel:[0,0,1] op_sel_hi:[1,0,0]
	v_pk_fma_f32 v[134:135], v[62:63], v[70:71], v[130:131] op_sel:[0,0,1] op_sel_hi:[1,1,0] neg_lo:[0,0,1] neg_hi:[0,0,1]
	v_pk_fma_f32 v[62:63], v[62:63], v[70:71], v[130:131] op_sel:[0,0,1] op_sel_hi:[1,0,0]
	v_pk_add_f32 v[20:21], v[20:21], v[114:115]
	v_mov_b32_e32 v125, v121
	v_pk_add_f32 v[18:19], v[18:19], v[122:123]
	v_mov_b32_e32 v133, v61
	v_pk_add_f32 v[0:1], v[0:1], v[4:5]
	v_pk_fma_f32 v[4:5], v[40:41], v[70:71], v[2:3] op_sel:[0,0,1] op_sel_hi:[1,1,0] neg_lo:[0,0,1] neg_hi:[0,0,1]
	v_pk_fma_f32 v[2:3], v[40:41], v[70:71], v[2:3] op_sel:[0,0,1] op_sel_hi:[1,0,0]
	s_addc_u32 s17, s17, 0
	v_pk_add_f32 v[20:21], v[20:21], v[124:125]
	v_mov_b32_e32 v129, v127
	v_pk_add_f32 v[18:19], v[18:19], v[132:133]
	v_mov_b32_e32 v135, v63
	v_mov_b32_e32 v5, v3
	v_cmp_lt_i64_e32 vcc, s[16:17], v[32:33]
	v_pk_add_f32 v[20:21], v[20:21], v[128:129]
	v_pk_add_f32 v[18:19], v[18:19], v[134:135]
	;; [unrolled: 1-line block ×3, first 2 shown]
	v_lshl_add_u64 v[28:29], v[28:29], 0, 64
	v_lshl_add_u64 v[30:31], v[30:31], 0, 64
	s_barrier
	s_cbranch_vccz .LBB253_7
.LBB253_3:                              ; =>This Inner Loop Header: Depth=1
	v_lshl_add_u64 v[0:1], v[24:25], 0, s[16:17]
	v_cmp_gt_i64_e32 vcc, s[12:13], v[0:1]
	s_and_b64 s[20:21], s[0:1], vcc
	v_mov_b32_e32 v0, 0
	v_mov_b32_e32 v1, 0
	s_and_saveexec_b64 s[18:19], s[20:21]
	s_cbranch_execz .LBB253_5
; %bb.4:                                ;   in Loop: Header=BB253_3 Depth=1
	flat_load_dwordx2 v[0:1], v[30:31]
.LBB253_5:                              ;   in Loop: Header=BB253_3 Depth=1
	s_or_b64 exec, exec, s[18:19]
	s_waitcnt vmcnt(0) lgkmcnt(0)
	ds_write_b64 v44, v[0:1]
	v_lshl_add_u64 v[0:1], v[26:27], 0, s[16:17]
	v_cmp_gt_i64_e32 vcc, s[12:13], v[0:1]
	s_and_b64 s[20:21], vcc, s[2:3]
	v_mov_b32_e32 v0, 0
	v_mov_b32_e32 v1, 0
	s_and_saveexec_b64 s[18:19], s[20:21]
	s_cbranch_execz .LBB253_2
; %bb.6:                                ;   in Loop: Header=BB253_3 Depth=1
	flat_load_dwordx2 v[0:1], v[28:29]
	s_branch .LBB253_2
.LBB253_7:
	s_lshl_b64 s[0:1], s[38:39], 3
	s_waitcnt lgkmcnt(0)
	s_add_u32 s12, s34, s0
	s_addc_u32 s13, s35, s1
	s_or_b32 s0, s6, s7
	v_lshl_add_u64 v[0:1], s[4:5], 0, v[22:23]
	s_bitset0_b32 s0, 31
	s_cmp_lg_u32 s0, 0
	v_cmp_gt_i64_e64 s[0:1], s[10:11], v[0:1]
	s_mov_b64 s[2:3], -1
	s_cbranch_scc1 .LBB253_19
; %bb.8:
	s_and_saveexec_b64 s[16:17], s[0:1]
	s_cbranch_execz .LBB253_18
; %bb.9:
	v_mul_lo_u32 v6, v1, s36
	v_mul_lo_u32 v7, v0, s37
	v_mad_u64_u32 v[4:5], s[2:3], v0, s36, 0
	v_add3_u32 v5, v5, v7, v6
	v_lshl_add_u64 v[2:3], s[30:31], 0, v[12:13]
	v_lshl_add_u64 v[4:5], v[4:5], 3, s[12:13]
	v_cmp_gt_i64_e32 vcc, s[8:9], v[2:3]
	s_mov_b32 s18, s14
	s_mov_b32 s19, s14
	;; [unrolled: 1-line block ×4, first 2 shown]
	v_lshl_add_u64 v[6:7], v[2:3], 3, v[4:5]
	s_and_saveexec_b64 s[2:3], vcc
	s_cbranch_execz .LBB253_11
; %bb.10:
	v_pk_mul_f32 v[8:9], v[20:21], s[20:21]
	s_nop 0
	v_pk_fma_f32 v[10:11], v[20:21], s[18:19], v[8:9] op_sel:[0,0,1] op_sel_hi:[1,1,0] neg_lo:[0,0,1] neg_hi:[0,0,1]
	v_pk_fma_f32 v[8:9], v[20:21], s[18:19], v[8:9] op_sel:[0,0,1] op_sel_hi:[1,1,0]
	s_nop 0
	v_mov_b32_e32 v11, v9
	flat_store_dwordx2 v[6:7], v[10:11]
.LBB253_11:
	s_or_b64 exec, exec, s[2:3]
	v_lshl_add_u64 v[8:9], v[2:3], 0, 16
	v_cmp_gt_i64_e64 s[2:3], s[8:9], v[8:9]
	s_and_saveexec_b64 s[4:5], s[2:3]
	s_cbranch_execz .LBB253_13
; %bb.12:
	v_pk_mul_f32 v[8:9], v[18:19], s[20:21]
	s_nop 0
	v_pk_fma_f32 v[10:11], v[18:19], s[18:19], v[8:9] op_sel:[0,0,1] op_sel_hi:[1,1,0] neg_lo:[0,0,1] neg_hi:[0,0,1]
	v_pk_fma_f32 v[8:9], v[18:19], s[18:19], v[8:9] op_sel:[0,0,1] op_sel_hi:[1,1,0]
	s_nop 0
	v_mov_b32_e32 v11, v9
	flat_store_dwordx2 v[6:7], v[10:11] offset:128
.LBB253_13:
	s_or_b64 exec, exec, s[4:5]
	v_lshl_add_u64 v[6:7], v[0:1], 0, 16
	v_cmp_gt_i64_e64 s[4:5], s[10:11], v[6:7]
	s_and_b64 exec, exec, s[4:5]
	s_cbranch_execz .LBB253_18
; %bb.14:
	s_lshl_b64 s[4:5], s[36:37], 7
	v_lshl_add_u64 v[4:5], v[4:5], 0, s[4:5]
	v_lshl_add_u64 v[2:3], v[2:3], 3, v[4:5]
	s_and_saveexec_b64 s[4:5], vcc
	s_cbranch_execz .LBB253_16
; %bb.15:
	v_pk_mul_f32 v[4:5], v[16:17], s[20:21]
	s_nop 0
	v_pk_fma_f32 v[6:7], v[16:17], s[18:19], v[4:5] op_sel:[0,0,1] op_sel_hi:[1,1,0] neg_lo:[0,0,1] neg_hi:[0,0,1]
	v_pk_fma_f32 v[4:5], v[16:17], s[18:19], v[4:5] op_sel:[0,0,1] op_sel_hi:[1,1,0]
	s_nop 0
	v_mov_b32_e32 v7, v5
	flat_store_dwordx2 v[2:3], v[6:7]
.LBB253_16:
	s_or_b64 exec, exec, s[4:5]
	s_and_b64 exec, exec, s[2:3]
	s_cbranch_execz .LBB253_18
; %bb.17:
	v_pk_mul_f32 v[4:5], v[14:15], s[20:21]
	s_nop 0
	v_pk_fma_f32 v[6:7], v[14:15], s[18:19], v[4:5] op_sel:[0,0,1] op_sel_hi:[1,1,0] neg_lo:[0,0,1] neg_hi:[0,0,1]
	v_pk_fma_f32 v[4:5], v[14:15], s[18:19], v[4:5] op_sel:[0,0,1] op_sel_hi:[1,1,0]
	s_nop 0
	v_mov_b32_e32 v7, v5
	flat_store_dwordx2 v[2:3], v[6:7] offset:128
.LBB253_18:
	s_or_b64 exec, exec, s[16:17]
	s_mov_b64 s[2:3], 0
.LBB253_19:
	s_andn2_b64 vcc, exec, s[2:3]
	s_cbranch_vccnz .LBB253_30
; %bb.20:
	s_and_saveexec_b64 s[2:3], s[0:1]
	s_cbranch_execz .LBB253_30
; %bb.21:
	s_lshl_b64 s[0:1], s[28:29], 3
	v_mul_lo_u32 v4, v1, s26
	v_mul_lo_u32 v5, v0, s27
	v_mad_u64_u32 v[2:3], s[2:3], v0, s26, 0
	s_add_u32 s0, s24, s0
	v_add3_u32 v3, v3, v5, v4
	v_mul_lo_u32 v6, v1, s36
	v_mul_lo_u32 v7, v0, s37
	v_mad_u64_u32 v[4:5], s[2:3], v0, s36, 0
	s_addc_u32 s1, s25, s1
	v_lshl_add_u64 v[8:9], s[30:31], 0, v[12:13]
	v_add3_u32 v5, v5, v7, v6
	v_cmp_gt_i64_e32 vcc, s[8:9], v[8:9]
	s_mov_b32 s4, s14
	s_mov_b32 s5, s14
	;; [unrolled: 1-line block ×6, first 2 shown]
	v_lshl_add_u64 v[6:7], v[2:3], 3, s[0:1]
	v_lshl_add_u64 v[4:5], v[4:5], 3, s[12:13]
	v_lshlrev_b64 v[2:3], 3, v[8:9]
	s_and_saveexec_b64 s[0:1], vcc
	s_cbranch_execz .LBB253_23
; %bb.22:
	v_lshl_add_u64 v[10:11], v[6:7], 0, v[2:3]
	flat_load_dwordx2 v[10:11], v[10:11]
	v_pk_mul_f32 v[22:23], v[20:21], s[14:15]
	v_lshl_add_u64 v[12:13], v[4:5], 0, v[2:3]
	v_pk_fma_f32 v[24:25], v[20:21], s[4:5], v[22:23] op_sel:[0,0,1] op_sel_hi:[1,1,0] neg_lo:[0,0,1] neg_hi:[0,0,1]
	v_pk_fma_f32 v[20:21], v[20:21], s[4:5], v[22:23] op_sel:[0,0,1] op_sel_hi:[1,1,0]
	s_nop 0
	v_mov_b32_e32 v25, v21
	s_waitcnt vmcnt(0) lgkmcnt(0)
	v_pk_mul_f32 v[20:21], v[10:11], s[6:7]
	s_nop 0
	v_pk_fma_f32 v[22:23], v[10:11], s[16:17], v[20:21] op_sel:[0,0,1] op_sel_hi:[1,1,0] neg_lo:[0,0,1] neg_hi:[0,0,1]
	v_pk_fma_f32 v[10:11], v[10:11], s[16:17], v[20:21] op_sel:[0,0,1] op_sel_hi:[1,1,0]
	s_nop 0
	v_mov_b32_e32 v23, v11
	v_pk_add_f32 v[10:11], v[24:25], v[22:23]
	flat_store_dwordx2 v[12:13], v[10:11]
.LBB253_23:
	s_or_b64 exec, exec, s[0:1]
	v_lshl_add_u64 v[8:9], v[8:9], 0, 16
	v_cmp_gt_i64_e64 s[0:1], s[8:9], v[8:9]
	s_and_saveexec_b64 s[2:3], s[0:1]
	s_cbranch_execz .LBB253_25
; %bb.24:
	v_lshl_add_u64 v[8:9], v[6:7], 0, v[2:3]
	flat_load_dwordx2 v[8:9], v[8:9] offset:128
	v_pk_mul_f32 v[12:13], v[18:19], s[14:15]
	v_lshl_add_u64 v[10:11], v[4:5], 0, v[2:3]
	v_pk_fma_f32 v[20:21], v[18:19], s[4:5], v[12:13] op_sel:[0,0,1] op_sel_hi:[1,1,0] neg_lo:[0,0,1] neg_hi:[0,0,1]
	v_pk_fma_f32 v[12:13], v[18:19], s[4:5], v[12:13] op_sel:[0,0,1] op_sel_hi:[1,1,0]
	s_nop 0
	v_mov_b32_e32 v21, v13
	s_waitcnt vmcnt(0) lgkmcnt(0)
	v_pk_mul_f32 v[12:13], v[8:9], s[6:7]
	s_nop 0
	v_pk_fma_f32 v[18:19], v[8:9], s[16:17], v[12:13] op_sel:[0,0,1] op_sel_hi:[1,1,0] neg_lo:[0,0,1] neg_hi:[0,0,1]
	v_pk_fma_f32 v[8:9], v[8:9], s[16:17], v[12:13] op_sel:[0,0,1] op_sel_hi:[1,1,0]
	s_nop 0
	v_mov_b32_e32 v19, v9
	v_pk_add_f32 v[8:9], v[20:21], v[18:19]
	flat_store_dwordx2 v[10:11], v[8:9] offset:128
.LBB253_25:
	s_or_b64 exec, exec, s[2:3]
	v_lshl_add_u64 v[0:1], v[0:1], 0, 16
	v_cmp_gt_i64_e64 s[2:3], s[10:11], v[0:1]
	s_and_b64 exec, exec, s[2:3]
	s_cbranch_execz .LBB253_30
; %bb.26:
	s_lshl_b64 s[2:3], s[26:27], 7
	v_lshl_add_u64 v[0:1], v[6:7], 0, s[2:3]
	s_lshl_b64 s[2:3], s[36:37], 7
	v_lshl_add_u64 v[6:7], v[4:5], 0, s[2:3]
	v_lshl_add_u64 v[4:5], v[0:1], 0, v[2:3]
	;; [unrolled: 1-line block ×3, first 2 shown]
	s_and_saveexec_b64 s[2:3], vcc
	s_cbranch_execz .LBB253_28
; %bb.27:
	flat_load_dwordx2 v[2:3], v[4:5]
	v_pk_mul_f32 v[6:7], v[16:17], s[14:15]
	s_nop 0
	v_pk_fma_f32 v[8:9], v[16:17], s[4:5], v[6:7] op_sel:[0,0,1] op_sel_hi:[1,1,0] neg_lo:[0,0,1] neg_hi:[0,0,1]
	v_pk_fma_f32 v[6:7], v[16:17], s[4:5], v[6:7] op_sel:[0,0,1] op_sel_hi:[1,1,0]
	s_nop 0
	v_mov_b32_e32 v9, v7
	s_waitcnt vmcnt(0) lgkmcnt(0)
	v_pk_mul_f32 v[6:7], v[2:3], s[6:7]
	s_nop 0
	v_pk_fma_f32 v[10:11], v[2:3], s[16:17], v[6:7] op_sel:[0,0,1] op_sel_hi:[1,1,0] neg_lo:[0,0,1] neg_hi:[0,0,1]
	v_pk_fma_f32 v[2:3], v[2:3], s[16:17], v[6:7] op_sel:[0,0,1] op_sel_hi:[1,1,0]
	s_nop 0
	v_mov_b32_e32 v11, v3
	v_pk_add_f32 v[2:3], v[8:9], v[10:11]
	flat_store_dwordx2 v[0:1], v[2:3]
.LBB253_28:
	s_or_b64 exec, exec, s[2:3]
	s_and_b64 exec, exec, s[0:1]
	s_cbranch_execz .LBB253_30
; %bb.29:
	flat_load_dwordx2 v[2:3], v[4:5] offset:128
	v_pk_mul_f32 v[4:5], v[14:15], s[14:15]
	s_nop 0
	v_pk_fma_f32 v[6:7], v[14:15], s[4:5], v[4:5] op_sel:[0,0,1] op_sel_hi:[1,1,0] neg_lo:[0,0,1] neg_hi:[0,0,1]
	v_pk_fma_f32 v[4:5], v[14:15], s[4:5], v[4:5] op_sel:[0,0,1] op_sel_hi:[1,1,0]
	s_nop 0
	v_mov_b32_e32 v7, v5
	s_waitcnt vmcnt(0) lgkmcnt(0)
	v_pk_mul_f32 v[4:5], v[2:3], s[6:7]
	s_nop 0
	v_pk_fma_f32 v[8:9], v[2:3], s[16:17], v[4:5] op_sel:[0,0,1] op_sel_hi:[1,1,0] neg_lo:[0,0,1] neg_hi:[0,0,1]
	v_pk_fma_f32 v[2:3], v[2:3], s[16:17], v[4:5] op_sel:[0,0,1] op_sel_hi:[1,1,0]
	s_nop 0
	v_mov_b32_e32 v9, v3
	v_pk_add_f32 v[2:3], v[6:7], v[8:9]
	flat_store_dwordx2 v[0:1], v[2:3] offset:128
.LBB253_30:
	s_endpgm
	.section	.rodata,"a",@progbits
	.p2align	6, 0x0
	.amdhsa_kernel _ZN12_GLOBAL__N_135rocblas_gemm_batched_general_kernelI19rocblas_complex_numIfELi16ELi16ELi32ELi32ELi8ELi32ELi8ELi8ELi32ELc84ELc78EKPKS2_S5_KPS2_EEvlllT_PT11_llSA_llS8_PT12_llPT13_lli
		.amdhsa_group_segment_fixed_size 4096
		.amdhsa_private_segment_fixed_size 0
		.amdhsa_kernarg_size 140
		.amdhsa_user_sgpr_count 2
		.amdhsa_user_sgpr_dispatch_ptr 0
		.amdhsa_user_sgpr_queue_ptr 0
		.amdhsa_user_sgpr_kernarg_segment_ptr 1
		.amdhsa_user_sgpr_dispatch_id 0
		.amdhsa_user_sgpr_kernarg_preload_length 0
		.amdhsa_user_sgpr_kernarg_preload_offset 0
		.amdhsa_user_sgpr_private_segment_size 0
		.amdhsa_uses_dynamic_stack 0
		.amdhsa_enable_private_segment 0
		.amdhsa_system_sgpr_workgroup_id_x 1
		.amdhsa_system_sgpr_workgroup_id_y 1
		.amdhsa_system_sgpr_workgroup_id_z 1
		.amdhsa_system_sgpr_workgroup_info 0
		.amdhsa_system_vgpr_workitem_id 1
		.amdhsa_next_free_vgpr 136
		.amdhsa_next_free_sgpr 48
		.amdhsa_accum_offset 136
		.amdhsa_reserve_vcc 1
		.amdhsa_float_round_mode_32 0
		.amdhsa_float_round_mode_16_64 0
		.amdhsa_float_denorm_mode_32 3
		.amdhsa_float_denorm_mode_16_64 3
		.amdhsa_dx10_clamp 1
		.amdhsa_ieee_mode 1
		.amdhsa_fp16_overflow 0
		.amdhsa_tg_split 0
		.amdhsa_exception_fp_ieee_invalid_op 0
		.amdhsa_exception_fp_denorm_src 0
		.amdhsa_exception_fp_ieee_div_zero 0
		.amdhsa_exception_fp_ieee_overflow 0
		.amdhsa_exception_fp_ieee_underflow 0
		.amdhsa_exception_fp_ieee_inexact 0
		.amdhsa_exception_int_div_zero 0
	.end_amdhsa_kernel
	.section	.text._ZN12_GLOBAL__N_135rocblas_gemm_batched_general_kernelI19rocblas_complex_numIfELi16ELi16ELi32ELi32ELi8ELi32ELi8ELi8ELi32ELc84ELc78EKPKS2_S5_KPS2_EEvlllT_PT11_llSA_llS8_PT12_llPT13_lli,"axG",@progbits,_ZN12_GLOBAL__N_135rocblas_gemm_batched_general_kernelI19rocblas_complex_numIfELi16ELi16ELi32ELi32ELi8ELi32ELi8ELi8ELi32ELc84ELc78EKPKS2_S5_KPS2_EEvlllT_PT11_llSA_llS8_PT12_llPT13_lli,comdat
.Lfunc_end253:
	.size	_ZN12_GLOBAL__N_135rocblas_gemm_batched_general_kernelI19rocblas_complex_numIfELi16ELi16ELi32ELi32ELi8ELi32ELi8ELi8ELi32ELc84ELc78EKPKS2_S5_KPS2_EEvlllT_PT11_llSA_llS8_PT12_llPT13_lli, .Lfunc_end253-_ZN12_GLOBAL__N_135rocblas_gemm_batched_general_kernelI19rocblas_complex_numIfELi16ELi16ELi32ELi32ELi8ELi32ELi8ELi8ELi32ELc84ELc78EKPKS2_S5_KPS2_EEvlllT_PT11_llSA_llS8_PT12_llPT13_lli
                                        ; -- End function
	.set _ZN12_GLOBAL__N_135rocblas_gemm_batched_general_kernelI19rocblas_complex_numIfELi16ELi16ELi32ELi32ELi8ELi32ELi8ELi8ELi32ELc84ELc78EKPKS2_S5_KPS2_EEvlllT_PT11_llSA_llS8_PT12_llPT13_lli.num_vgpr, 136
	.set _ZN12_GLOBAL__N_135rocblas_gemm_batched_general_kernelI19rocblas_complex_numIfELi16ELi16ELi32ELi32ELi8ELi32ELi8ELi8ELi32ELc84ELc78EKPKS2_S5_KPS2_EEvlllT_PT11_llSA_llS8_PT12_llPT13_lli.num_agpr, 0
	.set _ZN12_GLOBAL__N_135rocblas_gemm_batched_general_kernelI19rocblas_complex_numIfELi16ELi16ELi32ELi32ELi8ELi32ELi8ELi8ELi32ELc84ELc78EKPKS2_S5_KPS2_EEvlllT_PT11_llSA_llS8_PT12_llPT13_lli.numbered_sgpr, 48
	.set _ZN12_GLOBAL__N_135rocblas_gemm_batched_general_kernelI19rocblas_complex_numIfELi16ELi16ELi32ELi32ELi8ELi32ELi8ELi8ELi32ELc84ELc78EKPKS2_S5_KPS2_EEvlllT_PT11_llSA_llS8_PT12_llPT13_lli.num_named_barrier, 0
	.set _ZN12_GLOBAL__N_135rocblas_gemm_batched_general_kernelI19rocblas_complex_numIfELi16ELi16ELi32ELi32ELi8ELi32ELi8ELi8ELi32ELc84ELc78EKPKS2_S5_KPS2_EEvlllT_PT11_llSA_llS8_PT12_llPT13_lli.private_seg_size, 0
	.set _ZN12_GLOBAL__N_135rocblas_gemm_batched_general_kernelI19rocblas_complex_numIfELi16ELi16ELi32ELi32ELi8ELi32ELi8ELi8ELi32ELc84ELc78EKPKS2_S5_KPS2_EEvlllT_PT11_llSA_llS8_PT12_llPT13_lli.uses_vcc, 1
	.set _ZN12_GLOBAL__N_135rocblas_gemm_batched_general_kernelI19rocblas_complex_numIfELi16ELi16ELi32ELi32ELi8ELi32ELi8ELi8ELi32ELc84ELc78EKPKS2_S5_KPS2_EEvlllT_PT11_llSA_llS8_PT12_llPT13_lli.uses_flat_scratch, 0
	.set _ZN12_GLOBAL__N_135rocblas_gemm_batched_general_kernelI19rocblas_complex_numIfELi16ELi16ELi32ELi32ELi8ELi32ELi8ELi8ELi32ELc84ELc78EKPKS2_S5_KPS2_EEvlllT_PT11_llSA_llS8_PT12_llPT13_lli.has_dyn_sized_stack, 0
	.set _ZN12_GLOBAL__N_135rocblas_gemm_batched_general_kernelI19rocblas_complex_numIfELi16ELi16ELi32ELi32ELi8ELi32ELi8ELi8ELi32ELc84ELc78EKPKS2_S5_KPS2_EEvlllT_PT11_llSA_llS8_PT12_llPT13_lli.has_recursion, 0
	.set _ZN12_GLOBAL__N_135rocblas_gemm_batched_general_kernelI19rocblas_complex_numIfELi16ELi16ELi32ELi32ELi8ELi32ELi8ELi8ELi32ELc84ELc78EKPKS2_S5_KPS2_EEvlllT_PT11_llSA_llS8_PT12_llPT13_lli.has_indirect_call, 0
	.section	.AMDGPU.csdata,"",@progbits
; Kernel info:
; codeLenInByte = 3124
; TotalNumSgprs: 54
; NumVgprs: 136
; NumAgprs: 0
; TotalNumVgprs: 136
; ScratchSize: 0
; MemoryBound: 0
; FloatMode: 240
; IeeeMode: 1
; LDSByteSize: 4096 bytes/workgroup (compile time only)
; SGPRBlocks: 6
; VGPRBlocks: 16
; NumSGPRsForWavesPerEU: 54
; NumVGPRsForWavesPerEU: 136
; AccumOffset: 136
; Occupancy: 3
; WaveLimiterHint : 1
; COMPUTE_PGM_RSRC2:SCRATCH_EN: 0
; COMPUTE_PGM_RSRC2:USER_SGPR: 2
; COMPUTE_PGM_RSRC2:TRAP_HANDLER: 0
; COMPUTE_PGM_RSRC2:TGID_X_EN: 1
; COMPUTE_PGM_RSRC2:TGID_Y_EN: 1
; COMPUTE_PGM_RSRC2:TGID_Z_EN: 1
; COMPUTE_PGM_RSRC2:TIDIG_COMP_CNT: 1
; COMPUTE_PGM_RSRC3_GFX90A:ACCUM_OFFSET: 33
; COMPUTE_PGM_RSRC3_GFX90A:TG_SPLIT: 0
	.section	.text._ZN12_GLOBAL__N_135rocblas_gemm_batched_general_kernelI19rocblas_complex_numIfELi16ELi16ELi32ELi32ELi8ELi32ELi8ELi8ELi32ELc78ELc84EKPKS2_S5_KPS2_EEvlllT_PT11_llSA_llS8_PT12_llPT13_lli,"axG",@progbits,_ZN12_GLOBAL__N_135rocblas_gemm_batched_general_kernelI19rocblas_complex_numIfELi16ELi16ELi32ELi32ELi8ELi32ELi8ELi8ELi32ELc78ELc84EKPKS2_S5_KPS2_EEvlllT_PT11_llSA_llS8_PT12_llPT13_lli,comdat
	.globl	_ZN12_GLOBAL__N_135rocblas_gemm_batched_general_kernelI19rocblas_complex_numIfELi16ELi16ELi32ELi32ELi8ELi32ELi8ELi8ELi32ELc78ELc84EKPKS2_S5_KPS2_EEvlllT_PT11_llSA_llS8_PT12_llPT13_lli ; -- Begin function _ZN12_GLOBAL__N_135rocblas_gemm_batched_general_kernelI19rocblas_complex_numIfELi16ELi16ELi32ELi32ELi8ELi32ELi8ELi8ELi32ELc78ELc84EKPKS2_S5_KPS2_EEvlllT_PT11_llSA_llS8_PT12_llPT13_lli
	.p2align	8
	.type	_ZN12_GLOBAL__N_135rocblas_gemm_batched_general_kernelI19rocblas_complex_numIfELi16ELi16ELi32ELi32ELi8ELi32ELi8ELi8ELi32ELc78ELc84EKPKS2_S5_KPS2_EEvlllT_PT11_llSA_llS8_PT12_llPT13_lli,@function
_ZN12_GLOBAL__N_135rocblas_gemm_batched_general_kernelI19rocblas_complex_numIfELi16ELi16ELi32ELi32ELi8ELi32ELi8ELi8ELi32ELc78ELc84EKPKS2_S5_KPS2_EEvlllT_PT11_llSA_llS8_PT12_llPT13_lli: ; @_ZN12_GLOBAL__N_135rocblas_gemm_batched_general_kernelI19rocblas_complex_numIfELi16ELi16ELi32ELi32ELi8ELi32ELi8ELi8ELi32ELc78ELc84EKPKS2_S5_KPS2_EEvlllT_PT11_llSA_llS8_PT12_llPT13_lli
; %bb.0:
	s_load_dwordx16 s[8:23], s[0:1], 0x0
	s_load_dwordx4 s[36:39], s[0:1], 0x78
	s_load_dwordx8 s[24:31], s[0:1], 0x58
	s_load_dwordx2 s[6:7], s[0:1], 0x50
	s_mov_b32 s5, 0
	s_lshl_b64 s[4:5], s[4:5], 3
	s_mov_b32 s46, s3
	s_waitcnt lgkmcnt(0)
	s_add_u32 s24, s24, s4
	s_addc_u32 s25, s25, s5
	s_add_u32 s30, s30, s4
	s_addc_u32 s31, s31, s5
	s_load_dwordx2 s[24:25], s[24:25], 0x0
	v_mov_b32_e32 v23, 0
	s_load_dwordx2 s[44:45], s[30:31], 0x0
	s_ashr_i32 s3, s2, 31
	s_ashr_i32 s47, s46, 31
	v_cmp_lt_i64_e64 s[40:41], s[12:13], 1
	v_and_b32_e32 v12, 0x3ff, v0
	v_bfe_u32 v22, v0, 10, 10
	v_mov_b32_e32 v13, v23
	s_lshl_b64 s[30:31], s[2:3], 5
	s_lshl_b64 s[34:35], s[46:47], 5
	s_and_b64 vcc, exec, s[40:41]
	v_mov_b32_e32 v21, v23
	v_mov_b32_e32 v20, v23
	;; [unrolled: 1-line block ×8, first 2 shown]
	s_cbranch_vccnz .LBB254_7
; %bb.1:
	s_load_dwordx4 s[40:43], s[0:1], 0x40
	v_lshl_add_u32 v6, v22, 4, v12
	v_mov_b32_e32 v25, 0
	s_add_u32 s0, s22, s4
	s_addc_u32 s1, s23, s5
	v_lshrrev_b32_e32 v0, 3, v6
	v_mov_b32_e32 v1, v25
	s_load_dwordx2 s[22:23], s[0:1], 0x0
	s_add_u32 s0, s16, s4
	v_lshl_add_u64 v[2:3], v[0:1], 0, s[34:35]
	v_and_b32_e32 v1, 31, v6
	v_and_b32_e32 v26, 7, v12
	s_addc_u32 s1, s17, s5
	v_or_b32_e32 v4, s30, v1
	v_mov_b32_e32 v5, s31
	s_load_dwordx2 s[48:49], s[0:1], 0x0
	v_cmp_gt_i64_e64 s[0:1], s[8:9], v[4:5]
	v_lshlrev_b32_e32 v4, 3, v1
	v_lshlrev_b32_e32 v1, 3, v26
	v_lshl_or_b32 v0, v0, 6, v1
	v_add_u32_e32 v45, 0x800, v0
	v_mov_b32_e32 v0, 0x800
	v_lshl_add_u32 v47, v22, 6, v0
	s_waitcnt lgkmcnt(0)
	v_mad_u64_u32 v[0:1], s[16:17], s40, v26, 0
	v_cmp_gt_i64_e64 s[4:5], s[10:11], v[2:3]
	v_mov_b32_e32 v2, v1
	v_mad_u64_u32 v[2:3], s[16:17], s41, v26, v[2:3]
	s_lshl_b64 s[16:17], s[46:47], 8
	s_lshl_b64 s[42:43], s[42:43], 3
	s_add_u32 s16, s42, s16
	v_mov_b32_e32 v1, v2
	s_addc_u32 s17, s43, s17
	v_lshl_add_u64 v[0:1], v[0:1], 3, s[16:17]
	v_and_b32_e32 v2, 0x7ff8, v6
	v_mov_b32_e32 v3, v25
	v_lshrrev_b32_e32 v24, 5, v6
	v_lshl_add_u64 v[0:1], v[0:1], 0, v[2:3]
	v_lshl_add_u64 v[28:29], s[22:23], 0, v[0:1]
	v_mad_u64_u32 v[0:1], s[22:23], s18, v24, 0
	s_lshl_b64 s[16:17], s[40:41], 6
	v_mov_b32_e32 v2, v1
	s_lshl_b64 s[2:3], s[2:3], 8
	s_lshl_b64 s[20:21], s[20:21], 3
	v_mad_u64_u32 v[2:3], s[22:23], s19, v24, v[2:3]
	s_add_u32 s2, s20, s2
	v_mov_b32_e32 v1, v2
	s_addc_u32 s3, s21, s3
	v_lshl_add_u64 v[0:1], v[0:1], 3, s[2:3]
	v_mov_b32_e32 v5, v25
	v_lshl_add_u64 v[0:1], v[0:1], 0, v[4:5]
	v_mov_b32_e32 v27, v25
	v_lshl_or_b32 v44, v24, 8, v4
	v_lshlrev_b32_e32 v46, 3, v12
	v_lshl_add_u64 v[30:31], s[48:49], 0, v[0:1]
	s_lshl_b64 s[2:3], s[18:19], 6
	s_mov_b64 s[18:19], 0
	v_mov_b64_e32 v[32:33], s[12:13]
	v_mov_b32_e32 v14, v25
	v_mov_b32_e32 v15, v25
	;; [unrolled: 1-line block ×8, first 2 shown]
	s_branch .LBB254_3
.LBB254_2:                              ;   in Loop: Header=BB254_3 Depth=1
	s_or_b64 exec, exec, s[20:21]
	s_waitcnt vmcnt(0) lgkmcnt(0)
	ds_write_b64 v45, v[0:1]
	s_waitcnt lgkmcnt(0)
	s_barrier
	ds_read2_b64 v[4:7], v46 offset1:16
	ds_read_b128 v[48:51], v47
	ds_read2_b64 v[8:11], v46 offset0:32 offset1:48
	ds_read_b128 v[0:3], v47 offset:16
	ds_read_b128 v[52:55], v47 offset:1024
	s_add_u32 s18, s18, 8
	s_waitcnt lgkmcnt(3)
	v_pk_mul_f32 v[36:37], v[48:49], v[4:5] op_sel:[0,1]
	v_pk_mul_f32 v[56:57], v[48:49], v[6:7] op_sel:[0,1]
	v_pk_fma_f32 v[34:35], v[48:49], v[4:5], v[36:37] op_sel:[0,0,1] op_sel_hi:[1,1,0] neg_lo:[0,0,1] neg_hi:[0,0,1]
	v_pk_fma_f32 v[36:37], v[48:49], v[4:5], v[36:37] op_sel:[0,0,1] op_sel_hi:[1,0,0]
	s_waitcnt lgkmcnt(2)
	v_pk_mul_f32 v[40:41], v[50:51], v[8:9] op_sel:[0,1]
	v_pk_fma_f32 v[42:43], v[48:49], v[6:7], v[56:57] op_sel:[0,0,1] op_sel_hi:[1,1,0] neg_lo:[0,0,1] neg_hi:[0,0,1]
	v_pk_fma_f32 v[72:73], v[48:49], v[6:7], v[56:57] op_sel:[0,0,1] op_sel_hi:[1,0,0]
	v_pk_mul_f32 v[48:49], v[50:51], v[10:11] op_sel:[0,1]
	v_pk_fma_f32 v[38:39], v[50:51], v[8:9], v[40:41] op_sel:[0,0,1] op_sel_hi:[1,1,0] neg_lo:[0,0,1] neg_hi:[0,0,1]
	v_pk_fma_f32 v[40:41], v[50:51], v[8:9], v[40:41] op_sel:[0,0,1] op_sel_hi:[1,0,0]
	v_pk_fma_f32 v[74:75], v[50:51], v[10:11], v[48:49] op_sel:[0,0,1] op_sel_hi:[1,1,0] neg_lo:[0,0,1] neg_hi:[0,0,1]
	v_pk_fma_f32 v[76:77], v[50:51], v[10:11], v[48:49] op_sel:[0,0,1] op_sel_hi:[1,0,0]
	ds_read_b128 v[48:51], v47 offset:1040
	s_waitcnt lgkmcnt(1)
	v_pk_mul_f32 v[56:57], v[52:53], v[4:5] op_sel:[0,1]
	v_mov_b32_e32 v35, v37
	v_pk_fma_f32 v[78:79], v[52:53], v[4:5], v[56:57] op_sel:[0,0,1] op_sel_hi:[1,1,0] neg_lo:[0,0,1] neg_hi:[0,0,1]
	v_pk_fma_f32 v[80:81], v[52:53], v[4:5], v[56:57] op_sel:[0,0,1] op_sel_hi:[1,0,0]
	v_pk_mul_f32 v[4:5], v[52:53], v[6:7] op_sel:[0,1]
	ds_read2_b64 v[56:59], v46 offset0:96 offset1:112
	v_pk_fma_f32 v[82:83], v[52:53], v[6:7], v[4:5] op_sel:[0,0,1] op_sel_hi:[1,1,0] neg_lo:[0,0,1] neg_hi:[0,0,1]
	v_pk_fma_f32 v[84:85], v[52:53], v[6:7], v[4:5] op_sel:[0,0,1] op_sel_hi:[1,0,0]
	v_pk_mul_f32 v[4:5], v[54:55], v[8:9] op_sel:[0,1]
	v_pk_add_f32 v[20:21], v[20:21], v[34:35]
	v_pk_fma_f32 v[86:87], v[54:55], v[8:9], v[4:5] op_sel:[0,0,1] op_sel_hi:[1,1,0] neg_lo:[0,0,1] neg_hi:[0,0,1]
	v_pk_fma_f32 v[88:89], v[54:55], v[8:9], v[4:5] op_sel:[0,0,1] op_sel_hi:[1,0,0]
	ds_read2_b64 v[4:7], v46 offset0:64 offset1:80
	v_pk_mul_f32 v[8:9], v[54:55], v[10:11] op_sel:[0,1]
	v_mov_b32_e32 v79, v81
	v_pk_fma_f32 v[90:91], v[54:55], v[10:11], v[8:9] op_sel:[0,0,1] op_sel_hi:[1,1,0] neg_lo:[0,0,1] neg_hi:[0,0,1]
	v_pk_fma_f32 v[92:93], v[54:55], v[10:11], v[8:9] op_sel:[0,0,1] op_sel_hi:[1,0,0]
	s_waitcnt lgkmcnt(0)
	v_pk_mul_f32 v[8:9], v[0:1], v[4:5] op_sel:[0,1]
	v_pk_mul_f32 v[60:61], v[0:1], v[6:7] op_sel:[0,1]
	v_pk_fma_f32 v[94:95], v[0:1], v[4:5], v[8:9] op_sel:[0,0,1] op_sel_hi:[1,1,0] neg_lo:[0,0,1] neg_hi:[0,0,1]
	v_pk_fma_f32 v[96:97], v[0:1], v[4:5], v[8:9] op_sel:[0,0,1] op_sel_hi:[1,0,0]
	v_pk_mul_f32 v[8:9], v[2:3], v[56:57] op_sel:[0,1]
	v_pk_mul_f32 v[34:35], v[48:49], v[4:5] op_sel:[0,1]
	v_pk_fma_f32 v[98:99], v[2:3], v[56:57], v[8:9] op_sel:[0,0,1] op_sel_hi:[1,1,0] neg_lo:[0,0,1] neg_hi:[0,0,1]
	v_pk_fma_f32 v[100:101], v[2:3], v[56:57], v[8:9] op_sel:[0,0,1] op_sel_hi:[1,0,0]
	ds_read2_b64 v[8:11], v46 offset0:128 offset1:144
	ds_read_b128 v[52:55], v47 offset:32
	v_pk_fma_f32 v[102:103], v[0:1], v[6:7], v[60:61] op_sel:[0,0,1] op_sel_hi:[1,1,0] neg_lo:[0,0,1] neg_hi:[0,0,1]
	v_pk_fma_f32 v[104:105], v[0:1], v[6:7], v[60:61] op_sel:[0,0,1] op_sel_hi:[1,0,0]
	v_pk_mul_f32 v[0:1], v[2:3], v[58:59] op_sel:[0,1]
	v_pk_add_f32 v[16:17], v[16:17], v[78:79]
	v_mov_b32_e32 v87, v89
	v_pk_fma_f32 v[36:37], v[48:49], v[4:5], v[34:35] op_sel:[0,0,1] op_sel_hi:[1,1,0] neg_lo:[0,0,1] neg_hi:[0,0,1]
	v_pk_fma_f32 v[4:5], v[48:49], v[4:5], v[34:35] op_sel:[0,0,1] op_sel_hi:[1,0,0]
	v_pk_fma_f32 v[106:107], v[2:3], v[58:59], v[0:1] op_sel:[0,0,1] op_sel_hi:[1,1,0] neg_lo:[0,0,1] neg_hi:[0,0,1]
	v_pk_fma_f32 v[108:109], v[2:3], v[58:59], v[0:1] op_sel:[0,0,1] op_sel_hi:[1,0,0]
	ds_read2_b64 v[0:3], v46 offset0:160 offset1:176
	ds_read_b128 v[60:63], v47 offset:48
	v_pk_add_f32 v[16:17], v[16:17], v[86:87]
	v_mov_b32_e32 v37, v5
	v_pk_add_f32 v[4:5], v[16:17], v[36:37]
	ds_read_b128 v[34:37], v47 offset:1056
	s_waitcnt lgkmcnt(3)
	v_pk_mul_f32 v[64:65], v[52:53], v[8:9] op_sel:[0,1]
	v_mov_b32_e32 v39, v41
	v_pk_mul_f32 v[16:17], v[50:51], v[56:57] op_sel:[0,1]
	v_pk_fma_f32 v[110:111], v[52:53], v[8:9], v[64:65] op_sel:[0,0,1] op_sel_hi:[1,1,0] neg_lo:[0,0,1] neg_hi:[0,0,1]
	v_pk_fma_f32 v[112:113], v[52:53], v[8:9], v[64:65] op_sel:[0,0,1] op_sel_hi:[1,0,0]
	s_waitcnt lgkmcnt(2)
	v_pk_mul_f32 v[64:65], v[54:55], v[0:1] op_sel:[0,1]
	v_pk_add_f32 v[20:21], v[20:21], v[38:39]
	v_pk_fma_f32 v[38:39], v[50:51], v[56:57], v[16:17] op_sel:[0,0,1] op_sel_hi:[1,1,0] neg_lo:[0,0,1] neg_hi:[0,0,1]
	v_pk_fma_f32 v[16:17], v[50:51], v[56:57], v[16:17] op_sel:[0,0,1] op_sel_hi:[1,0,0]
	v_pk_fma_f32 v[114:115], v[54:55], v[0:1], v[64:65] op_sel:[0,0,1] op_sel_hi:[1,1,0] neg_lo:[0,0,1] neg_hi:[0,0,1]
	v_pk_fma_f32 v[116:117], v[54:55], v[0:1], v[64:65] op_sel:[0,0,1] op_sel_hi:[1,0,0]
	v_pk_mul_f32 v[64:65], v[52:53], v[10:11] op_sel:[0,1]
	v_mov_b32_e32 v39, v17
	v_pk_fma_f32 v[118:119], v[52:53], v[10:11], v[64:65] op_sel:[0,0,1] op_sel_hi:[1,1,0] neg_lo:[0,0,1] neg_hi:[0,0,1]
	v_pk_fma_f32 v[52:53], v[52:53], v[10:11], v[64:65] op_sel:[0,0,1] op_sel_hi:[1,0,0]
	ds_read2_b64 v[64:67], v46 offset0:192 offset1:208
	v_mov_b32_e32 v43, v73
	v_pk_add_f32 v[4:5], v[4:5], v[38:39]
	ds_read_b128 v[38:41], v47 offset:1072
	s_waitcnt lgkmcnt(2)
	v_pk_mul_f32 v[16:17], v[34:35], v[8:9] op_sel:[0,1]
	v_pk_add_f32 v[18:19], v[18:19], v[42:43]
	v_pk_fma_f32 v[42:43], v[34:35], v[8:9], v[16:17] op_sel:[0,0,1] op_sel_hi:[1,1,0] neg_lo:[0,0,1] neg_hi:[0,0,1]
	v_pk_fma_f32 v[8:9], v[34:35], v[8:9], v[16:17] op_sel:[0,0,1] op_sel_hi:[1,0,0]
	ds_read2_b64 v[68:71], v46 offset0:224 offset1:240
	v_mov_b32_e32 v43, v9
	v_pk_mul_f32 v[8:9], v[36:37], v[0:1] op_sel:[0,1]
	v_pk_add_f32 v[4:5], v[4:5], v[42:43]
	v_pk_fma_f32 v[16:17], v[36:37], v[0:1], v[8:9] op_sel:[0,0,1] op_sel_hi:[1,1,0] neg_lo:[0,0,1] neg_hi:[0,0,1]
	v_pk_fma_f32 v[0:1], v[36:37], v[0:1], v[8:9] op_sel:[0,0,1] op_sel_hi:[1,0,0]
	v_mov_b32_e32 v83, v85
	v_mov_b32_e32 v17, v1
	v_pk_add_f32 v[0:1], v[4:5], v[16:17]
	s_waitcnt lgkmcnt(1)
	v_pk_mul_f32 v[4:5], v[38:39], v[64:65] op_sel:[0,1]
	v_mov_b32_e32 v91, v93
	v_pk_fma_f32 v[8:9], v[38:39], v[64:65], v[4:5] op_sel:[0,0,1] op_sel_hi:[1,1,0] neg_lo:[0,0,1] neg_hi:[0,0,1]
	v_pk_fma_f32 v[4:5], v[38:39], v[64:65], v[4:5] op_sel:[0,0,1] op_sel_hi:[1,0,0]
	v_pk_mul_f32 v[120:121], v[54:55], v[2:3] op_sel:[0,1]
	v_mov_b32_e32 v9, v5
	s_waitcnt lgkmcnt(0)
	v_pk_mul_f32 v[4:5], v[40:41], v[68:69] op_sel:[0,1]
	v_pk_add_f32 v[0:1], v[0:1], v[8:9]
	v_pk_fma_f32 v[8:9], v[40:41], v[68:69], v[4:5] op_sel:[0,0,1] op_sel_hi:[1,1,0] neg_lo:[0,0,1] neg_hi:[0,0,1]
	v_pk_fma_f32 v[4:5], v[40:41], v[68:69], v[4:5] op_sel:[0,0,1] op_sel_hi:[1,0,0]
	v_mov_b32_e32 v75, v77
	v_mov_b32_e32 v9, v5
	v_pk_mul_f32 v[4:5], v[48:49], v[6:7] op_sel:[0,1]
	v_pk_add_f32 v[16:17], v[0:1], v[8:9]
	v_pk_fma_f32 v[8:9], v[48:49], v[6:7], v[4:5] op_sel:[0,0,1] op_sel_hi:[1,1,0] neg_lo:[0,0,1] neg_hi:[0,0,1]
	v_pk_fma_f32 v[4:5], v[48:49], v[6:7], v[4:5] op_sel:[0,0,1] op_sel_hi:[1,0,0]
	v_pk_add_f32 v[0:1], v[14:15], v[82:83]
	v_mov_b32_e32 v9, v5
	v_pk_mul_f32 v[4:5], v[50:51], v[58:59] op_sel:[0,1]
	v_pk_add_f32 v[0:1], v[0:1], v[90:91]
	v_pk_fma_f32 v[6:7], v[50:51], v[58:59], v[4:5] op_sel:[0,0,1] op_sel_hi:[1,1,0] neg_lo:[0,0,1] neg_hi:[0,0,1]
	v_pk_fma_f32 v[4:5], v[50:51], v[58:59], v[4:5] op_sel:[0,0,1] op_sel_hi:[1,0,0]
	v_pk_add_f32 v[0:1], v[0:1], v[8:9]
	v_mov_b32_e32 v7, v5
	v_pk_mul_f32 v[4:5], v[34:35], v[10:11] op_sel:[0,1]
	v_pk_add_f32 v[0:1], v[0:1], v[6:7]
	v_pk_fma_f32 v[6:7], v[34:35], v[10:11], v[4:5] op_sel:[0,0,1] op_sel_hi:[1,1,0] neg_lo:[0,0,1] neg_hi:[0,0,1]
	v_pk_fma_f32 v[4:5], v[34:35], v[10:11], v[4:5] op_sel:[0,0,1] op_sel_hi:[1,0,0]
	v_pk_fma_f32 v[122:123], v[54:55], v[2:3], v[120:121] op_sel:[0,0,1] op_sel_hi:[1,1,0] neg_lo:[0,0,1] neg_hi:[0,0,1]
	v_mov_b32_e32 v7, v5
	v_pk_mul_f32 v[4:5], v[36:37], v[2:3] op_sel:[0,1]
	v_pk_fma_f32 v[54:55], v[54:55], v[2:3], v[120:121] op_sel:[0,0,1] op_sel_hi:[1,0,0]
	v_mov_b32_e32 v95, v97
	v_pk_add_f32 v[18:19], v[18:19], v[74:75]
	v_mov_b32_e32 v103, v105
	v_pk_add_f32 v[0:1], v[0:1], v[6:7]
	v_pk_fma_f32 v[6:7], v[36:37], v[2:3], v[4:5] op_sel:[0,0,1] op_sel_hi:[1,1,0] neg_lo:[0,0,1] neg_hi:[0,0,1]
	v_pk_fma_f32 v[2:3], v[36:37], v[2:3], v[4:5] op_sel:[0,0,1] op_sel_hi:[1,0,0]
	v_pk_add_f32 v[20:21], v[20:21], v[94:95]
	v_mov_b32_e32 v99, v101
	v_pk_add_f32 v[18:19], v[18:19], v[102:103]
	v_mov_b32_e32 v107, v109
	v_mov_b32_e32 v7, v3
	v_pk_mul_f32 v[2:3], v[38:39], v[66:67] op_sel:[0,1]
	v_pk_mul_f32 v[120:121], v[60:61], v[64:65] op_sel:[0,1]
	;; [unrolled: 1-line block ×3, first 2 shown]
	v_pk_add_f32 v[20:21], v[20:21], v[98:99]
	v_mov_b32_e32 v111, v113
	v_pk_add_f32 v[18:19], v[18:19], v[106:107]
	v_mov_b32_e32 v119, v53
	v_pk_fma_f32 v[4:5], v[38:39], v[66:67], v[2:3] op_sel:[0,0,1] op_sel_hi:[1,1,0] neg_lo:[0,0,1] neg_hi:[0,0,1]
	v_pk_fma_f32 v[2:3], v[38:39], v[66:67], v[2:3] op_sel:[0,0,1] op_sel_hi:[1,0,0]
	v_pk_fma_f32 v[124:125], v[60:61], v[64:65], v[120:121] op_sel:[0,0,1] op_sel_hi:[1,1,0] neg_lo:[0,0,1] neg_hi:[0,0,1]
	v_pk_fma_f32 v[120:121], v[60:61], v[64:65], v[120:121] op_sel:[0,0,1] op_sel_hi:[1,0,0]
	v_pk_mul_f32 v[126:127], v[62:63], v[68:69] op_sel:[0,1]
	v_pk_fma_f32 v[132:133], v[60:61], v[66:67], v[130:131] op_sel:[0,0,1] op_sel_hi:[1,1,0] neg_lo:[0,0,1] neg_hi:[0,0,1]
	v_pk_fma_f32 v[60:61], v[60:61], v[66:67], v[130:131] op_sel:[0,0,1] op_sel_hi:[1,0,0]
	v_pk_mul_f32 v[130:131], v[62:63], v[70:71] op_sel:[0,1]
	v_pk_add_f32 v[20:21], v[20:21], v[110:111]
	v_mov_b32_e32 v115, v117
	v_pk_add_f32 v[18:19], v[18:19], v[118:119]
	v_mov_b32_e32 v123, v55
	;; [unrolled: 2-line block ×3, first 2 shown]
	v_pk_mul_f32 v[2:3], v[40:41], v[70:71] op_sel:[0,1]
	v_pk_fma_f32 v[128:129], v[62:63], v[68:69], v[126:127] op_sel:[0,0,1] op_sel_hi:[1,1,0] neg_lo:[0,0,1] neg_hi:[0,0,1]
	v_pk_fma_f32 v[126:127], v[62:63], v[68:69], v[126:127] op_sel:[0,0,1] op_sel_hi:[1,0,0]
	v_pk_fma_f32 v[134:135], v[62:63], v[70:71], v[130:131] op_sel:[0,0,1] op_sel_hi:[1,1,0] neg_lo:[0,0,1] neg_hi:[0,0,1]
	v_pk_fma_f32 v[62:63], v[62:63], v[70:71], v[130:131] op_sel:[0,0,1] op_sel_hi:[1,0,0]
	v_pk_add_f32 v[20:21], v[20:21], v[114:115]
	v_mov_b32_e32 v125, v121
	v_pk_add_f32 v[18:19], v[18:19], v[122:123]
	v_mov_b32_e32 v133, v61
	v_pk_add_f32 v[0:1], v[0:1], v[4:5]
	v_pk_fma_f32 v[4:5], v[40:41], v[70:71], v[2:3] op_sel:[0,0,1] op_sel_hi:[1,1,0] neg_lo:[0,0,1] neg_hi:[0,0,1]
	v_pk_fma_f32 v[2:3], v[40:41], v[70:71], v[2:3] op_sel:[0,0,1] op_sel_hi:[1,0,0]
	s_addc_u32 s19, s19, 0
	v_pk_add_f32 v[20:21], v[20:21], v[124:125]
	v_mov_b32_e32 v129, v127
	v_pk_add_f32 v[18:19], v[18:19], v[132:133]
	v_mov_b32_e32 v135, v63
	v_mov_b32_e32 v5, v3
	v_cmp_lt_i64_e32 vcc, s[18:19], v[32:33]
	v_pk_add_f32 v[20:21], v[20:21], v[128:129]
	v_pk_add_f32 v[18:19], v[18:19], v[134:135]
	;; [unrolled: 1-line block ×3, first 2 shown]
	v_lshl_add_u64 v[28:29], v[28:29], 0, s[16:17]
	v_lshl_add_u64 v[30:31], v[30:31], 0, s[2:3]
	s_barrier
	s_cbranch_vccz .LBB254_7
.LBB254_3:                              ; =>This Inner Loop Header: Depth=1
	v_lshl_add_u64 v[0:1], v[24:25], 0, s[18:19]
	v_cmp_gt_i64_e32 vcc, s[12:13], v[0:1]
	s_and_b64 s[22:23], s[0:1], vcc
	v_mov_b32_e32 v0, 0
	v_mov_b32_e32 v1, 0
	s_and_saveexec_b64 s[20:21], s[22:23]
	s_cbranch_execz .LBB254_5
; %bb.4:                                ;   in Loop: Header=BB254_3 Depth=1
	flat_load_dwordx2 v[0:1], v[30:31]
.LBB254_5:                              ;   in Loop: Header=BB254_3 Depth=1
	s_or_b64 exec, exec, s[20:21]
	s_waitcnt vmcnt(0) lgkmcnt(0)
	ds_write_b64 v44, v[0:1]
	v_lshl_add_u64 v[0:1], v[26:27], 0, s[18:19]
	v_cmp_gt_i64_e32 vcc, s[12:13], v[0:1]
	s_and_b64 s[22:23], vcc, s[4:5]
	v_mov_b32_e32 v0, 0
	v_mov_b32_e32 v1, 0
	s_and_saveexec_b64 s[20:21], s[22:23]
	s_cbranch_execz .LBB254_2
; %bb.6:                                ;   in Loop: Header=BB254_3 Depth=1
	flat_load_dwordx2 v[0:1], v[28:29]
	s_branch .LBB254_2
.LBB254_7:
	s_lshl_b64 s[0:1], s[38:39], 3
	s_waitcnt lgkmcnt(0)
	s_add_u32 s12, s44, s0
	s_addc_u32 s13, s45, s1
	s_or_b32 s0, s6, s7
	v_lshl_add_u64 v[0:1], s[34:35], 0, v[22:23]
	s_bitset0_b32 s0, 31
	s_cmp_lg_u32 s0, 0
	v_cmp_gt_i64_e64 s[0:1], s[10:11], v[0:1]
	s_mov_b64 s[2:3], -1
	s_cbranch_scc1 .LBB254_19
; %bb.8:
	s_and_saveexec_b64 s[16:17], s[0:1]
	s_cbranch_execz .LBB254_18
; %bb.9:
	v_mul_lo_u32 v6, v1, s36
	v_mul_lo_u32 v7, v0, s37
	v_mad_u64_u32 v[4:5], s[2:3], v0, s36, 0
	v_add3_u32 v5, v5, v7, v6
	v_lshl_add_u64 v[2:3], s[30:31], 0, v[12:13]
	v_lshl_add_u64 v[4:5], v[4:5], 3, s[12:13]
	v_cmp_gt_i64_e32 vcc, s[8:9], v[2:3]
	s_mov_b32 s18, s14
	s_mov_b32 s19, s14
	;; [unrolled: 1-line block ×4, first 2 shown]
	v_lshl_add_u64 v[6:7], v[2:3], 3, v[4:5]
	s_and_saveexec_b64 s[2:3], vcc
	s_cbranch_execz .LBB254_11
; %bb.10:
	v_pk_mul_f32 v[8:9], v[20:21], s[20:21]
	s_nop 0
	v_pk_fma_f32 v[10:11], v[20:21], s[18:19], v[8:9] op_sel:[0,0,1] op_sel_hi:[1,1,0] neg_lo:[0,0,1] neg_hi:[0,0,1]
	v_pk_fma_f32 v[8:9], v[20:21], s[18:19], v[8:9] op_sel:[0,0,1] op_sel_hi:[1,1,0]
	s_nop 0
	v_mov_b32_e32 v11, v9
	flat_store_dwordx2 v[6:7], v[10:11]
.LBB254_11:
	s_or_b64 exec, exec, s[2:3]
	v_lshl_add_u64 v[8:9], v[2:3], 0, 16
	v_cmp_gt_i64_e64 s[2:3], s[8:9], v[8:9]
	s_and_saveexec_b64 s[4:5], s[2:3]
	s_cbranch_execz .LBB254_13
; %bb.12:
	v_pk_mul_f32 v[8:9], v[18:19], s[20:21]
	s_nop 0
	v_pk_fma_f32 v[10:11], v[18:19], s[18:19], v[8:9] op_sel:[0,0,1] op_sel_hi:[1,1,0] neg_lo:[0,0,1] neg_hi:[0,0,1]
	v_pk_fma_f32 v[8:9], v[18:19], s[18:19], v[8:9] op_sel:[0,0,1] op_sel_hi:[1,1,0]
	s_nop 0
	v_mov_b32_e32 v11, v9
	flat_store_dwordx2 v[6:7], v[10:11] offset:128
.LBB254_13:
	s_or_b64 exec, exec, s[4:5]
	v_lshl_add_u64 v[6:7], v[0:1], 0, 16
	v_cmp_gt_i64_e64 s[4:5], s[10:11], v[6:7]
	s_and_b64 exec, exec, s[4:5]
	s_cbranch_execz .LBB254_18
; %bb.14:
	s_lshl_b64 s[4:5], s[36:37], 7
	v_lshl_add_u64 v[4:5], v[4:5], 0, s[4:5]
	v_lshl_add_u64 v[2:3], v[2:3], 3, v[4:5]
	s_and_saveexec_b64 s[4:5], vcc
	s_cbranch_execz .LBB254_16
; %bb.15:
	v_pk_mul_f32 v[4:5], v[16:17], s[20:21]
	s_nop 0
	v_pk_fma_f32 v[6:7], v[16:17], s[18:19], v[4:5] op_sel:[0,0,1] op_sel_hi:[1,1,0] neg_lo:[0,0,1] neg_hi:[0,0,1]
	v_pk_fma_f32 v[4:5], v[16:17], s[18:19], v[4:5] op_sel:[0,0,1] op_sel_hi:[1,1,0]
	s_nop 0
	v_mov_b32_e32 v7, v5
	flat_store_dwordx2 v[2:3], v[6:7]
.LBB254_16:
	s_or_b64 exec, exec, s[4:5]
	s_and_b64 exec, exec, s[2:3]
	s_cbranch_execz .LBB254_18
; %bb.17:
	v_pk_mul_f32 v[4:5], v[14:15], s[20:21]
	s_nop 0
	v_pk_fma_f32 v[6:7], v[14:15], s[18:19], v[4:5] op_sel:[0,0,1] op_sel_hi:[1,1,0] neg_lo:[0,0,1] neg_hi:[0,0,1]
	v_pk_fma_f32 v[4:5], v[14:15], s[18:19], v[4:5] op_sel:[0,0,1] op_sel_hi:[1,1,0]
	s_nop 0
	v_mov_b32_e32 v7, v5
	flat_store_dwordx2 v[2:3], v[6:7] offset:128
.LBB254_18:
	s_or_b64 exec, exec, s[16:17]
	s_mov_b64 s[2:3], 0
.LBB254_19:
	s_andn2_b64 vcc, exec, s[2:3]
	s_cbranch_vccnz .LBB254_30
; %bb.20:
	s_and_saveexec_b64 s[2:3], s[0:1]
	s_cbranch_execz .LBB254_30
; %bb.21:
	s_lshl_b64 s[0:1], s[28:29], 3
	v_mul_lo_u32 v4, v1, s26
	v_mul_lo_u32 v5, v0, s27
	v_mad_u64_u32 v[2:3], s[2:3], v0, s26, 0
	s_add_u32 s0, s24, s0
	v_add3_u32 v3, v3, v5, v4
	v_mul_lo_u32 v6, v1, s36
	v_mul_lo_u32 v7, v0, s37
	v_mad_u64_u32 v[4:5], s[2:3], v0, s36, 0
	s_addc_u32 s1, s25, s1
	v_lshl_add_u64 v[8:9], s[30:31], 0, v[12:13]
	v_add3_u32 v5, v5, v7, v6
	v_cmp_gt_i64_e32 vcc, s[8:9], v[8:9]
	s_mov_b32 s4, s14
	s_mov_b32 s5, s14
	;; [unrolled: 1-line block ×6, first 2 shown]
	v_lshl_add_u64 v[6:7], v[2:3], 3, s[0:1]
	v_lshl_add_u64 v[4:5], v[4:5], 3, s[12:13]
	v_lshlrev_b64 v[2:3], 3, v[8:9]
	s_and_saveexec_b64 s[0:1], vcc
	s_cbranch_execz .LBB254_23
; %bb.22:
	v_lshl_add_u64 v[10:11], v[6:7], 0, v[2:3]
	flat_load_dwordx2 v[10:11], v[10:11]
	v_pk_mul_f32 v[22:23], v[20:21], s[14:15]
	v_lshl_add_u64 v[12:13], v[4:5], 0, v[2:3]
	v_pk_fma_f32 v[24:25], v[20:21], s[4:5], v[22:23] op_sel:[0,0,1] op_sel_hi:[1,1,0] neg_lo:[0,0,1] neg_hi:[0,0,1]
	v_pk_fma_f32 v[20:21], v[20:21], s[4:5], v[22:23] op_sel:[0,0,1] op_sel_hi:[1,1,0]
	s_nop 0
	v_mov_b32_e32 v25, v21
	s_waitcnt vmcnt(0) lgkmcnt(0)
	v_pk_mul_f32 v[20:21], v[10:11], s[6:7]
	s_nop 0
	v_pk_fma_f32 v[22:23], v[10:11], s[16:17], v[20:21] op_sel:[0,0,1] op_sel_hi:[1,1,0] neg_lo:[0,0,1] neg_hi:[0,0,1]
	v_pk_fma_f32 v[10:11], v[10:11], s[16:17], v[20:21] op_sel:[0,0,1] op_sel_hi:[1,1,0]
	s_nop 0
	v_mov_b32_e32 v23, v11
	v_pk_add_f32 v[10:11], v[24:25], v[22:23]
	flat_store_dwordx2 v[12:13], v[10:11]
.LBB254_23:
	s_or_b64 exec, exec, s[0:1]
	v_lshl_add_u64 v[8:9], v[8:9], 0, 16
	v_cmp_gt_i64_e64 s[0:1], s[8:9], v[8:9]
	s_and_saveexec_b64 s[2:3], s[0:1]
	s_cbranch_execz .LBB254_25
; %bb.24:
	v_lshl_add_u64 v[8:9], v[6:7], 0, v[2:3]
	flat_load_dwordx2 v[8:9], v[8:9] offset:128
	v_pk_mul_f32 v[12:13], v[18:19], s[14:15]
	v_lshl_add_u64 v[10:11], v[4:5], 0, v[2:3]
	v_pk_fma_f32 v[20:21], v[18:19], s[4:5], v[12:13] op_sel:[0,0,1] op_sel_hi:[1,1,0] neg_lo:[0,0,1] neg_hi:[0,0,1]
	v_pk_fma_f32 v[12:13], v[18:19], s[4:5], v[12:13] op_sel:[0,0,1] op_sel_hi:[1,1,0]
	s_nop 0
	v_mov_b32_e32 v21, v13
	s_waitcnt vmcnt(0) lgkmcnt(0)
	v_pk_mul_f32 v[12:13], v[8:9], s[6:7]
	s_nop 0
	v_pk_fma_f32 v[18:19], v[8:9], s[16:17], v[12:13] op_sel:[0,0,1] op_sel_hi:[1,1,0] neg_lo:[0,0,1] neg_hi:[0,0,1]
	v_pk_fma_f32 v[8:9], v[8:9], s[16:17], v[12:13] op_sel:[0,0,1] op_sel_hi:[1,1,0]
	s_nop 0
	v_mov_b32_e32 v19, v9
	v_pk_add_f32 v[8:9], v[20:21], v[18:19]
	flat_store_dwordx2 v[10:11], v[8:9] offset:128
.LBB254_25:
	s_or_b64 exec, exec, s[2:3]
	v_lshl_add_u64 v[0:1], v[0:1], 0, 16
	v_cmp_gt_i64_e64 s[2:3], s[10:11], v[0:1]
	s_and_b64 exec, exec, s[2:3]
	s_cbranch_execz .LBB254_30
; %bb.26:
	s_lshl_b64 s[2:3], s[26:27], 7
	v_lshl_add_u64 v[0:1], v[6:7], 0, s[2:3]
	s_lshl_b64 s[2:3], s[36:37], 7
	v_lshl_add_u64 v[6:7], v[4:5], 0, s[2:3]
	v_lshl_add_u64 v[4:5], v[0:1], 0, v[2:3]
	;; [unrolled: 1-line block ×3, first 2 shown]
	s_and_saveexec_b64 s[2:3], vcc
	s_cbranch_execz .LBB254_28
; %bb.27:
	flat_load_dwordx2 v[2:3], v[4:5]
	v_pk_mul_f32 v[6:7], v[16:17], s[14:15]
	s_nop 0
	v_pk_fma_f32 v[8:9], v[16:17], s[4:5], v[6:7] op_sel:[0,0,1] op_sel_hi:[1,1,0] neg_lo:[0,0,1] neg_hi:[0,0,1]
	v_pk_fma_f32 v[6:7], v[16:17], s[4:5], v[6:7] op_sel:[0,0,1] op_sel_hi:[1,1,0]
	s_nop 0
	v_mov_b32_e32 v9, v7
	s_waitcnt vmcnt(0) lgkmcnt(0)
	v_pk_mul_f32 v[6:7], v[2:3], s[6:7]
	s_nop 0
	v_pk_fma_f32 v[10:11], v[2:3], s[16:17], v[6:7] op_sel:[0,0,1] op_sel_hi:[1,1,0] neg_lo:[0,0,1] neg_hi:[0,0,1]
	v_pk_fma_f32 v[2:3], v[2:3], s[16:17], v[6:7] op_sel:[0,0,1] op_sel_hi:[1,1,0]
	s_nop 0
	v_mov_b32_e32 v11, v3
	v_pk_add_f32 v[2:3], v[8:9], v[10:11]
	flat_store_dwordx2 v[0:1], v[2:3]
.LBB254_28:
	s_or_b64 exec, exec, s[2:3]
	s_and_b64 exec, exec, s[0:1]
	s_cbranch_execz .LBB254_30
; %bb.29:
	flat_load_dwordx2 v[2:3], v[4:5] offset:128
	v_pk_mul_f32 v[4:5], v[14:15], s[14:15]
	s_nop 0
	v_pk_fma_f32 v[6:7], v[14:15], s[4:5], v[4:5] op_sel:[0,0,1] op_sel_hi:[1,1,0] neg_lo:[0,0,1] neg_hi:[0,0,1]
	v_pk_fma_f32 v[4:5], v[14:15], s[4:5], v[4:5] op_sel:[0,0,1] op_sel_hi:[1,1,0]
	s_nop 0
	v_mov_b32_e32 v7, v5
	s_waitcnt vmcnt(0) lgkmcnt(0)
	v_pk_mul_f32 v[4:5], v[2:3], s[6:7]
	s_nop 0
	v_pk_fma_f32 v[8:9], v[2:3], s[16:17], v[4:5] op_sel:[0,0,1] op_sel_hi:[1,1,0] neg_lo:[0,0,1] neg_hi:[0,0,1]
	v_pk_fma_f32 v[2:3], v[2:3], s[16:17], v[4:5] op_sel:[0,0,1] op_sel_hi:[1,1,0]
	s_nop 0
	v_mov_b32_e32 v9, v3
	v_pk_add_f32 v[2:3], v[6:7], v[8:9]
	flat_store_dwordx2 v[0:1], v[2:3] offset:128
.LBB254_30:
	s_endpgm
	.section	.rodata,"a",@progbits
	.p2align	6, 0x0
	.amdhsa_kernel _ZN12_GLOBAL__N_135rocblas_gemm_batched_general_kernelI19rocblas_complex_numIfELi16ELi16ELi32ELi32ELi8ELi32ELi8ELi8ELi32ELc78ELc84EKPKS2_S5_KPS2_EEvlllT_PT11_llSA_llS8_PT12_llPT13_lli
		.amdhsa_group_segment_fixed_size 4096
		.amdhsa_private_segment_fixed_size 0
		.amdhsa_kernarg_size 140
		.amdhsa_user_sgpr_count 2
		.amdhsa_user_sgpr_dispatch_ptr 0
		.amdhsa_user_sgpr_queue_ptr 0
		.amdhsa_user_sgpr_kernarg_segment_ptr 1
		.amdhsa_user_sgpr_dispatch_id 0
		.amdhsa_user_sgpr_kernarg_preload_length 0
		.amdhsa_user_sgpr_kernarg_preload_offset 0
		.amdhsa_user_sgpr_private_segment_size 0
		.amdhsa_uses_dynamic_stack 0
		.amdhsa_enable_private_segment 0
		.amdhsa_system_sgpr_workgroup_id_x 1
		.amdhsa_system_sgpr_workgroup_id_y 1
		.amdhsa_system_sgpr_workgroup_id_z 1
		.amdhsa_system_sgpr_workgroup_info 0
		.amdhsa_system_vgpr_workitem_id 1
		.amdhsa_next_free_vgpr 136
		.amdhsa_next_free_sgpr 50
		.amdhsa_accum_offset 136
		.amdhsa_reserve_vcc 1
		.amdhsa_float_round_mode_32 0
		.amdhsa_float_round_mode_16_64 0
		.amdhsa_float_denorm_mode_32 3
		.amdhsa_float_denorm_mode_16_64 3
		.amdhsa_dx10_clamp 1
		.amdhsa_ieee_mode 1
		.amdhsa_fp16_overflow 0
		.amdhsa_tg_split 0
		.amdhsa_exception_fp_ieee_invalid_op 0
		.amdhsa_exception_fp_denorm_src 0
		.amdhsa_exception_fp_ieee_div_zero 0
		.amdhsa_exception_fp_ieee_overflow 0
		.amdhsa_exception_fp_ieee_underflow 0
		.amdhsa_exception_fp_ieee_inexact 0
		.amdhsa_exception_int_div_zero 0
	.end_amdhsa_kernel
	.section	.text._ZN12_GLOBAL__N_135rocblas_gemm_batched_general_kernelI19rocblas_complex_numIfELi16ELi16ELi32ELi32ELi8ELi32ELi8ELi8ELi32ELc78ELc84EKPKS2_S5_KPS2_EEvlllT_PT11_llSA_llS8_PT12_llPT13_lli,"axG",@progbits,_ZN12_GLOBAL__N_135rocblas_gemm_batched_general_kernelI19rocblas_complex_numIfELi16ELi16ELi32ELi32ELi8ELi32ELi8ELi8ELi32ELc78ELc84EKPKS2_S5_KPS2_EEvlllT_PT11_llSA_llS8_PT12_llPT13_lli,comdat
.Lfunc_end254:
	.size	_ZN12_GLOBAL__N_135rocblas_gemm_batched_general_kernelI19rocblas_complex_numIfELi16ELi16ELi32ELi32ELi8ELi32ELi8ELi8ELi32ELc78ELc84EKPKS2_S5_KPS2_EEvlllT_PT11_llSA_llS8_PT12_llPT13_lli, .Lfunc_end254-_ZN12_GLOBAL__N_135rocblas_gemm_batched_general_kernelI19rocblas_complex_numIfELi16ELi16ELi32ELi32ELi8ELi32ELi8ELi8ELi32ELc78ELc84EKPKS2_S5_KPS2_EEvlllT_PT11_llSA_llS8_PT12_llPT13_lli
                                        ; -- End function
	.set _ZN12_GLOBAL__N_135rocblas_gemm_batched_general_kernelI19rocblas_complex_numIfELi16ELi16ELi32ELi32ELi8ELi32ELi8ELi8ELi32ELc78ELc84EKPKS2_S5_KPS2_EEvlllT_PT11_llSA_llS8_PT12_llPT13_lli.num_vgpr, 136
	.set _ZN12_GLOBAL__N_135rocblas_gemm_batched_general_kernelI19rocblas_complex_numIfELi16ELi16ELi32ELi32ELi8ELi32ELi8ELi8ELi32ELc78ELc84EKPKS2_S5_KPS2_EEvlllT_PT11_llSA_llS8_PT12_llPT13_lli.num_agpr, 0
	.set _ZN12_GLOBAL__N_135rocblas_gemm_batched_general_kernelI19rocblas_complex_numIfELi16ELi16ELi32ELi32ELi8ELi32ELi8ELi8ELi32ELc78ELc84EKPKS2_S5_KPS2_EEvlllT_PT11_llSA_llS8_PT12_llPT13_lli.numbered_sgpr, 50
	.set _ZN12_GLOBAL__N_135rocblas_gemm_batched_general_kernelI19rocblas_complex_numIfELi16ELi16ELi32ELi32ELi8ELi32ELi8ELi8ELi32ELc78ELc84EKPKS2_S5_KPS2_EEvlllT_PT11_llSA_llS8_PT12_llPT13_lli.num_named_barrier, 0
	.set _ZN12_GLOBAL__N_135rocblas_gemm_batched_general_kernelI19rocblas_complex_numIfELi16ELi16ELi32ELi32ELi8ELi32ELi8ELi8ELi32ELc78ELc84EKPKS2_S5_KPS2_EEvlllT_PT11_llSA_llS8_PT12_llPT13_lli.private_seg_size, 0
	.set _ZN12_GLOBAL__N_135rocblas_gemm_batched_general_kernelI19rocblas_complex_numIfELi16ELi16ELi32ELi32ELi8ELi32ELi8ELi8ELi32ELc78ELc84EKPKS2_S5_KPS2_EEvlllT_PT11_llSA_llS8_PT12_llPT13_lli.uses_vcc, 1
	.set _ZN12_GLOBAL__N_135rocblas_gemm_batched_general_kernelI19rocblas_complex_numIfELi16ELi16ELi32ELi32ELi8ELi32ELi8ELi8ELi32ELc78ELc84EKPKS2_S5_KPS2_EEvlllT_PT11_llSA_llS8_PT12_llPT13_lli.uses_flat_scratch, 0
	.set _ZN12_GLOBAL__N_135rocblas_gemm_batched_general_kernelI19rocblas_complex_numIfELi16ELi16ELi32ELi32ELi8ELi32ELi8ELi8ELi32ELc78ELc84EKPKS2_S5_KPS2_EEvlllT_PT11_llSA_llS8_PT12_llPT13_lli.has_dyn_sized_stack, 0
	.set _ZN12_GLOBAL__N_135rocblas_gemm_batched_general_kernelI19rocblas_complex_numIfELi16ELi16ELi32ELi32ELi8ELi32ELi8ELi8ELi32ELc78ELc84EKPKS2_S5_KPS2_EEvlllT_PT11_llSA_llS8_PT12_llPT13_lli.has_recursion, 0
	.set _ZN12_GLOBAL__N_135rocblas_gemm_batched_general_kernelI19rocblas_complex_numIfELi16ELi16ELi32ELi32ELi8ELi32ELi8ELi8ELi32ELc78ELc84EKPKS2_S5_KPS2_EEvlllT_PT11_llSA_llS8_PT12_llPT13_lli.has_indirect_call, 0
	.section	.AMDGPU.csdata,"",@progbits
; Kernel info:
; codeLenInByte = 3132
; TotalNumSgprs: 56
; NumVgprs: 136
; NumAgprs: 0
; TotalNumVgprs: 136
; ScratchSize: 0
; MemoryBound: 0
; FloatMode: 240
; IeeeMode: 1
; LDSByteSize: 4096 bytes/workgroup (compile time only)
; SGPRBlocks: 6
; VGPRBlocks: 16
; NumSGPRsForWavesPerEU: 56
; NumVGPRsForWavesPerEU: 136
; AccumOffset: 136
; Occupancy: 3
; WaveLimiterHint : 1
; COMPUTE_PGM_RSRC2:SCRATCH_EN: 0
; COMPUTE_PGM_RSRC2:USER_SGPR: 2
; COMPUTE_PGM_RSRC2:TRAP_HANDLER: 0
; COMPUTE_PGM_RSRC2:TGID_X_EN: 1
; COMPUTE_PGM_RSRC2:TGID_Y_EN: 1
; COMPUTE_PGM_RSRC2:TGID_Z_EN: 1
; COMPUTE_PGM_RSRC2:TIDIG_COMP_CNT: 1
; COMPUTE_PGM_RSRC3_GFX90A:ACCUM_OFFSET: 33
; COMPUTE_PGM_RSRC3_GFX90A:TG_SPLIT: 0
	.section	.text._ZN12_GLOBAL__N_135rocblas_gemm_batched_general_kernelI19rocblas_complex_numIfELi16ELi16ELi32ELi32ELi8ELi32ELi8ELi8ELi32ELc84ELc84EKPKS2_S5_KPS2_EEvlllT_PT11_llSA_llS8_PT12_llPT13_lli,"axG",@progbits,_ZN12_GLOBAL__N_135rocblas_gemm_batched_general_kernelI19rocblas_complex_numIfELi16ELi16ELi32ELi32ELi8ELi32ELi8ELi8ELi32ELc84ELc84EKPKS2_S5_KPS2_EEvlllT_PT11_llSA_llS8_PT12_llPT13_lli,comdat
	.globl	_ZN12_GLOBAL__N_135rocblas_gemm_batched_general_kernelI19rocblas_complex_numIfELi16ELi16ELi32ELi32ELi8ELi32ELi8ELi8ELi32ELc84ELc84EKPKS2_S5_KPS2_EEvlllT_PT11_llSA_llS8_PT12_llPT13_lli ; -- Begin function _ZN12_GLOBAL__N_135rocblas_gemm_batched_general_kernelI19rocblas_complex_numIfELi16ELi16ELi32ELi32ELi8ELi32ELi8ELi8ELi32ELc84ELc84EKPKS2_S5_KPS2_EEvlllT_PT11_llSA_llS8_PT12_llPT13_lli
	.p2align	8
	.type	_ZN12_GLOBAL__N_135rocblas_gemm_batched_general_kernelI19rocblas_complex_numIfELi16ELi16ELi32ELi32ELi8ELi32ELi8ELi8ELi32ELc84ELc84EKPKS2_S5_KPS2_EEvlllT_PT11_llSA_llS8_PT12_llPT13_lli,@function
_ZN12_GLOBAL__N_135rocblas_gemm_batched_general_kernelI19rocblas_complex_numIfELi16ELi16ELi32ELi32ELi8ELi32ELi8ELi8ELi32ELc84ELc84EKPKS2_S5_KPS2_EEvlllT_PT11_llSA_llS8_PT12_llPT13_lli: ; @_ZN12_GLOBAL__N_135rocblas_gemm_batched_general_kernelI19rocblas_complex_numIfELi16ELi16ELi32ELi32ELi8ELi32ELi8ELi8ELi32ELc84ELc84EKPKS2_S5_KPS2_EEvlllT_PT11_llSA_llS8_PT12_llPT13_lli
; %bb.0:
	s_load_dwordx16 s[8:23], s[0:1], 0x0
	s_load_dwordx4 s[36:39], s[0:1], 0x78
	s_load_dwordx8 s[24:31], s[0:1], 0x58
	s_load_dwordx2 s[34:35], s[0:1], 0x50
	s_mov_b32 s5, 0
	s_lshl_b64 s[46:47], s[4:5], 3
	s_mov_b32 s44, s3
	s_waitcnt lgkmcnt(0)
	s_add_u32 s4, s24, s46
	s_addc_u32 s5, s25, s47
	s_load_dwordx2 s[24:25], s[4:5], 0x0
	s_add_u32 s4, s30, s46
	s_addc_u32 s5, s31, s47
	s_load_dwordx2 s[42:43], s[4:5], 0x0
	s_ashr_i32 s3, s2, 31
	v_mov_b32_e32 v23, 0
	s_lshl_b64 s[30:31], s[2:3], 5
	s_ashr_i32 s45, s44, 31
	v_cmp_lt_i64_e64 s[2:3], s[12:13], 1
	v_and_b32_e32 v12, 0x3ff, v0
	v_bfe_u32 v22, v0, 10, 10
	v_mov_b32_e32 v13, v23
	s_lshl_b64 s[40:41], s[44:45], 5
	s_and_b64 vcc, exec, s[2:3]
	v_mov_b32_e32 v21, v23
	v_mov_b32_e32 v20, v23
	;; [unrolled: 1-line block ×8, first 2 shown]
	s_cbranch_vccnz .LBB255_7
; %bb.1:
	v_lshl_add_u32 v8, v22, 4, v12
	v_mov_b32_e32 v25, 0
	s_load_dwordx4 s[4:7], s[0:1], 0x40
	v_lshrrev_b32_e32 v0, 3, v8
	v_mov_b32_e32 v1, v25
	v_and_b32_e32 v4, 31, v8
	v_lshrrev_b32_e32 v24, 5, v8
	v_and_b32_e32 v26, 7, v12
	v_lshl_add_u64 v[2:3], v[0:1], 0, s[40:41]
	v_lshlrev_b32_e32 v1, 3, v4
	s_add_u32 s0, s22, s46
	v_lshl_or_b32 v44, v24, 8, v1
	v_lshlrev_b32_e32 v1, 3, v26
	s_addc_u32 s1, s23, s47
	v_lshl_or_b32 v0, v0, 6, v1
	s_load_dwordx2 s[22:23], s[0:1], 0x0
	s_add_u32 s0, s16, s46
	v_add_u32_e32 v45, 0x800, v0
	v_mov_b32_e32 v0, 0x800
	s_addc_u32 s1, s17, s47
	v_lshl_add_u32 v47, v22, 6, v0
	s_waitcnt lgkmcnt(0)
	v_mad_u64_u32 v[0:1], s[46:47], s4, v26, 0
	v_cmp_gt_i64_e64 s[2:3], s[10:11], v[2:3]
	v_mov_b32_e32 v2, v1
	s_lshl_b64 s[44:45], s[44:45], 8
	s_lshl_b64 s[6:7], s[6:7], 3
	v_mad_u64_u32 v[2:3], s[46:47], s5, v26, v[2:3]
	s_add_u32 s6, s6, s44
	v_mov_b32_e32 v1, v2
	s_addc_u32 s7, s7, s45
	v_lshl_add_u64 v[0:1], v[0:1], 3, s[6:7]
	v_and_b32_e32 v2, 0x7ff8, v8
	v_mov_b32_e32 v3, v25
	v_mov_b32_e32 v5, v25
	v_lshl_add_u64 v[0:1], v[0:1], 0, v[2:3]
	s_load_dwordx2 s[16:17], s[0:1], 0x0
	v_lshl_add_u64 v[28:29], s[22:23], 0, v[0:1]
	v_lshl_add_u64 v[0:1], s[30:31], 0, v[4:5]
	v_mul_lo_u32 v2, s19, v0
	v_mul_lo_u32 v3, s18, v1
	v_mad_u64_u32 v[0:1], s[6:7], s18, v0, 0
	v_add3_u32 v1, v1, v3, v2
	s_lshl_b64 s[6:7], s[20:21], 3
	v_lshl_add_u64 v[0:1], v[0:1], 3, s[6:7]
	v_lshlrev_b32_e32 v2, 3, v24
	v_mov_b32_e32 v3, v25
	v_or_b32_e32 v6, s30, v4
	v_mov_b32_e32 v7, s31
	v_lshl_add_u64 v[0:1], v[0:1], 0, v[2:3]
	v_mov_b32_e32 v27, v25
	v_cmp_gt_i64_e64 s[0:1], s[8:9], v[6:7]
	v_lshlrev_b32_e32 v46, 3, v12
	s_lshl_b64 s[4:5], s[4:5], 6
	s_waitcnt lgkmcnt(0)
	v_lshl_add_u64 v[30:31], s[16:17], 0, v[0:1]
	s_mov_b64 s[6:7], 0
	v_mov_b64_e32 v[32:33], s[12:13]
	v_mov_b32_e32 v14, v25
	v_mov_b32_e32 v15, v25
	;; [unrolled: 1-line block ×8, first 2 shown]
	s_branch .LBB255_3
.LBB255_2:                              ;   in Loop: Header=BB255_3 Depth=1
	s_or_b64 exec, exec, s[16:17]
	s_waitcnt vmcnt(0) lgkmcnt(0)
	ds_write_b64 v45, v[0:1]
	s_waitcnt lgkmcnt(0)
	s_barrier
	ds_read2_b64 v[4:7], v46 offset1:16
	ds_read_b128 v[48:51], v47
	ds_read2_b64 v[8:11], v46 offset0:32 offset1:48
	ds_read_b128 v[0:3], v47 offset:16
	ds_read_b128 v[52:55], v47 offset:1024
	s_add_u32 s6, s6, 8
	s_waitcnt lgkmcnt(3)
	v_pk_mul_f32 v[36:37], v[48:49], v[4:5] op_sel:[0,1]
	v_pk_mul_f32 v[56:57], v[48:49], v[6:7] op_sel:[0,1]
	v_pk_fma_f32 v[34:35], v[48:49], v[4:5], v[36:37] op_sel:[0,0,1] op_sel_hi:[1,1,0] neg_lo:[0,0,1] neg_hi:[0,0,1]
	v_pk_fma_f32 v[36:37], v[48:49], v[4:5], v[36:37] op_sel:[0,0,1] op_sel_hi:[1,0,0]
	s_waitcnt lgkmcnt(2)
	v_pk_mul_f32 v[40:41], v[50:51], v[8:9] op_sel:[0,1]
	v_pk_fma_f32 v[42:43], v[48:49], v[6:7], v[56:57] op_sel:[0,0,1] op_sel_hi:[1,1,0] neg_lo:[0,0,1] neg_hi:[0,0,1]
	v_pk_fma_f32 v[72:73], v[48:49], v[6:7], v[56:57] op_sel:[0,0,1] op_sel_hi:[1,0,0]
	v_pk_mul_f32 v[48:49], v[50:51], v[10:11] op_sel:[0,1]
	v_pk_fma_f32 v[38:39], v[50:51], v[8:9], v[40:41] op_sel:[0,0,1] op_sel_hi:[1,1,0] neg_lo:[0,0,1] neg_hi:[0,0,1]
	v_pk_fma_f32 v[40:41], v[50:51], v[8:9], v[40:41] op_sel:[0,0,1] op_sel_hi:[1,0,0]
	v_pk_fma_f32 v[74:75], v[50:51], v[10:11], v[48:49] op_sel:[0,0,1] op_sel_hi:[1,1,0] neg_lo:[0,0,1] neg_hi:[0,0,1]
	v_pk_fma_f32 v[76:77], v[50:51], v[10:11], v[48:49] op_sel:[0,0,1] op_sel_hi:[1,0,0]
	ds_read_b128 v[48:51], v47 offset:1040
	s_waitcnt lgkmcnt(1)
	v_pk_mul_f32 v[56:57], v[52:53], v[4:5] op_sel:[0,1]
	v_mov_b32_e32 v35, v37
	v_pk_fma_f32 v[78:79], v[52:53], v[4:5], v[56:57] op_sel:[0,0,1] op_sel_hi:[1,1,0] neg_lo:[0,0,1] neg_hi:[0,0,1]
	v_pk_fma_f32 v[80:81], v[52:53], v[4:5], v[56:57] op_sel:[0,0,1] op_sel_hi:[1,0,0]
	v_pk_mul_f32 v[4:5], v[52:53], v[6:7] op_sel:[0,1]
	ds_read2_b64 v[56:59], v46 offset0:96 offset1:112
	v_pk_fma_f32 v[82:83], v[52:53], v[6:7], v[4:5] op_sel:[0,0,1] op_sel_hi:[1,1,0] neg_lo:[0,0,1] neg_hi:[0,0,1]
	v_pk_fma_f32 v[84:85], v[52:53], v[6:7], v[4:5] op_sel:[0,0,1] op_sel_hi:[1,0,0]
	v_pk_mul_f32 v[4:5], v[54:55], v[8:9] op_sel:[0,1]
	v_pk_add_f32 v[20:21], v[20:21], v[34:35]
	v_pk_fma_f32 v[86:87], v[54:55], v[8:9], v[4:5] op_sel:[0,0,1] op_sel_hi:[1,1,0] neg_lo:[0,0,1] neg_hi:[0,0,1]
	v_pk_fma_f32 v[88:89], v[54:55], v[8:9], v[4:5] op_sel:[0,0,1] op_sel_hi:[1,0,0]
	ds_read2_b64 v[4:7], v46 offset0:64 offset1:80
	v_pk_mul_f32 v[8:9], v[54:55], v[10:11] op_sel:[0,1]
	v_mov_b32_e32 v79, v81
	v_pk_fma_f32 v[90:91], v[54:55], v[10:11], v[8:9] op_sel:[0,0,1] op_sel_hi:[1,1,0] neg_lo:[0,0,1] neg_hi:[0,0,1]
	v_pk_fma_f32 v[92:93], v[54:55], v[10:11], v[8:9] op_sel:[0,0,1] op_sel_hi:[1,0,0]
	s_waitcnt lgkmcnt(0)
	v_pk_mul_f32 v[8:9], v[0:1], v[4:5] op_sel:[0,1]
	v_pk_mul_f32 v[60:61], v[0:1], v[6:7] op_sel:[0,1]
	v_pk_fma_f32 v[94:95], v[0:1], v[4:5], v[8:9] op_sel:[0,0,1] op_sel_hi:[1,1,0] neg_lo:[0,0,1] neg_hi:[0,0,1]
	v_pk_fma_f32 v[96:97], v[0:1], v[4:5], v[8:9] op_sel:[0,0,1] op_sel_hi:[1,0,0]
	v_pk_mul_f32 v[8:9], v[2:3], v[56:57] op_sel:[0,1]
	v_pk_mul_f32 v[34:35], v[48:49], v[4:5] op_sel:[0,1]
	v_pk_fma_f32 v[98:99], v[2:3], v[56:57], v[8:9] op_sel:[0,0,1] op_sel_hi:[1,1,0] neg_lo:[0,0,1] neg_hi:[0,0,1]
	v_pk_fma_f32 v[100:101], v[2:3], v[56:57], v[8:9] op_sel:[0,0,1] op_sel_hi:[1,0,0]
	ds_read2_b64 v[8:11], v46 offset0:128 offset1:144
	ds_read_b128 v[52:55], v47 offset:32
	v_pk_fma_f32 v[102:103], v[0:1], v[6:7], v[60:61] op_sel:[0,0,1] op_sel_hi:[1,1,0] neg_lo:[0,0,1] neg_hi:[0,0,1]
	v_pk_fma_f32 v[104:105], v[0:1], v[6:7], v[60:61] op_sel:[0,0,1] op_sel_hi:[1,0,0]
	v_pk_mul_f32 v[0:1], v[2:3], v[58:59] op_sel:[0,1]
	v_pk_add_f32 v[16:17], v[16:17], v[78:79]
	v_mov_b32_e32 v87, v89
	v_pk_fma_f32 v[36:37], v[48:49], v[4:5], v[34:35] op_sel:[0,0,1] op_sel_hi:[1,1,0] neg_lo:[0,0,1] neg_hi:[0,0,1]
	v_pk_fma_f32 v[4:5], v[48:49], v[4:5], v[34:35] op_sel:[0,0,1] op_sel_hi:[1,0,0]
	v_pk_fma_f32 v[106:107], v[2:3], v[58:59], v[0:1] op_sel:[0,0,1] op_sel_hi:[1,1,0] neg_lo:[0,0,1] neg_hi:[0,0,1]
	v_pk_fma_f32 v[108:109], v[2:3], v[58:59], v[0:1] op_sel:[0,0,1] op_sel_hi:[1,0,0]
	ds_read2_b64 v[0:3], v46 offset0:160 offset1:176
	ds_read_b128 v[60:63], v47 offset:48
	v_pk_add_f32 v[16:17], v[16:17], v[86:87]
	v_mov_b32_e32 v37, v5
	v_pk_add_f32 v[4:5], v[16:17], v[36:37]
	ds_read_b128 v[34:37], v47 offset:1056
	s_waitcnt lgkmcnt(3)
	v_pk_mul_f32 v[64:65], v[52:53], v[8:9] op_sel:[0,1]
	v_mov_b32_e32 v39, v41
	v_pk_mul_f32 v[16:17], v[50:51], v[56:57] op_sel:[0,1]
	v_pk_fma_f32 v[110:111], v[52:53], v[8:9], v[64:65] op_sel:[0,0,1] op_sel_hi:[1,1,0] neg_lo:[0,0,1] neg_hi:[0,0,1]
	v_pk_fma_f32 v[112:113], v[52:53], v[8:9], v[64:65] op_sel:[0,0,1] op_sel_hi:[1,0,0]
	s_waitcnt lgkmcnt(2)
	v_pk_mul_f32 v[64:65], v[54:55], v[0:1] op_sel:[0,1]
	v_pk_add_f32 v[20:21], v[20:21], v[38:39]
	v_pk_fma_f32 v[38:39], v[50:51], v[56:57], v[16:17] op_sel:[0,0,1] op_sel_hi:[1,1,0] neg_lo:[0,0,1] neg_hi:[0,0,1]
	v_pk_fma_f32 v[16:17], v[50:51], v[56:57], v[16:17] op_sel:[0,0,1] op_sel_hi:[1,0,0]
	v_pk_fma_f32 v[114:115], v[54:55], v[0:1], v[64:65] op_sel:[0,0,1] op_sel_hi:[1,1,0] neg_lo:[0,0,1] neg_hi:[0,0,1]
	v_pk_fma_f32 v[116:117], v[54:55], v[0:1], v[64:65] op_sel:[0,0,1] op_sel_hi:[1,0,0]
	v_pk_mul_f32 v[64:65], v[52:53], v[10:11] op_sel:[0,1]
	v_mov_b32_e32 v39, v17
	v_pk_fma_f32 v[118:119], v[52:53], v[10:11], v[64:65] op_sel:[0,0,1] op_sel_hi:[1,1,0] neg_lo:[0,0,1] neg_hi:[0,0,1]
	v_pk_fma_f32 v[52:53], v[52:53], v[10:11], v[64:65] op_sel:[0,0,1] op_sel_hi:[1,0,0]
	ds_read2_b64 v[64:67], v46 offset0:192 offset1:208
	v_mov_b32_e32 v43, v73
	v_pk_add_f32 v[4:5], v[4:5], v[38:39]
	ds_read_b128 v[38:41], v47 offset:1072
	s_waitcnt lgkmcnt(2)
	v_pk_mul_f32 v[16:17], v[34:35], v[8:9] op_sel:[0,1]
	v_pk_add_f32 v[18:19], v[18:19], v[42:43]
	v_pk_fma_f32 v[42:43], v[34:35], v[8:9], v[16:17] op_sel:[0,0,1] op_sel_hi:[1,1,0] neg_lo:[0,0,1] neg_hi:[0,0,1]
	v_pk_fma_f32 v[8:9], v[34:35], v[8:9], v[16:17] op_sel:[0,0,1] op_sel_hi:[1,0,0]
	ds_read2_b64 v[68:71], v46 offset0:224 offset1:240
	v_mov_b32_e32 v43, v9
	v_pk_mul_f32 v[8:9], v[36:37], v[0:1] op_sel:[0,1]
	v_pk_add_f32 v[4:5], v[4:5], v[42:43]
	v_pk_fma_f32 v[16:17], v[36:37], v[0:1], v[8:9] op_sel:[0,0,1] op_sel_hi:[1,1,0] neg_lo:[0,0,1] neg_hi:[0,0,1]
	v_pk_fma_f32 v[0:1], v[36:37], v[0:1], v[8:9] op_sel:[0,0,1] op_sel_hi:[1,0,0]
	v_mov_b32_e32 v83, v85
	v_mov_b32_e32 v17, v1
	v_pk_add_f32 v[0:1], v[4:5], v[16:17]
	s_waitcnt lgkmcnt(1)
	v_pk_mul_f32 v[4:5], v[38:39], v[64:65] op_sel:[0,1]
	v_mov_b32_e32 v91, v93
	v_pk_fma_f32 v[8:9], v[38:39], v[64:65], v[4:5] op_sel:[0,0,1] op_sel_hi:[1,1,0] neg_lo:[0,0,1] neg_hi:[0,0,1]
	v_pk_fma_f32 v[4:5], v[38:39], v[64:65], v[4:5] op_sel:[0,0,1] op_sel_hi:[1,0,0]
	v_pk_mul_f32 v[120:121], v[54:55], v[2:3] op_sel:[0,1]
	v_mov_b32_e32 v9, v5
	s_waitcnt lgkmcnt(0)
	v_pk_mul_f32 v[4:5], v[40:41], v[68:69] op_sel:[0,1]
	v_pk_add_f32 v[0:1], v[0:1], v[8:9]
	v_pk_fma_f32 v[8:9], v[40:41], v[68:69], v[4:5] op_sel:[0,0,1] op_sel_hi:[1,1,0] neg_lo:[0,0,1] neg_hi:[0,0,1]
	v_pk_fma_f32 v[4:5], v[40:41], v[68:69], v[4:5] op_sel:[0,0,1] op_sel_hi:[1,0,0]
	v_mov_b32_e32 v75, v77
	v_mov_b32_e32 v9, v5
	v_pk_mul_f32 v[4:5], v[48:49], v[6:7] op_sel:[0,1]
	v_pk_add_f32 v[16:17], v[0:1], v[8:9]
	v_pk_fma_f32 v[8:9], v[48:49], v[6:7], v[4:5] op_sel:[0,0,1] op_sel_hi:[1,1,0] neg_lo:[0,0,1] neg_hi:[0,0,1]
	v_pk_fma_f32 v[4:5], v[48:49], v[6:7], v[4:5] op_sel:[0,0,1] op_sel_hi:[1,0,0]
	v_pk_add_f32 v[0:1], v[14:15], v[82:83]
	v_mov_b32_e32 v9, v5
	v_pk_mul_f32 v[4:5], v[50:51], v[58:59] op_sel:[0,1]
	v_pk_add_f32 v[0:1], v[0:1], v[90:91]
	v_pk_fma_f32 v[6:7], v[50:51], v[58:59], v[4:5] op_sel:[0,0,1] op_sel_hi:[1,1,0] neg_lo:[0,0,1] neg_hi:[0,0,1]
	v_pk_fma_f32 v[4:5], v[50:51], v[58:59], v[4:5] op_sel:[0,0,1] op_sel_hi:[1,0,0]
	v_pk_add_f32 v[0:1], v[0:1], v[8:9]
	v_mov_b32_e32 v7, v5
	v_pk_mul_f32 v[4:5], v[34:35], v[10:11] op_sel:[0,1]
	v_pk_add_f32 v[0:1], v[0:1], v[6:7]
	v_pk_fma_f32 v[6:7], v[34:35], v[10:11], v[4:5] op_sel:[0,0,1] op_sel_hi:[1,1,0] neg_lo:[0,0,1] neg_hi:[0,0,1]
	v_pk_fma_f32 v[4:5], v[34:35], v[10:11], v[4:5] op_sel:[0,0,1] op_sel_hi:[1,0,0]
	v_pk_fma_f32 v[122:123], v[54:55], v[2:3], v[120:121] op_sel:[0,0,1] op_sel_hi:[1,1,0] neg_lo:[0,0,1] neg_hi:[0,0,1]
	v_mov_b32_e32 v7, v5
	v_pk_mul_f32 v[4:5], v[36:37], v[2:3] op_sel:[0,1]
	v_pk_fma_f32 v[54:55], v[54:55], v[2:3], v[120:121] op_sel:[0,0,1] op_sel_hi:[1,0,0]
	v_mov_b32_e32 v95, v97
	v_pk_add_f32 v[18:19], v[18:19], v[74:75]
	v_mov_b32_e32 v103, v105
	v_pk_add_f32 v[0:1], v[0:1], v[6:7]
	v_pk_fma_f32 v[6:7], v[36:37], v[2:3], v[4:5] op_sel:[0,0,1] op_sel_hi:[1,1,0] neg_lo:[0,0,1] neg_hi:[0,0,1]
	v_pk_fma_f32 v[2:3], v[36:37], v[2:3], v[4:5] op_sel:[0,0,1] op_sel_hi:[1,0,0]
	v_pk_add_f32 v[20:21], v[20:21], v[94:95]
	v_mov_b32_e32 v99, v101
	v_pk_add_f32 v[18:19], v[18:19], v[102:103]
	v_mov_b32_e32 v107, v109
	v_mov_b32_e32 v7, v3
	v_pk_mul_f32 v[2:3], v[38:39], v[66:67] op_sel:[0,1]
	v_pk_mul_f32 v[120:121], v[60:61], v[64:65] op_sel:[0,1]
	;; [unrolled: 1-line block ×3, first 2 shown]
	v_pk_add_f32 v[20:21], v[20:21], v[98:99]
	v_mov_b32_e32 v111, v113
	v_pk_add_f32 v[18:19], v[18:19], v[106:107]
	v_mov_b32_e32 v119, v53
	v_pk_fma_f32 v[4:5], v[38:39], v[66:67], v[2:3] op_sel:[0,0,1] op_sel_hi:[1,1,0] neg_lo:[0,0,1] neg_hi:[0,0,1]
	v_pk_fma_f32 v[2:3], v[38:39], v[66:67], v[2:3] op_sel:[0,0,1] op_sel_hi:[1,0,0]
	v_pk_fma_f32 v[124:125], v[60:61], v[64:65], v[120:121] op_sel:[0,0,1] op_sel_hi:[1,1,0] neg_lo:[0,0,1] neg_hi:[0,0,1]
	v_pk_fma_f32 v[120:121], v[60:61], v[64:65], v[120:121] op_sel:[0,0,1] op_sel_hi:[1,0,0]
	v_pk_mul_f32 v[126:127], v[62:63], v[68:69] op_sel:[0,1]
	v_pk_fma_f32 v[132:133], v[60:61], v[66:67], v[130:131] op_sel:[0,0,1] op_sel_hi:[1,1,0] neg_lo:[0,0,1] neg_hi:[0,0,1]
	v_pk_fma_f32 v[60:61], v[60:61], v[66:67], v[130:131] op_sel:[0,0,1] op_sel_hi:[1,0,0]
	v_pk_mul_f32 v[130:131], v[62:63], v[70:71] op_sel:[0,1]
	v_pk_add_f32 v[20:21], v[20:21], v[110:111]
	v_mov_b32_e32 v115, v117
	v_pk_add_f32 v[18:19], v[18:19], v[118:119]
	v_mov_b32_e32 v123, v55
	;; [unrolled: 2-line block ×3, first 2 shown]
	v_pk_mul_f32 v[2:3], v[40:41], v[70:71] op_sel:[0,1]
	v_pk_fma_f32 v[128:129], v[62:63], v[68:69], v[126:127] op_sel:[0,0,1] op_sel_hi:[1,1,0] neg_lo:[0,0,1] neg_hi:[0,0,1]
	v_pk_fma_f32 v[126:127], v[62:63], v[68:69], v[126:127] op_sel:[0,0,1] op_sel_hi:[1,0,0]
	v_pk_fma_f32 v[134:135], v[62:63], v[70:71], v[130:131] op_sel:[0,0,1] op_sel_hi:[1,1,0] neg_lo:[0,0,1] neg_hi:[0,0,1]
	v_pk_fma_f32 v[62:63], v[62:63], v[70:71], v[130:131] op_sel:[0,0,1] op_sel_hi:[1,0,0]
	v_pk_add_f32 v[20:21], v[20:21], v[114:115]
	v_mov_b32_e32 v125, v121
	v_pk_add_f32 v[18:19], v[18:19], v[122:123]
	v_mov_b32_e32 v133, v61
	v_pk_add_f32 v[0:1], v[0:1], v[4:5]
	v_pk_fma_f32 v[4:5], v[40:41], v[70:71], v[2:3] op_sel:[0,0,1] op_sel_hi:[1,1,0] neg_lo:[0,0,1] neg_hi:[0,0,1]
	v_pk_fma_f32 v[2:3], v[40:41], v[70:71], v[2:3] op_sel:[0,0,1] op_sel_hi:[1,0,0]
	s_addc_u32 s7, s7, 0
	v_pk_add_f32 v[20:21], v[20:21], v[124:125]
	v_mov_b32_e32 v129, v127
	v_pk_add_f32 v[18:19], v[18:19], v[132:133]
	v_mov_b32_e32 v135, v63
	v_mov_b32_e32 v5, v3
	v_cmp_lt_i64_e32 vcc, s[6:7], v[32:33]
	v_pk_add_f32 v[20:21], v[20:21], v[128:129]
	v_pk_add_f32 v[18:19], v[18:19], v[134:135]
	;; [unrolled: 1-line block ×3, first 2 shown]
	v_lshl_add_u64 v[28:29], v[28:29], 0, s[4:5]
	v_lshl_add_u64 v[30:31], v[30:31], 0, 64
	s_barrier
	s_cbranch_vccz .LBB255_7
.LBB255_3:                              ; =>This Inner Loop Header: Depth=1
	v_lshl_add_u64 v[0:1], v[24:25], 0, s[6:7]
	v_cmp_gt_i64_e32 vcc, s[12:13], v[0:1]
	s_and_b64 s[18:19], s[0:1], vcc
	v_mov_b32_e32 v0, 0
	v_mov_b32_e32 v1, 0
	s_and_saveexec_b64 s[16:17], s[18:19]
	s_cbranch_execz .LBB255_5
; %bb.4:                                ;   in Loop: Header=BB255_3 Depth=1
	flat_load_dwordx2 v[0:1], v[30:31]
.LBB255_5:                              ;   in Loop: Header=BB255_3 Depth=1
	s_or_b64 exec, exec, s[16:17]
	s_waitcnt vmcnt(0) lgkmcnt(0)
	ds_write_b64 v44, v[0:1]
	v_lshl_add_u64 v[0:1], v[26:27], 0, s[6:7]
	v_cmp_gt_i64_e32 vcc, s[12:13], v[0:1]
	s_and_b64 s[18:19], vcc, s[2:3]
	v_mov_b32_e32 v0, 0
	v_mov_b32_e32 v1, 0
	s_and_saveexec_b64 s[16:17], s[18:19]
	s_cbranch_execz .LBB255_2
; %bb.6:                                ;   in Loop: Header=BB255_3 Depth=1
	flat_load_dwordx2 v[0:1], v[28:29]
	s_branch .LBB255_2
.LBB255_7:
	s_lshl_b64 s[0:1], s[38:39], 3
	s_waitcnt lgkmcnt(0)
	s_add_u32 s6, s42, s0
	s_addc_u32 s7, s43, s1
	s_or_b32 s0, s34, s35
	v_lshl_add_u64 v[0:1], s[40:41], 0, v[22:23]
	s_bitset0_b32 s0, 31
	s_cmp_lg_u32 s0, 0
	v_cmp_gt_i64_e64 s[0:1], s[10:11], v[0:1]
	s_mov_b64 s[2:3], -1
	s_cbranch_scc1 .LBB255_19
; %bb.8:
	s_and_saveexec_b64 s[12:13], s[0:1]
	s_cbranch_execz .LBB255_18
; %bb.9:
	v_mul_lo_u32 v6, v1, s36
	v_mul_lo_u32 v7, v0, s37
	v_mad_u64_u32 v[4:5], s[2:3], v0, s36, 0
	v_add3_u32 v5, v5, v7, v6
	v_lshl_add_u64 v[2:3], s[30:31], 0, v[12:13]
	v_lshl_add_u64 v[4:5], v[4:5], 3, s[6:7]
	v_cmp_gt_i64_e32 vcc, s[8:9], v[2:3]
	s_mov_b32 s16, s14
	s_mov_b32 s17, s14
	;; [unrolled: 1-line block ×4, first 2 shown]
	v_lshl_add_u64 v[6:7], v[2:3], 3, v[4:5]
	s_and_saveexec_b64 s[2:3], vcc
	s_cbranch_execz .LBB255_11
; %bb.10:
	v_pk_mul_f32 v[8:9], v[20:21], s[18:19]
	s_nop 0
	v_pk_fma_f32 v[10:11], v[20:21], s[16:17], v[8:9] op_sel:[0,0,1] op_sel_hi:[1,1,0] neg_lo:[0,0,1] neg_hi:[0,0,1]
	v_pk_fma_f32 v[8:9], v[20:21], s[16:17], v[8:9] op_sel:[0,0,1] op_sel_hi:[1,1,0]
	s_nop 0
	v_mov_b32_e32 v11, v9
	flat_store_dwordx2 v[6:7], v[10:11]
.LBB255_11:
	s_or_b64 exec, exec, s[2:3]
	v_lshl_add_u64 v[8:9], v[2:3], 0, 16
	v_cmp_gt_i64_e64 s[2:3], s[8:9], v[8:9]
	s_and_saveexec_b64 s[4:5], s[2:3]
	s_cbranch_execz .LBB255_13
; %bb.12:
	v_pk_mul_f32 v[8:9], v[18:19], s[18:19]
	s_nop 0
	v_pk_fma_f32 v[10:11], v[18:19], s[16:17], v[8:9] op_sel:[0,0,1] op_sel_hi:[1,1,0] neg_lo:[0,0,1] neg_hi:[0,0,1]
	v_pk_fma_f32 v[8:9], v[18:19], s[16:17], v[8:9] op_sel:[0,0,1] op_sel_hi:[1,1,0]
	s_nop 0
	v_mov_b32_e32 v11, v9
	flat_store_dwordx2 v[6:7], v[10:11] offset:128
.LBB255_13:
	s_or_b64 exec, exec, s[4:5]
	v_lshl_add_u64 v[6:7], v[0:1], 0, 16
	v_cmp_gt_i64_e64 s[4:5], s[10:11], v[6:7]
	s_and_b64 exec, exec, s[4:5]
	s_cbranch_execz .LBB255_18
; %bb.14:
	s_lshl_b64 s[4:5], s[36:37], 7
	v_lshl_add_u64 v[4:5], v[4:5], 0, s[4:5]
	v_lshl_add_u64 v[2:3], v[2:3], 3, v[4:5]
	s_and_saveexec_b64 s[4:5], vcc
	s_cbranch_execz .LBB255_16
; %bb.15:
	v_pk_mul_f32 v[4:5], v[16:17], s[18:19]
	s_nop 0
	v_pk_fma_f32 v[6:7], v[16:17], s[16:17], v[4:5] op_sel:[0,0,1] op_sel_hi:[1,1,0] neg_lo:[0,0,1] neg_hi:[0,0,1]
	v_pk_fma_f32 v[4:5], v[16:17], s[16:17], v[4:5] op_sel:[0,0,1] op_sel_hi:[1,1,0]
	s_nop 0
	v_mov_b32_e32 v7, v5
	flat_store_dwordx2 v[2:3], v[6:7]
.LBB255_16:
	s_or_b64 exec, exec, s[4:5]
	s_and_b64 exec, exec, s[2:3]
	s_cbranch_execz .LBB255_18
; %bb.17:
	v_pk_mul_f32 v[4:5], v[14:15], s[18:19]
	s_nop 0
	v_pk_fma_f32 v[6:7], v[14:15], s[16:17], v[4:5] op_sel:[0,0,1] op_sel_hi:[1,1,0] neg_lo:[0,0,1] neg_hi:[0,0,1]
	v_pk_fma_f32 v[4:5], v[14:15], s[16:17], v[4:5] op_sel:[0,0,1] op_sel_hi:[1,1,0]
	s_nop 0
	v_mov_b32_e32 v7, v5
	flat_store_dwordx2 v[2:3], v[6:7] offset:128
.LBB255_18:
	s_or_b64 exec, exec, s[12:13]
	s_mov_b64 s[2:3], 0
.LBB255_19:
	s_andn2_b64 vcc, exec, s[2:3]
	s_cbranch_vccnz .LBB255_30
; %bb.20:
	s_and_saveexec_b64 s[2:3], s[0:1]
	s_cbranch_execz .LBB255_30
; %bb.21:
	s_lshl_b64 s[0:1], s[28:29], 3
	v_mul_lo_u32 v4, v1, s26
	v_mul_lo_u32 v5, v0, s27
	v_mad_u64_u32 v[2:3], s[2:3], v0, s26, 0
	s_add_u32 s0, s24, s0
	v_add3_u32 v3, v3, v5, v4
	v_mul_lo_u32 v6, v1, s36
	v_mul_lo_u32 v7, v0, s37
	v_mad_u64_u32 v[4:5], s[2:3], v0, s36, 0
	s_addc_u32 s1, s25, s1
	v_lshl_add_u64 v[8:9], s[30:31], 0, v[12:13]
	v_add3_u32 v5, v5, v7, v6
	v_cmp_gt_i64_e32 vcc, s[8:9], v[8:9]
	s_mov_b32 s4, s14
	s_mov_b32 s5, s14
	;; [unrolled: 1-line block ×6, first 2 shown]
	v_lshl_add_u64 v[6:7], v[2:3], 3, s[0:1]
	v_lshl_add_u64 v[4:5], v[4:5], 3, s[6:7]
	v_lshlrev_b64 v[2:3], 3, v[8:9]
	s_and_saveexec_b64 s[0:1], vcc
	s_cbranch_execz .LBB255_23
; %bb.22:
	v_lshl_add_u64 v[10:11], v[6:7], 0, v[2:3]
	flat_load_dwordx2 v[10:11], v[10:11]
	v_pk_mul_f32 v[22:23], v[20:21], s[14:15]
	v_lshl_add_u64 v[12:13], v[4:5], 0, v[2:3]
	v_pk_fma_f32 v[24:25], v[20:21], s[4:5], v[22:23] op_sel:[0,0,1] op_sel_hi:[1,1,0] neg_lo:[0,0,1] neg_hi:[0,0,1]
	v_pk_fma_f32 v[20:21], v[20:21], s[4:5], v[22:23] op_sel:[0,0,1] op_sel_hi:[1,1,0]
	s_nop 0
	v_mov_b32_e32 v25, v21
	s_waitcnt vmcnt(0) lgkmcnt(0)
	v_pk_mul_f32 v[20:21], v[10:11], s[34:35]
	s_nop 0
	v_pk_fma_f32 v[22:23], v[10:11], s[12:13], v[20:21] op_sel:[0,0,1] op_sel_hi:[1,1,0] neg_lo:[0,0,1] neg_hi:[0,0,1]
	v_pk_fma_f32 v[10:11], v[10:11], s[12:13], v[20:21] op_sel:[0,0,1] op_sel_hi:[1,1,0]
	s_nop 0
	v_mov_b32_e32 v23, v11
	v_pk_add_f32 v[10:11], v[24:25], v[22:23]
	flat_store_dwordx2 v[12:13], v[10:11]
.LBB255_23:
	s_or_b64 exec, exec, s[0:1]
	v_lshl_add_u64 v[8:9], v[8:9], 0, 16
	v_cmp_gt_i64_e64 s[0:1], s[8:9], v[8:9]
	s_and_saveexec_b64 s[2:3], s[0:1]
	s_cbranch_execz .LBB255_25
; %bb.24:
	v_lshl_add_u64 v[8:9], v[6:7], 0, v[2:3]
	flat_load_dwordx2 v[8:9], v[8:9] offset:128
	v_pk_mul_f32 v[12:13], v[18:19], s[14:15]
	v_lshl_add_u64 v[10:11], v[4:5], 0, v[2:3]
	v_pk_fma_f32 v[20:21], v[18:19], s[4:5], v[12:13] op_sel:[0,0,1] op_sel_hi:[1,1,0] neg_lo:[0,0,1] neg_hi:[0,0,1]
	v_pk_fma_f32 v[12:13], v[18:19], s[4:5], v[12:13] op_sel:[0,0,1] op_sel_hi:[1,1,0]
	s_nop 0
	v_mov_b32_e32 v21, v13
	s_waitcnt vmcnt(0) lgkmcnt(0)
	v_pk_mul_f32 v[12:13], v[8:9], s[34:35]
	s_nop 0
	v_pk_fma_f32 v[18:19], v[8:9], s[12:13], v[12:13] op_sel:[0,0,1] op_sel_hi:[1,1,0] neg_lo:[0,0,1] neg_hi:[0,0,1]
	v_pk_fma_f32 v[8:9], v[8:9], s[12:13], v[12:13] op_sel:[0,0,1] op_sel_hi:[1,1,0]
	s_nop 0
	v_mov_b32_e32 v19, v9
	v_pk_add_f32 v[8:9], v[20:21], v[18:19]
	flat_store_dwordx2 v[10:11], v[8:9] offset:128
.LBB255_25:
	s_or_b64 exec, exec, s[2:3]
	v_lshl_add_u64 v[0:1], v[0:1], 0, 16
	v_cmp_gt_i64_e64 s[2:3], s[10:11], v[0:1]
	s_and_b64 exec, exec, s[2:3]
	s_cbranch_execz .LBB255_30
; %bb.26:
	s_lshl_b64 s[2:3], s[26:27], 7
	v_lshl_add_u64 v[0:1], v[6:7], 0, s[2:3]
	s_lshl_b64 s[2:3], s[36:37], 7
	v_lshl_add_u64 v[6:7], v[4:5], 0, s[2:3]
	v_lshl_add_u64 v[4:5], v[0:1], 0, v[2:3]
	;; [unrolled: 1-line block ×3, first 2 shown]
	s_and_saveexec_b64 s[2:3], vcc
	s_cbranch_execz .LBB255_28
; %bb.27:
	flat_load_dwordx2 v[2:3], v[4:5]
	v_pk_mul_f32 v[6:7], v[16:17], s[14:15]
	s_nop 0
	v_pk_fma_f32 v[8:9], v[16:17], s[4:5], v[6:7] op_sel:[0,0,1] op_sel_hi:[1,1,0] neg_lo:[0,0,1] neg_hi:[0,0,1]
	v_pk_fma_f32 v[6:7], v[16:17], s[4:5], v[6:7] op_sel:[0,0,1] op_sel_hi:[1,1,0]
	s_nop 0
	v_mov_b32_e32 v9, v7
	s_waitcnt vmcnt(0) lgkmcnt(0)
	v_pk_mul_f32 v[6:7], v[2:3], s[34:35]
	s_nop 0
	v_pk_fma_f32 v[10:11], v[2:3], s[12:13], v[6:7] op_sel:[0,0,1] op_sel_hi:[1,1,0] neg_lo:[0,0,1] neg_hi:[0,0,1]
	v_pk_fma_f32 v[2:3], v[2:3], s[12:13], v[6:7] op_sel:[0,0,1] op_sel_hi:[1,1,0]
	s_nop 0
	v_mov_b32_e32 v11, v3
	v_pk_add_f32 v[2:3], v[8:9], v[10:11]
	flat_store_dwordx2 v[0:1], v[2:3]
.LBB255_28:
	s_or_b64 exec, exec, s[2:3]
	s_and_b64 exec, exec, s[0:1]
	s_cbranch_execz .LBB255_30
; %bb.29:
	flat_load_dwordx2 v[2:3], v[4:5] offset:128
	v_pk_mul_f32 v[4:5], v[14:15], s[14:15]
	s_nop 0
	v_pk_fma_f32 v[6:7], v[14:15], s[4:5], v[4:5] op_sel:[0,0,1] op_sel_hi:[1,1,0] neg_lo:[0,0,1] neg_hi:[0,0,1]
	v_pk_fma_f32 v[4:5], v[14:15], s[4:5], v[4:5] op_sel:[0,0,1] op_sel_hi:[1,1,0]
	s_nop 0
	v_mov_b32_e32 v7, v5
	s_waitcnt vmcnt(0) lgkmcnt(0)
	v_pk_mul_f32 v[4:5], v[2:3], s[34:35]
	s_nop 0
	v_pk_fma_f32 v[8:9], v[2:3], s[12:13], v[4:5] op_sel:[0,0,1] op_sel_hi:[1,1,0] neg_lo:[0,0,1] neg_hi:[0,0,1]
	v_pk_fma_f32 v[2:3], v[2:3], s[12:13], v[4:5] op_sel:[0,0,1] op_sel_hi:[1,1,0]
	s_nop 0
	v_mov_b32_e32 v9, v3
	v_pk_add_f32 v[2:3], v[6:7], v[8:9]
	flat_store_dwordx2 v[0:1], v[2:3] offset:128
.LBB255_30:
	s_endpgm
	.section	.rodata,"a",@progbits
	.p2align	6, 0x0
	.amdhsa_kernel _ZN12_GLOBAL__N_135rocblas_gemm_batched_general_kernelI19rocblas_complex_numIfELi16ELi16ELi32ELi32ELi8ELi32ELi8ELi8ELi32ELc84ELc84EKPKS2_S5_KPS2_EEvlllT_PT11_llSA_llS8_PT12_llPT13_lli
		.amdhsa_group_segment_fixed_size 4096
		.amdhsa_private_segment_fixed_size 0
		.amdhsa_kernarg_size 140
		.amdhsa_user_sgpr_count 2
		.amdhsa_user_sgpr_dispatch_ptr 0
		.amdhsa_user_sgpr_queue_ptr 0
		.amdhsa_user_sgpr_kernarg_segment_ptr 1
		.amdhsa_user_sgpr_dispatch_id 0
		.amdhsa_user_sgpr_kernarg_preload_length 0
		.amdhsa_user_sgpr_kernarg_preload_offset 0
		.amdhsa_user_sgpr_private_segment_size 0
		.amdhsa_uses_dynamic_stack 0
		.amdhsa_enable_private_segment 0
		.amdhsa_system_sgpr_workgroup_id_x 1
		.amdhsa_system_sgpr_workgroup_id_y 1
		.amdhsa_system_sgpr_workgroup_id_z 1
		.amdhsa_system_sgpr_workgroup_info 0
		.amdhsa_system_vgpr_workitem_id 1
		.amdhsa_next_free_vgpr 136
		.amdhsa_next_free_sgpr 48
		.amdhsa_accum_offset 136
		.amdhsa_reserve_vcc 1
		.amdhsa_float_round_mode_32 0
		.amdhsa_float_round_mode_16_64 0
		.amdhsa_float_denorm_mode_32 3
		.amdhsa_float_denorm_mode_16_64 3
		.amdhsa_dx10_clamp 1
		.amdhsa_ieee_mode 1
		.amdhsa_fp16_overflow 0
		.amdhsa_tg_split 0
		.amdhsa_exception_fp_ieee_invalid_op 0
		.amdhsa_exception_fp_denorm_src 0
		.amdhsa_exception_fp_ieee_div_zero 0
		.amdhsa_exception_fp_ieee_overflow 0
		.amdhsa_exception_fp_ieee_underflow 0
		.amdhsa_exception_fp_ieee_inexact 0
		.amdhsa_exception_int_div_zero 0
	.end_amdhsa_kernel
	.section	.text._ZN12_GLOBAL__N_135rocblas_gemm_batched_general_kernelI19rocblas_complex_numIfELi16ELi16ELi32ELi32ELi8ELi32ELi8ELi8ELi32ELc84ELc84EKPKS2_S5_KPS2_EEvlllT_PT11_llSA_llS8_PT12_llPT13_lli,"axG",@progbits,_ZN12_GLOBAL__N_135rocblas_gemm_batched_general_kernelI19rocblas_complex_numIfELi16ELi16ELi32ELi32ELi8ELi32ELi8ELi8ELi32ELc84ELc84EKPKS2_S5_KPS2_EEvlllT_PT11_llSA_llS8_PT12_llPT13_lli,comdat
.Lfunc_end255:
	.size	_ZN12_GLOBAL__N_135rocblas_gemm_batched_general_kernelI19rocblas_complex_numIfELi16ELi16ELi32ELi32ELi8ELi32ELi8ELi8ELi32ELc84ELc84EKPKS2_S5_KPS2_EEvlllT_PT11_llSA_llS8_PT12_llPT13_lli, .Lfunc_end255-_ZN12_GLOBAL__N_135rocblas_gemm_batched_general_kernelI19rocblas_complex_numIfELi16ELi16ELi32ELi32ELi8ELi32ELi8ELi8ELi32ELc84ELc84EKPKS2_S5_KPS2_EEvlllT_PT11_llSA_llS8_PT12_llPT13_lli
                                        ; -- End function
	.set _ZN12_GLOBAL__N_135rocblas_gemm_batched_general_kernelI19rocblas_complex_numIfELi16ELi16ELi32ELi32ELi8ELi32ELi8ELi8ELi32ELc84ELc84EKPKS2_S5_KPS2_EEvlllT_PT11_llSA_llS8_PT12_llPT13_lli.num_vgpr, 136
	.set _ZN12_GLOBAL__N_135rocblas_gemm_batched_general_kernelI19rocblas_complex_numIfELi16ELi16ELi32ELi32ELi8ELi32ELi8ELi8ELi32ELc84ELc84EKPKS2_S5_KPS2_EEvlllT_PT11_llSA_llS8_PT12_llPT13_lli.num_agpr, 0
	.set _ZN12_GLOBAL__N_135rocblas_gemm_batched_general_kernelI19rocblas_complex_numIfELi16ELi16ELi32ELi32ELi8ELi32ELi8ELi8ELi32ELc84ELc84EKPKS2_S5_KPS2_EEvlllT_PT11_llSA_llS8_PT12_llPT13_lli.numbered_sgpr, 48
	.set _ZN12_GLOBAL__N_135rocblas_gemm_batched_general_kernelI19rocblas_complex_numIfELi16ELi16ELi32ELi32ELi8ELi32ELi8ELi8ELi32ELc84ELc84EKPKS2_S5_KPS2_EEvlllT_PT11_llSA_llS8_PT12_llPT13_lli.num_named_barrier, 0
	.set _ZN12_GLOBAL__N_135rocblas_gemm_batched_general_kernelI19rocblas_complex_numIfELi16ELi16ELi32ELi32ELi8ELi32ELi8ELi8ELi32ELc84ELc84EKPKS2_S5_KPS2_EEvlllT_PT11_llSA_llS8_PT12_llPT13_lli.private_seg_size, 0
	.set _ZN12_GLOBAL__N_135rocblas_gemm_batched_general_kernelI19rocblas_complex_numIfELi16ELi16ELi32ELi32ELi8ELi32ELi8ELi8ELi32ELc84ELc84EKPKS2_S5_KPS2_EEvlllT_PT11_llSA_llS8_PT12_llPT13_lli.uses_vcc, 1
	.set _ZN12_GLOBAL__N_135rocblas_gemm_batched_general_kernelI19rocblas_complex_numIfELi16ELi16ELi32ELi32ELi8ELi32ELi8ELi8ELi32ELc84ELc84EKPKS2_S5_KPS2_EEvlllT_PT11_llSA_llS8_PT12_llPT13_lli.uses_flat_scratch, 0
	.set _ZN12_GLOBAL__N_135rocblas_gemm_batched_general_kernelI19rocblas_complex_numIfELi16ELi16ELi32ELi32ELi8ELi32ELi8ELi8ELi32ELc84ELc84EKPKS2_S5_KPS2_EEvlllT_PT11_llSA_llS8_PT12_llPT13_lli.has_dyn_sized_stack, 0
	.set _ZN12_GLOBAL__N_135rocblas_gemm_batched_general_kernelI19rocblas_complex_numIfELi16ELi16ELi32ELi32ELi8ELi32ELi8ELi8ELi32ELc84ELc84EKPKS2_S5_KPS2_EEvlllT_PT11_llSA_llS8_PT12_llPT13_lli.has_recursion, 0
	.set _ZN12_GLOBAL__N_135rocblas_gemm_batched_general_kernelI19rocblas_complex_numIfELi16ELi16ELi32ELi32ELi8ELi32ELi8ELi8ELi32ELc84ELc84EKPKS2_S5_KPS2_EEvlllT_PT11_llSA_llS8_PT12_llPT13_lli.has_indirect_call, 0
	.section	.AMDGPU.csdata,"",@progbits
; Kernel info:
; codeLenInByte = 3144
; TotalNumSgprs: 54
; NumVgprs: 136
; NumAgprs: 0
; TotalNumVgprs: 136
; ScratchSize: 0
; MemoryBound: 0
; FloatMode: 240
; IeeeMode: 1
; LDSByteSize: 4096 bytes/workgroup (compile time only)
; SGPRBlocks: 6
; VGPRBlocks: 16
; NumSGPRsForWavesPerEU: 54
; NumVGPRsForWavesPerEU: 136
; AccumOffset: 136
; Occupancy: 3
; WaveLimiterHint : 1
; COMPUTE_PGM_RSRC2:SCRATCH_EN: 0
; COMPUTE_PGM_RSRC2:USER_SGPR: 2
; COMPUTE_PGM_RSRC2:TRAP_HANDLER: 0
; COMPUTE_PGM_RSRC2:TGID_X_EN: 1
; COMPUTE_PGM_RSRC2:TGID_Y_EN: 1
; COMPUTE_PGM_RSRC2:TGID_Z_EN: 1
; COMPUTE_PGM_RSRC2:TIDIG_COMP_CNT: 1
; COMPUTE_PGM_RSRC3_GFX90A:ACCUM_OFFSET: 33
; COMPUTE_PGM_RSRC3_GFX90A:TG_SPLIT: 0
	.section	.text._ZN12_GLOBAL__N_135rocblas_gemm_batched_general_kernelI19rocblas_complex_numIfELi16ELi16ELi32ELi32ELi8ELi32ELi8ELi8ELi32ELc67ELc67EKPKS2_S5_KPS2_EEvlllT_PT11_llSA_llS8_PT12_llPT13_lli,"axG",@progbits,_ZN12_GLOBAL__N_135rocblas_gemm_batched_general_kernelI19rocblas_complex_numIfELi16ELi16ELi32ELi32ELi8ELi32ELi8ELi8ELi32ELc67ELc67EKPKS2_S5_KPS2_EEvlllT_PT11_llSA_llS8_PT12_llPT13_lli,comdat
	.globl	_ZN12_GLOBAL__N_135rocblas_gemm_batched_general_kernelI19rocblas_complex_numIfELi16ELi16ELi32ELi32ELi8ELi32ELi8ELi8ELi32ELc67ELc67EKPKS2_S5_KPS2_EEvlllT_PT11_llSA_llS8_PT12_llPT13_lli ; -- Begin function _ZN12_GLOBAL__N_135rocblas_gemm_batched_general_kernelI19rocblas_complex_numIfELi16ELi16ELi32ELi32ELi8ELi32ELi8ELi8ELi32ELc67ELc67EKPKS2_S5_KPS2_EEvlllT_PT11_llSA_llS8_PT12_llPT13_lli
	.p2align	8
	.type	_ZN12_GLOBAL__N_135rocblas_gemm_batched_general_kernelI19rocblas_complex_numIfELi16ELi16ELi32ELi32ELi8ELi32ELi8ELi8ELi32ELc67ELc67EKPKS2_S5_KPS2_EEvlllT_PT11_llSA_llS8_PT12_llPT13_lli,@function
_ZN12_GLOBAL__N_135rocblas_gemm_batched_general_kernelI19rocblas_complex_numIfELi16ELi16ELi32ELi32ELi8ELi32ELi8ELi8ELi32ELc67ELc67EKPKS2_S5_KPS2_EEvlllT_PT11_llSA_llS8_PT12_llPT13_lli: ; @_ZN12_GLOBAL__N_135rocblas_gemm_batched_general_kernelI19rocblas_complex_numIfELi16ELi16ELi32ELi32ELi8ELi32ELi8ELi8ELi32ELc67ELc67EKPKS2_S5_KPS2_EEvlllT_PT11_llSA_llS8_PT12_llPT13_lli
; %bb.0:
	s_load_dwordx16 s[8:23], s[0:1], 0x0
	s_load_dwordx4 s[36:39], s[0:1], 0x78
	s_load_dwordx8 s[24:31], s[0:1], 0x58
	s_load_dwordx2 s[34:35], s[0:1], 0x50
	s_mov_b32 s5, 0
	s_lshl_b64 s[44:45], s[4:5], 3
	s_mov_b32 s42, s3
	s_waitcnt lgkmcnt(0)
	s_add_u32 s4, s24, s44
	s_addc_u32 s5, s25, s45
	s_load_dwordx2 s[24:25], s[4:5], 0x0
	s_add_u32 s4, s30, s44
	s_addc_u32 s5, s31, s45
	s_load_dwordx2 s[40:41], s[4:5], 0x0
	v_mov_b32_e32 v23, 0
	s_ashr_i32 s3, s2, 31
	s_ashr_i32 s43, s42, 31
	v_cmp_lt_i64_e64 s[4:5], s[12:13], 1
	v_and_b32_e32 v12, 0x3ff, v0
	v_bfe_u32 v22, v0, 10, 10
	v_mov_b32_e32 v13, v23
	s_lshl_b64 s[30:31], s[2:3], 5
	s_lshl_b64 s[2:3], s[42:43], 5
	s_and_b64 vcc, exec, s[4:5]
	v_mov_b32_e32 v21, v23
	v_mov_b32_e32 v20, v23
	;; [unrolled: 1-line block ×8, first 2 shown]
	s_cbranch_vccnz .LBB256_11
; %bb.1:
	v_lshl_add_u32 v8, v22, 4, v12
	v_mov_b32_e32 v25, 0
	s_load_dwordx4 s[4:7], s[0:1], 0x40
	v_lshrrev_b32_e32 v0, 3, v8
	v_mov_b32_e32 v1, v25
	v_and_b32_e32 v4, 31, v8
	v_lshrrev_b32_e32 v24, 5, v8
	v_and_b32_e32 v26, 7, v12
	v_lshl_add_u64 v[2:3], v[0:1], 0, s[2:3]
	v_lshlrev_b32_e32 v1, 3, v4
	s_add_u32 s0, s22, s44
	v_lshl_or_b32 v44, v24, 8, v1
	v_lshlrev_b32_e32 v1, 3, v26
	s_addc_u32 s1, s23, s45
	v_lshl_or_b32 v0, v0, 6, v1
	s_load_dwordx2 s[22:23], s[0:1], 0x0
	s_add_u32 s0, s16, s44
	v_add_u32_e32 v45, 0x800, v0
	v_mov_b32_e32 v0, 0x800
	s_addc_u32 s1, s17, s45
	v_lshl_add_u32 v47, v22, 6, v0
	s_waitcnt lgkmcnt(0)
	v_mad_u64_u32 v[0:1], s[44:45], s4, v26, 0
	s_load_dwordx2 s[16:17], s[0:1], 0x0
	v_cmp_gt_i64_e64 s[0:1], s[10:11], v[2:3]
	v_mov_b32_e32 v2, v1
	s_lshl_b64 s[42:43], s[42:43], 8
	s_lshl_b64 s[6:7], s[6:7], 3
	v_mad_u64_u32 v[2:3], s[44:45], s5, v26, v[2:3]
	s_add_u32 s6, s6, s42
	v_mov_b32_e32 v1, v2
	s_addc_u32 s7, s7, s43
	v_lshl_add_u64 v[0:1], v[0:1], 3, s[6:7]
	v_and_b32_e32 v2, 0x7ff8, v8
	v_mov_b32_e32 v3, v25
	v_mov_b32_e32 v5, v25
	v_lshl_add_u64 v[0:1], v[0:1], 0, v[2:3]
	v_lshl_add_u64 v[28:29], s[22:23], 0, v[0:1]
	;; [unrolled: 1-line block ×3, first 2 shown]
	v_mul_lo_u32 v2, s19, v0
	v_mul_lo_u32 v3, s18, v1
	v_mad_u64_u32 v[0:1], s[6:7], s18, v0, 0
	v_add3_u32 v1, v1, v3, v2
	s_lshl_b64 s[6:7], s[20:21], 3
	v_or_b32_e32 v6, s30, v4
	v_mov_b32_e32 v7, s31
	v_lshl_add_u64 v[0:1], v[0:1], 3, s[6:7]
	v_lshlrev_b32_e32 v2, 3, v24
	v_mov_b32_e32 v3, v25
	v_cmp_gt_i64_e32 vcc, s[8:9], v[6:7]
	v_lshl_add_u64 v[0:1], v[0:1], 0, v[2:3]
	v_mov_b32_e32 v27, v25
	v_lshlrev_b32_e32 v46, 3, v12
	s_lshl_b64 s[4:5], s[4:5], 6
	s_waitcnt lgkmcnt(0)
	v_lshl_add_u64 v[30:31], s[16:17], 0, v[0:1]
	s_mov_b64 s[6:7], 0
	s_xor_b64 s[16:17], vcc, -1
	s_xor_b64 s[0:1], s[0:1], -1
	v_mov_b64_e32 v[32:33], s[12:13]
	v_mov_b32_e32 v14, v25
	v_mov_b32_e32 v15, v25
	;; [unrolled: 1-line block ×8, first 2 shown]
	s_branch .LBB256_3
.LBB256_2:                              ;   in Loop: Header=BB256_3 Depth=1
	s_or_b64 exec, exec, s[18:19]
	ds_write_b32 v45, v0 offset:4
	s_waitcnt lgkmcnt(0)
	s_barrier
	ds_read2_b64 v[4:7], v46 offset1:16
	ds_read_b128 v[48:51], v47
	ds_read2_b64 v[8:11], v46 offset0:32 offset1:48
	ds_read_b128 v[0:3], v47 offset:16
	ds_read_b128 v[52:55], v47 offset:1024
	s_add_u32 s6, s6, 8
	s_waitcnt lgkmcnt(3)
	v_pk_mul_f32 v[36:37], v[48:49], v[4:5] op_sel:[0,1]
	v_pk_mul_f32 v[56:57], v[48:49], v[6:7] op_sel:[0,1]
	v_pk_fma_f32 v[34:35], v[48:49], v[4:5], v[36:37] op_sel:[0,0,1] op_sel_hi:[1,1,0] neg_lo:[0,0,1] neg_hi:[0,0,1]
	v_pk_fma_f32 v[36:37], v[48:49], v[4:5], v[36:37] op_sel:[0,0,1] op_sel_hi:[1,0,0]
	s_waitcnt lgkmcnt(2)
	v_pk_mul_f32 v[40:41], v[50:51], v[8:9] op_sel:[0,1]
	v_pk_fma_f32 v[42:43], v[48:49], v[6:7], v[56:57] op_sel:[0,0,1] op_sel_hi:[1,1,0] neg_lo:[0,0,1] neg_hi:[0,0,1]
	v_pk_fma_f32 v[68:69], v[48:49], v[6:7], v[56:57] op_sel:[0,0,1] op_sel_hi:[1,0,0]
	v_pk_mul_f32 v[48:49], v[50:51], v[10:11] op_sel:[0,1]
	v_pk_fma_f32 v[38:39], v[50:51], v[8:9], v[40:41] op_sel:[0,0,1] op_sel_hi:[1,1,0] neg_lo:[0,0,1] neg_hi:[0,0,1]
	v_pk_fma_f32 v[40:41], v[50:51], v[8:9], v[40:41] op_sel:[0,0,1] op_sel_hi:[1,0,0]
	v_pk_fma_f32 v[70:71], v[50:51], v[10:11], v[48:49] op_sel:[0,0,1] op_sel_hi:[1,1,0] neg_lo:[0,0,1] neg_hi:[0,0,1]
	v_pk_fma_f32 v[72:73], v[50:51], v[10:11], v[48:49] op_sel:[0,0,1] op_sel_hi:[1,0,0]
	ds_read_b128 v[48:51], v47 offset:1040
	s_waitcnt lgkmcnt(1)
	v_pk_mul_f32 v[56:57], v[52:53], v[4:5] op_sel:[0,1]
	v_mov_b32_e32 v43, v69
	v_pk_fma_f32 v[74:75], v[52:53], v[4:5], v[56:57] op_sel:[0,0,1] op_sel_hi:[1,1,0] neg_lo:[0,0,1] neg_hi:[0,0,1]
	v_pk_fma_f32 v[76:77], v[52:53], v[4:5], v[56:57] op_sel:[0,0,1] op_sel_hi:[1,0,0]
	v_pk_mul_f32 v[4:5], v[52:53], v[6:7] op_sel:[0,1]
	ds_read2_b64 v[56:59], v46 offset0:96 offset1:112
	v_pk_fma_f32 v[78:79], v[52:53], v[6:7], v[4:5] op_sel:[0,0,1] op_sel_hi:[1,1,0] neg_lo:[0,0,1] neg_hi:[0,0,1]
	v_pk_fma_f32 v[80:81], v[52:53], v[6:7], v[4:5] op_sel:[0,0,1] op_sel_hi:[1,0,0]
	v_pk_mul_f32 v[4:5], v[54:55], v[8:9] op_sel:[0,1]
	v_pk_add_f32 v[18:19], v[18:19], v[42:43]
	v_pk_fma_f32 v[82:83], v[54:55], v[8:9], v[4:5] op_sel:[0,0,1] op_sel_hi:[1,1,0] neg_lo:[0,0,1] neg_hi:[0,0,1]
	v_pk_fma_f32 v[84:85], v[54:55], v[8:9], v[4:5] op_sel:[0,0,1] op_sel_hi:[1,0,0]
	ds_read2_b64 v[4:7], v46 offset0:64 offset1:80
	v_pk_mul_f32 v[8:9], v[54:55], v[10:11] op_sel:[0,1]
	v_mov_b32_e32 v71, v73
	v_pk_fma_f32 v[86:87], v[54:55], v[10:11], v[8:9] op_sel:[0,0,1] op_sel_hi:[1,1,0] neg_lo:[0,0,1] neg_hi:[0,0,1]
	v_pk_fma_f32 v[88:89], v[54:55], v[10:11], v[8:9] op_sel:[0,0,1] op_sel_hi:[1,0,0]
	s_waitcnt lgkmcnt(0)
	v_pk_mul_f32 v[8:9], v[0:1], v[4:5] op_sel:[0,1]
	v_pk_mul_f32 v[60:61], v[0:1], v[6:7] op_sel:[0,1]
	v_pk_fma_f32 v[90:91], v[0:1], v[4:5], v[8:9] op_sel:[0,0,1] op_sel_hi:[1,1,0] neg_lo:[0,0,1] neg_hi:[0,0,1]
	v_pk_fma_f32 v[92:93], v[0:1], v[4:5], v[8:9] op_sel:[0,0,1] op_sel_hi:[1,0,0]
	v_pk_mul_f32 v[8:9], v[2:3], v[56:57] op_sel:[0,1]
	v_pk_fma_f32 v[98:99], v[0:1], v[6:7], v[60:61] op_sel:[0,0,1] op_sel_hi:[1,1,0] neg_lo:[0,0,1] neg_hi:[0,0,1]
	v_pk_fma_f32 v[94:95], v[2:3], v[56:57], v[8:9] op_sel:[0,0,1] op_sel_hi:[1,1,0] neg_lo:[0,0,1] neg_hi:[0,0,1]
	v_pk_fma_f32 v[96:97], v[2:3], v[56:57], v[8:9] op_sel:[0,0,1] op_sel_hi:[1,0,0]
	ds_read2_b64 v[8:11], v46 offset0:128 offset1:144
	ds_read_b128 v[52:55], v47 offset:32
	v_pk_fma_f32 v[100:101], v[0:1], v[6:7], v[60:61] op_sel:[0,0,1] op_sel_hi:[1,0,0]
	v_pk_mul_f32 v[0:1], v[2:3], v[58:59] op_sel:[0,1]
	v_pk_add_f32 v[18:19], v[18:19], v[70:71]
	v_pk_fma_f32 v[102:103], v[2:3], v[58:59], v[0:1] op_sel:[0,0,1] op_sel_hi:[1,1,0] neg_lo:[0,0,1] neg_hi:[0,0,1]
	s_waitcnt lgkmcnt(0)
	v_pk_mul_f32 v[60:61], v[52:53], v[8:9] op_sel:[0,1]
	v_pk_fma_f32 v[104:105], v[2:3], v[58:59], v[0:1] op_sel:[0,0,1] op_sel_hi:[1,0,0]
	v_pk_fma_f32 v[106:107], v[52:53], v[8:9], v[60:61] op_sel:[0,0,1] op_sel_hi:[1,1,0] neg_lo:[0,0,1] neg_hi:[0,0,1]
	v_pk_fma_f32 v[108:109], v[52:53], v[8:9], v[60:61] op_sel:[0,0,1] op_sel_hi:[1,0,0]
	ds_read2_b64 v[60:63], v46 offset0:160 offset1:176
	ds_read_b128 v[0:3], v47 offset:48
	v_mov_b32_e32 v99, v101
	v_pk_add_f32 v[18:19], v[18:19], v[98:99]
	v_mov_b32_e32 v103, v105
	s_waitcnt lgkmcnt(1)
	v_pk_mul_f32 v[64:65], v[54:55], v[60:61] op_sel:[0,1]
	v_pk_add_f32 v[18:19], v[18:19], v[102:103]
	v_pk_fma_f32 v[110:111], v[54:55], v[60:61], v[64:65] op_sel:[0,0,1] op_sel_hi:[1,1,0] neg_lo:[0,0,1] neg_hi:[0,0,1]
	v_pk_fma_f32 v[112:113], v[54:55], v[60:61], v[64:65] op_sel:[0,0,1] op_sel_hi:[1,0,0]
	v_pk_mul_f32 v[64:65], v[52:53], v[10:11] op_sel:[0,1]
	v_mov_b32_e32 v75, v77
	v_pk_fma_f32 v[114:115], v[52:53], v[10:11], v[64:65] op_sel:[0,0,1] op_sel_hi:[1,1,0] neg_lo:[0,0,1] neg_hi:[0,0,1]
	v_pk_fma_f32 v[116:117], v[52:53], v[10:11], v[64:65] op_sel:[0,0,1] op_sel_hi:[1,0,0]
	v_pk_mul_f32 v[52:53], v[54:55], v[62:63] op_sel:[0,1]
	v_mov_b32_e32 v115, v117
	v_pk_fma_f32 v[118:119], v[54:55], v[62:63], v[52:53] op_sel:[0,0,1] op_sel_hi:[1,1,0] neg_lo:[0,0,1] neg_hi:[0,0,1]
	v_pk_fma_f32 v[120:121], v[54:55], v[62:63], v[52:53] op_sel:[0,0,1] op_sel_hi:[1,0,0]
	ds_read2_b64 v[52:55], v46 offset0:192 offset1:208
	v_pk_add_f32 v[18:19], v[18:19], v[114:115]
	v_mov_b32_e32 v119, v121
	v_pk_add_f32 v[18:19], v[18:19], v[118:119]
	v_mov_b32_e32 v83, v85
	s_waitcnt lgkmcnt(0)
	v_pk_mul_f32 v[64:65], v[0:1], v[52:53] op_sel:[0,1]
	v_pk_mul_f32 v[130:131], v[0:1], v[54:55] op_sel:[0,1]
	v_pk_fma_f32 v[122:123], v[0:1], v[52:53], v[64:65] op_sel:[0,0,1] op_sel_hi:[1,1,0] neg_lo:[0,0,1] neg_hi:[0,0,1]
	v_pk_fma_f32 v[124:125], v[0:1], v[52:53], v[64:65] op_sel:[0,0,1] op_sel_hi:[1,0,0]
	ds_read2_b64 v[64:67], v46 offset0:224 offset1:240
	v_pk_fma_f32 v[132:133], v[0:1], v[54:55], v[130:131] op_sel:[0,0,1] op_sel_hi:[1,1,0] neg_lo:[0,0,1] neg_hi:[0,0,1]
	v_pk_fma_f32 v[0:1], v[0:1], v[54:55], v[130:131] op_sel:[0,0,1] op_sel_hi:[1,0,0]
	v_mov_b32_e32 v35, v37
	v_mov_b32_e32 v133, v1
	s_waitcnt lgkmcnt(0)
	v_pk_mul_f32 v[126:127], v[2:3], v[64:65] op_sel:[0,1]
	v_pk_mul_f32 v[130:131], v[2:3], v[66:67] op_sel:[0,1]
	v_pk_fma_f32 v[128:129], v[2:3], v[64:65], v[126:127] op_sel:[0,0,1] op_sel_hi:[1,1,0] neg_lo:[0,0,1] neg_hi:[0,0,1]
	v_pk_fma_f32 v[126:127], v[2:3], v[64:65], v[126:127] op_sel:[0,0,1] op_sel_hi:[1,0,0]
	v_pk_fma_f32 v[134:135], v[2:3], v[66:67], v[130:131] op_sel:[0,0,1] op_sel_hi:[1,1,0] neg_lo:[0,0,1] neg_hi:[0,0,1]
	v_pk_fma_f32 v[2:3], v[2:3], v[66:67], v[130:131] op_sel:[0,0,1] op_sel_hi:[1,0,0]
	v_pk_add_f32 v[0:1], v[18:19], v[132:133]
	v_mov_b32_e32 v135, v3
	v_pk_mul_f32 v[2:3], v[48:49], v[4:5] op_sel:[0,1]
	v_pk_add_f32 v[18:19], v[0:1], v[134:135]
	v_pk_add_f32 v[0:1], v[16:17], v[74:75]
	v_pk_fma_f32 v[16:17], v[48:49], v[4:5], v[2:3] op_sel:[0,0,1] op_sel_hi:[1,1,0] neg_lo:[0,0,1] neg_hi:[0,0,1]
	v_pk_fma_f32 v[2:3], v[48:49], v[4:5], v[2:3] op_sel:[0,0,1] op_sel_hi:[1,0,0]
	v_pk_add_f32 v[0:1], v[0:1], v[82:83]
	v_mov_b32_e32 v17, v3
	v_pk_add_f32 v[4:5], v[0:1], v[16:17]
	ds_read_b128 v[0:3], v47 offset:1056
	v_pk_mul_f32 v[16:17], v[50:51], v[56:57] op_sel:[0,1]
	v_pk_add_f32 v[20:21], v[20:21], v[34:35]
	v_pk_fma_f32 v[34:35], v[50:51], v[56:57], v[16:17] op_sel:[0,0,1] op_sel_hi:[1,1,0] neg_lo:[0,0,1] neg_hi:[0,0,1]
	v_pk_fma_f32 v[16:17], v[50:51], v[56:57], v[16:17] op_sel:[0,0,1] op_sel_hi:[1,0,0]
	v_mov_b32_e32 v39, v41
	v_mov_b32_e32 v35, v17
	v_pk_add_f32 v[4:5], v[4:5], v[34:35]
	ds_read_b128 v[34:37], v47 offset:1072
	s_waitcnt lgkmcnt(1)
	v_pk_mul_f32 v[16:17], v[0:1], v[8:9] op_sel:[0,1]
	v_pk_add_f32 v[20:21], v[20:21], v[38:39]
	v_pk_fma_f32 v[38:39], v[0:1], v[8:9], v[16:17] op_sel:[0,0,1] op_sel_hi:[1,1,0] neg_lo:[0,0,1] neg_hi:[0,0,1]
	v_pk_fma_f32 v[8:9], v[0:1], v[8:9], v[16:17] op_sel:[0,0,1] op_sel_hi:[1,0,0]
	v_mov_b32_e32 v79, v81
	v_mov_b32_e32 v39, v9
	v_pk_mul_f32 v[8:9], v[2:3], v[60:61] op_sel:[0,1]
	v_pk_add_f32 v[4:5], v[4:5], v[38:39]
	v_pk_fma_f32 v[16:17], v[2:3], v[60:61], v[8:9] op_sel:[0,0,1] op_sel_hi:[1,1,0] neg_lo:[0,0,1] neg_hi:[0,0,1]
	v_pk_fma_f32 v[8:9], v[2:3], v[60:61], v[8:9] op_sel:[0,0,1] op_sel_hi:[1,0,0]
	v_mov_b32_e32 v87, v89
	v_mov_b32_e32 v17, v9
	s_waitcnt lgkmcnt(0)
	v_pk_mul_f32 v[8:9], v[34:35], v[52:53] op_sel:[0,1]
	v_pk_add_f32 v[4:5], v[4:5], v[16:17]
	v_pk_fma_f32 v[16:17], v[34:35], v[52:53], v[8:9] op_sel:[0,0,1] op_sel_hi:[1,1,0] neg_lo:[0,0,1] neg_hi:[0,0,1]
	v_pk_fma_f32 v[8:9], v[34:35], v[52:53], v[8:9] op_sel:[0,0,1] op_sel_hi:[1,0,0]
	v_mov_b32_e32 v91, v93
	v_mov_b32_e32 v17, v9
	v_pk_mul_f32 v[8:9], v[36:37], v[64:65] op_sel:[0,1]
	v_pk_add_f32 v[4:5], v[4:5], v[16:17]
	v_pk_fma_f32 v[16:17], v[36:37], v[64:65], v[8:9] op_sel:[0,0,1] op_sel_hi:[1,1,0] neg_lo:[0,0,1] neg_hi:[0,0,1]
	v_pk_fma_f32 v[8:9], v[36:37], v[64:65], v[8:9] op_sel:[0,0,1] op_sel_hi:[1,0,0]
	v_pk_add_f32 v[20:21], v[20:21], v[90:91]
	v_mov_b32_e32 v17, v9
	v_pk_mul_f32 v[8:9], v[48:49], v[6:7] op_sel:[0,1]
	v_pk_add_f32 v[16:17], v[4:5], v[16:17]
	v_pk_add_f32 v[4:5], v[14:15], v[78:79]
	v_pk_fma_f32 v[14:15], v[48:49], v[6:7], v[8:9] op_sel:[0,0,1] op_sel_hi:[1,1,0] neg_lo:[0,0,1] neg_hi:[0,0,1]
	v_pk_fma_f32 v[6:7], v[48:49], v[6:7], v[8:9] op_sel:[0,0,1] op_sel_hi:[1,0,0]
	v_pk_add_f32 v[4:5], v[4:5], v[86:87]
	v_mov_b32_e32 v15, v7
	v_pk_mul_f32 v[6:7], v[50:51], v[58:59] op_sel:[0,1]
	v_pk_add_f32 v[4:5], v[4:5], v[14:15]
	v_pk_fma_f32 v[8:9], v[50:51], v[58:59], v[6:7] op_sel:[0,0,1] op_sel_hi:[1,1,0] neg_lo:[0,0,1] neg_hi:[0,0,1]
	v_pk_fma_f32 v[6:7], v[50:51], v[58:59], v[6:7] op_sel:[0,0,1] op_sel_hi:[1,0,0]
	v_mov_b32_e32 v95, v97
	v_mov_b32_e32 v9, v7
	v_pk_mul_f32 v[6:7], v[0:1], v[10:11] op_sel:[0,1]
	v_pk_add_f32 v[4:5], v[4:5], v[8:9]
	v_pk_fma_f32 v[8:9], v[0:1], v[10:11], v[6:7] op_sel:[0,0,1] op_sel_hi:[1,1,0] neg_lo:[0,0,1] neg_hi:[0,0,1]
	v_pk_fma_f32 v[0:1], v[0:1], v[10:11], v[6:7] op_sel:[0,0,1] op_sel_hi:[1,0,0]
	v_pk_add_f32 v[20:21], v[20:21], v[94:95]
	v_mov_b32_e32 v9, v1
	v_pk_add_f32 v[0:1], v[4:5], v[8:9]
	v_pk_mul_f32 v[4:5], v[2:3], v[62:63] op_sel:[0,1]
	v_mov_b32_e32 v107, v109
	v_pk_fma_f32 v[6:7], v[2:3], v[62:63], v[4:5] op_sel:[0,0,1] op_sel_hi:[1,1,0] neg_lo:[0,0,1] neg_hi:[0,0,1]
	v_pk_fma_f32 v[2:3], v[2:3], v[62:63], v[4:5] op_sel:[0,0,1] op_sel_hi:[1,0,0]
	v_pk_add_f32 v[20:21], v[20:21], v[106:107]
	v_mov_b32_e32 v7, v3
	v_pk_mul_f32 v[2:3], v[34:35], v[54:55] op_sel:[0,1]
	v_mov_b32_e32 v111, v113
	v_pk_fma_f32 v[4:5], v[34:35], v[54:55], v[2:3] op_sel:[0,0,1] op_sel_hi:[1,1,0] neg_lo:[0,0,1] neg_hi:[0,0,1]
	v_pk_fma_f32 v[2:3], v[34:35], v[54:55], v[2:3] op_sel:[0,0,1] op_sel_hi:[1,0,0]
	v_pk_add_f32 v[0:1], v[0:1], v[6:7]
	v_mov_b32_e32 v5, v3
	v_pk_mul_f32 v[2:3], v[36:37], v[66:67] op_sel:[0,1]
	v_pk_add_f32 v[20:21], v[20:21], v[110:111]
	v_mov_b32_e32 v123, v125
	v_pk_add_f32 v[0:1], v[0:1], v[4:5]
	v_pk_fma_f32 v[4:5], v[36:37], v[66:67], v[2:3] op_sel:[0,0,1] op_sel_hi:[1,1,0] neg_lo:[0,0,1] neg_hi:[0,0,1]
	v_pk_fma_f32 v[2:3], v[36:37], v[66:67], v[2:3] op_sel:[0,0,1] op_sel_hi:[1,0,0]
	s_addc_u32 s7, s7, 0
	v_pk_add_f32 v[20:21], v[20:21], v[122:123]
	v_mov_b32_e32 v129, v127
	v_mov_b32_e32 v5, v3
	v_cmp_lt_i64_e32 vcc, s[6:7], v[32:33]
	v_pk_add_f32 v[20:21], v[20:21], v[128:129]
	v_pk_add_f32 v[14:15], v[0:1], v[4:5]
	v_lshl_add_u64 v[28:29], v[28:29], 0, s[4:5]
	v_lshl_add_u64 v[30:31], v[30:31], 0, 64
	s_barrier
	s_cbranch_vccz .LBB256_11
.LBB256_3:                              ; =>This Inner Loop Header: Depth=1
	v_lshl_add_u64 v[0:1], v[24:25], 0, s[6:7]
	v_cmp_le_i64_e32 vcc, s[12:13], v[0:1]
	s_or_b64 s[18:19], s[16:17], vcc
	s_and_saveexec_b64 s[20:21], s[18:19]
	s_xor_b64 s[18:19], exec, s[20:21]
; %bb.4:                                ;   in Loop: Header=BB256_3 Depth=1
	ds_write_b32 v44, v25
; %bb.5:                                ;   in Loop: Header=BB256_3 Depth=1
	s_or_saveexec_b64 s[18:19], s[18:19]
	v_mov_b32_e32 v0, 0
	s_xor_b64 exec, exec, s[18:19]
	s_cbranch_execz .LBB256_7
; %bb.6:                                ;   in Loop: Header=BB256_3 Depth=1
	flat_load_dwordx2 v[2:3], v[30:31]
	s_waitcnt vmcnt(0) lgkmcnt(0)
	v_xor_b32_e32 v0, 0x80000000, v3
	ds_write_b32 v44, v2
.LBB256_7:                              ;   in Loop: Header=BB256_3 Depth=1
	s_or_b64 exec, exec, s[18:19]
	ds_write_b32 v44, v0 offset:4
	v_lshl_add_u64 v[0:1], v[26:27], 0, s[6:7]
	v_cmp_le_i64_e32 vcc, s[12:13], v[0:1]
	s_or_b64 s[18:19], vcc, s[0:1]
	s_and_saveexec_b64 s[20:21], s[18:19]
	s_xor_b64 s[18:19], exec, s[20:21]
; %bb.8:                                ;   in Loop: Header=BB256_3 Depth=1
	ds_write_b32 v45, v25
; %bb.9:                                ;   in Loop: Header=BB256_3 Depth=1
	s_or_saveexec_b64 s[18:19], s[18:19]
	v_mov_b32_e32 v0, 0
	s_xor_b64 exec, exec, s[18:19]
	s_cbranch_execz .LBB256_2
; %bb.10:                               ;   in Loop: Header=BB256_3 Depth=1
	flat_load_dwordx2 v[2:3], v[28:29]
	s_waitcnt vmcnt(0) lgkmcnt(0)
	v_xor_b32_e32 v0, 0x80000000, v3
	ds_write_b32 v45, v2
	s_branch .LBB256_2
.LBB256_11:
	s_lshl_b64 s[0:1], s[38:39], 3
	s_waitcnt lgkmcnt(0)
	s_add_u32 s6, s40, s0
	s_addc_u32 s7, s41, s1
	s_or_b32 s0, s34, s35
	v_lshl_add_u64 v[0:1], s[2:3], 0, v[22:23]
	s_bitset0_b32 s0, 31
	s_cmp_lg_u32 s0, 0
	v_cmp_gt_i64_e64 s[0:1], s[10:11], v[0:1]
	s_mov_b64 s[2:3], -1
	s_cbranch_scc1 .LBB256_23
; %bb.12:
	s_and_saveexec_b64 s[12:13], s[0:1]
	s_cbranch_execz .LBB256_22
; %bb.13:
	v_mul_lo_u32 v6, v1, s36
	v_mul_lo_u32 v7, v0, s37
	v_mad_u64_u32 v[4:5], s[2:3], v0, s36, 0
	v_add3_u32 v5, v5, v7, v6
	v_lshl_add_u64 v[2:3], s[30:31], 0, v[12:13]
	v_lshl_add_u64 v[4:5], v[4:5], 3, s[6:7]
	v_cmp_gt_i64_e32 vcc, s[8:9], v[2:3]
	s_mov_b32 s16, s14
	s_mov_b32 s17, s14
	;; [unrolled: 1-line block ×4, first 2 shown]
	v_lshl_add_u64 v[6:7], v[2:3], 3, v[4:5]
	s_and_saveexec_b64 s[2:3], vcc
	s_cbranch_execz .LBB256_15
; %bb.14:
	v_pk_mul_f32 v[8:9], v[20:21], s[18:19]
	s_nop 0
	v_pk_fma_f32 v[10:11], v[20:21], s[16:17], v[8:9] op_sel:[0,0,1] op_sel_hi:[1,1,0] neg_lo:[0,0,1] neg_hi:[0,0,1]
	v_pk_fma_f32 v[8:9], v[20:21], s[16:17], v[8:9] op_sel:[0,0,1] op_sel_hi:[1,1,0]
	s_nop 0
	v_mov_b32_e32 v11, v9
	flat_store_dwordx2 v[6:7], v[10:11]
.LBB256_15:
	s_or_b64 exec, exec, s[2:3]
	v_lshl_add_u64 v[8:9], v[2:3], 0, 16
	v_cmp_gt_i64_e64 s[2:3], s[8:9], v[8:9]
	s_and_saveexec_b64 s[4:5], s[2:3]
	s_cbranch_execz .LBB256_17
; %bb.16:
	v_pk_mul_f32 v[8:9], v[18:19], s[18:19]
	s_nop 0
	v_pk_fma_f32 v[10:11], v[18:19], s[16:17], v[8:9] op_sel:[0,0,1] op_sel_hi:[1,1,0] neg_lo:[0,0,1] neg_hi:[0,0,1]
	v_pk_fma_f32 v[8:9], v[18:19], s[16:17], v[8:9] op_sel:[0,0,1] op_sel_hi:[1,1,0]
	s_nop 0
	v_mov_b32_e32 v11, v9
	flat_store_dwordx2 v[6:7], v[10:11] offset:128
.LBB256_17:
	s_or_b64 exec, exec, s[4:5]
	v_lshl_add_u64 v[6:7], v[0:1], 0, 16
	v_cmp_gt_i64_e64 s[4:5], s[10:11], v[6:7]
	s_and_b64 exec, exec, s[4:5]
	s_cbranch_execz .LBB256_22
; %bb.18:
	s_lshl_b64 s[4:5], s[36:37], 7
	v_lshl_add_u64 v[4:5], v[4:5], 0, s[4:5]
	v_lshl_add_u64 v[2:3], v[2:3], 3, v[4:5]
	s_and_saveexec_b64 s[4:5], vcc
	s_cbranch_execz .LBB256_20
; %bb.19:
	v_pk_mul_f32 v[4:5], v[16:17], s[18:19]
	s_nop 0
	v_pk_fma_f32 v[6:7], v[16:17], s[16:17], v[4:5] op_sel:[0,0,1] op_sel_hi:[1,1,0] neg_lo:[0,0,1] neg_hi:[0,0,1]
	v_pk_fma_f32 v[4:5], v[16:17], s[16:17], v[4:5] op_sel:[0,0,1] op_sel_hi:[1,1,0]
	s_nop 0
	v_mov_b32_e32 v7, v5
	flat_store_dwordx2 v[2:3], v[6:7]
.LBB256_20:
	s_or_b64 exec, exec, s[4:5]
	s_and_b64 exec, exec, s[2:3]
	s_cbranch_execz .LBB256_22
; %bb.21:
	v_pk_mul_f32 v[4:5], v[14:15], s[18:19]
	s_nop 0
	v_pk_fma_f32 v[6:7], v[14:15], s[16:17], v[4:5] op_sel:[0,0,1] op_sel_hi:[1,1,0] neg_lo:[0,0,1] neg_hi:[0,0,1]
	v_pk_fma_f32 v[4:5], v[14:15], s[16:17], v[4:5] op_sel:[0,0,1] op_sel_hi:[1,1,0]
	s_nop 0
	v_mov_b32_e32 v7, v5
	flat_store_dwordx2 v[2:3], v[6:7] offset:128
.LBB256_22:
	s_or_b64 exec, exec, s[12:13]
	s_mov_b64 s[2:3], 0
.LBB256_23:
	s_andn2_b64 vcc, exec, s[2:3]
	s_cbranch_vccnz .LBB256_34
; %bb.24:
	s_and_saveexec_b64 s[2:3], s[0:1]
	s_cbranch_execz .LBB256_34
; %bb.25:
	s_lshl_b64 s[0:1], s[28:29], 3
	v_mul_lo_u32 v4, v1, s26
	v_mul_lo_u32 v5, v0, s27
	v_mad_u64_u32 v[2:3], s[2:3], v0, s26, 0
	s_add_u32 s0, s24, s0
	v_add3_u32 v3, v3, v5, v4
	v_mul_lo_u32 v6, v1, s36
	v_mul_lo_u32 v7, v0, s37
	v_mad_u64_u32 v[4:5], s[2:3], v0, s36, 0
	s_addc_u32 s1, s25, s1
	v_lshl_add_u64 v[8:9], s[30:31], 0, v[12:13]
	v_add3_u32 v5, v5, v7, v6
	v_cmp_gt_i64_e32 vcc, s[8:9], v[8:9]
	s_mov_b32 s4, s14
	s_mov_b32 s5, s14
	s_mov_b32 s14, s15
	s_mov_b32 s12, s34
	s_mov_b32 s13, s34
	s_mov_b32 s34, s35
	v_lshl_add_u64 v[6:7], v[2:3], 3, s[0:1]
	v_lshl_add_u64 v[4:5], v[4:5], 3, s[6:7]
	v_lshlrev_b64 v[2:3], 3, v[8:9]
	s_and_saveexec_b64 s[0:1], vcc
	s_cbranch_execz .LBB256_27
; %bb.26:
	v_lshl_add_u64 v[10:11], v[6:7], 0, v[2:3]
	flat_load_dwordx2 v[10:11], v[10:11]
	v_pk_mul_f32 v[22:23], v[20:21], s[14:15]
	v_lshl_add_u64 v[12:13], v[4:5], 0, v[2:3]
	v_pk_fma_f32 v[24:25], v[20:21], s[4:5], v[22:23] op_sel:[0,0,1] op_sel_hi:[1,1,0] neg_lo:[0,0,1] neg_hi:[0,0,1]
	v_pk_fma_f32 v[20:21], v[20:21], s[4:5], v[22:23] op_sel:[0,0,1] op_sel_hi:[1,1,0]
	s_nop 0
	v_mov_b32_e32 v25, v21
	s_waitcnt vmcnt(0) lgkmcnt(0)
	v_pk_mul_f32 v[20:21], v[10:11], s[34:35]
	s_nop 0
	v_pk_fma_f32 v[22:23], v[10:11], s[12:13], v[20:21] op_sel:[0,0,1] op_sel_hi:[1,1,0] neg_lo:[0,0,1] neg_hi:[0,0,1]
	v_pk_fma_f32 v[10:11], v[10:11], s[12:13], v[20:21] op_sel:[0,0,1] op_sel_hi:[1,1,0]
	s_nop 0
	v_mov_b32_e32 v23, v11
	v_pk_add_f32 v[10:11], v[24:25], v[22:23]
	flat_store_dwordx2 v[12:13], v[10:11]
.LBB256_27:
	s_or_b64 exec, exec, s[0:1]
	v_lshl_add_u64 v[8:9], v[8:9], 0, 16
	v_cmp_gt_i64_e64 s[0:1], s[8:9], v[8:9]
	s_and_saveexec_b64 s[2:3], s[0:1]
	s_cbranch_execz .LBB256_29
; %bb.28:
	v_lshl_add_u64 v[8:9], v[6:7], 0, v[2:3]
	flat_load_dwordx2 v[8:9], v[8:9] offset:128
	v_pk_mul_f32 v[12:13], v[18:19], s[14:15]
	v_lshl_add_u64 v[10:11], v[4:5], 0, v[2:3]
	v_pk_fma_f32 v[20:21], v[18:19], s[4:5], v[12:13] op_sel:[0,0,1] op_sel_hi:[1,1,0] neg_lo:[0,0,1] neg_hi:[0,0,1]
	v_pk_fma_f32 v[12:13], v[18:19], s[4:5], v[12:13] op_sel:[0,0,1] op_sel_hi:[1,1,0]
	s_nop 0
	v_mov_b32_e32 v21, v13
	s_waitcnt vmcnt(0) lgkmcnt(0)
	v_pk_mul_f32 v[12:13], v[8:9], s[34:35]
	s_nop 0
	v_pk_fma_f32 v[18:19], v[8:9], s[12:13], v[12:13] op_sel:[0,0,1] op_sel_hi:[1,1,0] neg_lo:[0,0,1] neg_hi:[0,0,1]
	v_pk_fma_f32 v[8:9], v[8:9], s[12:13], v[12:13] op_sel:[0,0,1] op_sel_hi:[1,1,0]
	s_nop 0
	v_mov_b32_e32 v19, v9
	v_pk_add_f32 v[8:9], v[20:21], v[18:19]
	flat_store_dwordx2 v[10:11], v[8:9] offset:128
.LBB256_29:
	s_or_b64 exec, exec, s[2:3]
	v_lshl_add_u64 v[0:1], v[0:1], 0, 16
	v_cmp_gt_i64_e64 s[2:3], s[10:11], v[0:1]
	s_and_b64 exec, exec, s[2:3]
	s_cbranch_execz .LBB256_34
; %bb.30:
	s_lshl_b64 s[2:3], s[26:27], 7
	v_lshl_add_u64 v[0:1], v[6:7], 0, s[2:3]
	s_lshl_b64 s[2:3], s[36:37], 7
	v_lshl_add_u64 v[6:7], v[4:5], 0, s[2:3]
	v_lshl_add_u64 v[4:5], v[0:1], 0, v[2:3]
	v_lshl_add_u64 v[0:1], v[6:7], 0, v[2:3]
	s_and_saveexec_b64 s[2:3], vcc
	s_cbranch_execz .LBB256_32
; %bb.31:
	flat_load_dwordx2 v[2:3], v[4:5]
	v_pk_mul_f32 v[6:7], v[16:17], s[14:15]
	s_nop 0
	v_pk_fma_f32 v[8:9], v[16:17], s[4:5], v[6:7] op_sel:[0,0,1] op_sel_hi:[1,1,0] neg_lo:[0,0,1] neg_hi:[0,0,1]
	v_pk_fma_f32 v[6:7], v[16:17], s[4:5], v[6:7] op_sel:[0,0,1] op_sel_hi:[1,1,0]
	s_nop 0
	v_mov_b32_e32 v9, v7
	s_waitcnt vmcnt(0) lgkmcnt(0)
	v_pk_mul_f32 v[6:7], v[2:3], s[34:35]
	s_nop 0
	v_pk_fma_f32 v[10:11], v[2:3], s[12:13], v[6:7] op_sel:[0,0,1] op_sel_hi:[1,1,0] neg_lo:[0,0,1] neg_hi:[0,0,1]
	v_pk_fma_f32 v[2:3], v[2:3], s[12:13], v[6:7] op_sel:[0,0,1] op_sel_hi:[1,1,0]
	s_nop 0
	v_mov_b32_e32 v11, v3
	v_pk_add_f32 v[2:3], v[8:9], v[10:11]
	flat_store_dwordx2 v[0:1], v[2:3]
.LBB256_32:
	s_or_b64 exec, exec, s[2:3]
	s_and_b64 exec, exec, s[0:1]
	s_cbranch_execz .LBB256_34
; %bb.33:
	flat_load_dwordx2 v[2:3], v[4:5] offset:128
	v_pk_mul_f32 v[4:5], v[14:15], s[14:15]
	s_nop 0
	v_pk_fma_f32 v[6:7], v[14:15], s[4:5], v[4:5] op_sel:[0,0,1] op_sel_hi:[1,1,0] neg_lo:[0,0,1] neg_hi:[0,0,1]
	v_pk_fma_f32 v[4:5], v[14:15], s[4:5], v[4:5] op_sel:[0,0,1] op_sel_hi:[1,1,0]
	s_nop 0
	v_mov_b32_e32 v7, v5
	s_waitcnt vmcnt(0) lgkmcnt(0)
	v_pk_mul_f32 v[4:5], v[2:3], s[34:35]
	s_nop 0
	v_pk_fma_f32 v[8:9], v[2:3], s[12:13], v[4:5] op_sel:[0,0,1] op_sel_hi:[1,1,0] neg_lo:[0,0,1] neg_hi:[0,0,1]
	v_pk_fma_f32 v[2:3], v[2:3], s[12:13], v[4:5] op_sel:[0,0,1] op_sel_hi:[1,1,0]
	s_nop 0
	v_mov_b32_e32 v9, v3
	v_pk_add_f32 v[2:3], v[6:7], v[8:9]
	flat_store_dwordx2 v[0:1], v[2:3] offset:128
.LBB256_34:
	s_endpgm
	.section	.rodata,"a",@progbits
	.p2align	6, 0x0
	.amdhsa_kernel _ZN12_GLOBAL__N_135rocblas_gemm_batched_general_kernelI19rocblas_complex_numIfELi16ELi16ELi32ELi32ELi8ELi32ELi8ELi8ELi32ELc67ELc67EKPKS2_S5_KPS2_EEvlllT_PT11_llSA_llS8_PT12_llPT13_lli
		.amdhsa_group_segment_fixed_size 4096
		.amdhsa_private_segment_fixed_size 0
		.amdhsa_kernarg_size 140
		.amdhsa_user_sgpr_count 2
		.amdhsa_user_sgpr_dispatch_ptr 0
		.amdhsa_user_sgpr_queue_ptr 0
		.amdhsa_user_sgpr_kernarg_segment_ptr 1
		.amdhsa_user_sgpr_dispatch_id 0
		.amdhsa_user_sgpr_kernarg_preload_length 0
		.amdhsa_user_sgpr_kernarg_preload_offset 0
		.amdhsa_user_sgpr_private_segment_size 0
		.amdhsa_uses_dynamic_stack 0
		.amdhsa_enable_private_segment 0
		.amdhsa_system_sgpr_workgroup_id_x 1
		.amdhsa_system_sgpr_workgroup_id_y 1
		.amdhsa_system_sgpr_workgroup_id_z 1
		.amdhsa_system_sgpr_workgroup_info 0
		.amdhsa_system_vgpr_workitem_id 1
		.amdhsa_next_free_vgpr 136
		.amdhsa_next_free_sgpr 46
		.amdhsa_accum_offset 136
		.amdhsa_reserve_vcc 1
		.amdhsa_float_round_mode_32 0
		.amdhsa_float_round_mode_16_64 0
		.amdhsa_float_denorm_mode_32 3
		.amdhsa_float_denorm_mode_16_64 3
		.amdhsa_dx10_clamp 1
		.amdhsa_ieee_mode 1
		.amdhsa_fp16_overflow 0
		.amdhsa_tg_split 0
		.amdhsa_exception_fp_ieee_invalid_op 0
		.amdhsa_exception_fp_denorm_src 0
		.amdhsa_exception_fp_ieee_div_zero 0
		.amdhsa_exception_fp_ieee_overflow 0
		.amdhsa_exception_fp_ieee_underflow 0
		.amdhsa_exception_fp_ieee_inexact 0
		.amdhsa_exception_int_div_zero 0
	.end_amdhsa_kernel
	.section	.text._ZN12_GLOBAL__N_135rocblas_gemm_batched_general_kernelI19rocblas_complex_numIfELi16ELi16ELi32ELi32ELi8ELi32ELi8ELi8ELi32ELc67ELc67EKPKS2_S5_KPS2_EEvlllT_PT11_llSA_llS8_PT12_llPT13_lli,"axG",@progbits,_ZN12_GLOBAL__N_135rocblas_gemm_batched_general_kernelI19rocblas_complex_numIfELi16ELi16ELi32ELi32ELi8ELi32ELi8ELi8ELi32ELc67ELc67EKPKS2_S5_KPS2_EEvlllT_PT11_llSA_llS8_PT12_llPT13_lli,comdat
.Lfunc_end256:
	.size	_ZN12_GLOBAL__N_135rocblas_gemm_batched_general_kernelI19rocblas_complex_numIfELi16ELi16ELi32ELi32ELi8ELi32ELi8ELi8ELi32ELc67ELc67EKPKS2_S5_KPS2_EEvlllT_PT11_llSA_llS8_PT12_llPT13_lli, .Lfunc_end256-_ZN12_GLOBAL__N_135rocblas_gemm_batched_general_kernelI19rocblas_complex_numIfELi16ELi16ELi32ELi32ELi8ELi32ELi8ELi8ELi32ELc67ELc67EKPKS2_S5_KPS2_EEvlllT_PT11_llSA_llS8_PT12_llPT13_lli
                                        ; -- End function
	.set _ZN12_GLOBAL__N_135rocblas_gemm_batched_general_kernelI19rocblas_complex_numIfELi16ELi16ELi32ELi32ELi8ELi32ELi8ELi8ELi32ELc67ELc67EKPKS2_S5_KPS2_EEvlllT_PT11_llSA_llS8_PT12_llPT13_lli.num_vgpr, 136
	.set _ZN12_GLOBAL__N_135rocblas_gemm_batched_general_kernelI19rocblas_complex_numIfELi16ELi16ELi32ELi32ELi8ELi32ELi8ELi8ELi32ELc67ELc67EKPKS2_S5_KPS2_EEvlllT_PT11_llSA_llS8_PT12_llPT13_lli.num_agpr, 0
	.set _ZN12_GLOBAL__N_135rocblas_gemm_batched_general_kernelI19rocblas_complex_numIfELi16ELi16ELi32ELi32ELi8ELi32ELi8ELi8ELi32ELc67ELc67EKPKS2_S5_KPS2_EEvlllT_PT11_llSA_llS8_PT12_llPT13_lli.numbered_sgpr, 46
	.set _ZN12_GLOBAL__N_135rocblas_gemm_batched_general_kernelI19rocblas_complex_numIfELi16ELi16ELi32ELi32ELi8ELi32ELi8ELi8ELi32ELc67ELc67EKPKS2_S5_KPS2_EEvlllT_PT11_llSA_llS8_PT12_llPT13_lli.num_named_barrier, 0
	.set _ZN12_GLOBAL__N_135rocblas_gemm_batched_general_kernelI19rocblas_complex_numIfELi16ELi16ELi32ELi32ELi8ELi32ELi8ELi8ELi32ELc67ELc67EKPKS2_S5_KPS2_EEvlllT_PT11_llSA_llS8_PT12_llPT13_lli.private_seg_size, 0
	.set _ZN12_GLOBAL__N_135rocblas_gemm_batched_general_kernelI19rocblas_complex_numIfELi16ELi16ELi32ELi32ELi8ELi32ELi8ELi8ELi32ELc67ELc67EKPKS2_S5_KPS2_EEvlllT_PT11_llSA_llS8_PT12_llPT13_lli.uses_vcc, 1
	.set _ZN12_GLOBAL__N_135rocblas_gemm_batched_general_kernelI19rocblas_complex_numIfELi16ELi16ELi32ELi32ELi8ELi32ELi8ELi8ELi32ELc67ELc67EKPKS2_S5_KPS2_EEvlllT_PT11_llSA_llS8_PT12_llPT13_lli.uses_flat_scratch, 0
	.set _ZN12_GLOBAL__N_135rocblas_gemm_batched_general_kernelI19rocblas_complex_numIfELi16ELi16ELi32ELi32ELi8ELi32ELi8ELi8ELi32ELc67ELc67EKPKS2_S5_KPS2_EEvlllT_PT11_llSA_llS8_PT12_llPT13_lli.has_dyn_sized_stack, 0
	.set _ZN12_GLOBAL__N_135rocblas_gemm_batched_general_kernelI19rocblas_complex_numIfELi16ELi16ELi32ELi32ELi8ELi32ELi8ELi8ELi32ELc67ELc67EKPKS2_S5_KPS2_EEvlllT_PT11_llSA_llS8_PT12_llPT13_lli.has_recursion, 0
	.set _ZN12_GLOBAL__N_135rocblas_gemm_batched_general_kernelI19rocblas_complex_numIfELi16ELi16ELi32ELi32ELi8ELi32ELi8ELi8ELi32ELc67ELc67EKPKS2_S5_KPS2_EEvlllT_PT11_llSA_llS8_PT12_llPT13_lli.has_indirect_call, 0
	.section	.AMDGPU.csdata,"",@progbits
; Kernel info:
; codeLenInByte = 3216
; TotalNumSgprs: 52
; NumVgprs: 136
; NumAgprs: 0
; TotalNumVgprs: 136
; ScratchSize: 0
; MemoryBound: 0
; FloatMode: 240
; IeeeMode: 1
; LDSByteSize: 4096 bytes/workgroup (compile time only)
; SGPRBlocks: 6
; VGPRBlocks: 16
; NumSGPRsForWavesPerEU: 52
; NumVGPRsForWavesPerEU: 136
; AccumOffset: 136
; Occupancy: 3
; WaveLimiterHint : 1
; COMPUTE_PGM_RSRC2:SCRATCH_EN: 0
; COMPUTE_PGM_RSRC2:USER_SGPR: 2
; COMPUTE_PGM_RSRC2:TRAP_HANDLER: 0
; COMPUTE_PGM_RSRC2:TGID_X_EN: 1
; COMPUTE_PGM_RSRC2:TGID_Y_EN: 1
; COMPUTE_PGM_RSRC2:TGID_Z_EN: 1
; COMPUTE_PGM_RSRC2:TIDIG_COMP_CNT: 1
; COMPUTE_PGM_RSRC3_GFX90A:ACCUM_OFFSET: 33
; COMPUTE_PGM_RSRC3_GFX90A:TG_SPLIT: 0
	.section	.text._ZN12_GLOBAL__N_135rocblas_gemm_batched_general_kernelI19rocblas_complex_numIfELi16ELi16ELi32ELi32ELi8ELi32ELi8ELi8ELi32ELc67ELc78EKPKS2_S5_KPS2_EEvlllT_PT11_llSA_llS8_PT12_llPT13_lli,"axG",@progbits,_ZN12_GLOBAL__N_135rocblas_gemm_batched_general_kernelI19rocblas_complex_numIfELi16ELi16ELi32ELi32ELi8ELi32ELi8ELi8ELi32ELc67ELc78EKPKS2_S5_KPS2_EEvlllT_PT11_llSA_llS8_PT12_llPT13_lli,comdat
	.globl	_ZN12_GLOBAL__N_135rocblas_gemm_batched_general_kernelI19rocblas_complex_numIfELi16ELi16ELi32ELi32ELi8ELi32ELi8ELi8ELi32ELc67ELc78EKPKS2_S5_KPS2_EEvlllT_PT11_llSA_llS8_PT12_llPT13_lli ; -- Begin function _ZN12_GLOBAL__N_135rocblas_gemm_batched_general_kernelI19rocblas_complex_numIfELi16ELi16ELi32ELi32ELi8ELi32ELi8ELi8ELi32ELc67ELc78EKPKS2_S5_KPS2_EEvlllT_PT11_llSA_llS8_PT12_llPT13_lli
	.p2align	8
	.type	_ZN12_GLOBAL__N_135rocblas_gemm_batched_general_kernelI19rocblas_complex_numIfELi16ELi16ELi32ELi32ELi8ELi32ELi8ELi8ELi32ELc67ELc78EKPKS2_S5_KPS2_EEvlllT_PT11_llSA_llS8_PT12_llPT13_lli,@function
_ZN12_GLOBAL__N_135rocblas_gemm_batched_general_kernelI19rocblas_complex_numIfELi16ELi16ELi32ELi32ELi8ELi32ELi8ELi8ELi32ELc67ELc78EKPKS2_S5_KPS2_EEvlllT_PT11_llSA_llS8_PT12_llPT13_lli: ; @_ZN12_GLOBAL__N_135rocblas_gemm_batched_general_kernelI19rocblas_complex_numIfELi16ELi16ELi32ELi32ELi8ELi32ELi8ELi8ELi32ELc67ELc78EKPKS2_S5_KPS2_EEvlllT_PT11_llSA_llS8_PT12_llPT13_lli
; %bb.0:
	s_load_dwordx16 s[8:23], s[0:1], 0x0
	s_load_dwordx4 s[36:39], s[0:1], 0x78
	s_load_dwordx8 s[24:31], s[0:1], 0x58
	s_load_dwordx2 s[6:7], s[0:1], 0x50
	s_mov_b32 s5, 0
	s_lshl_b64 s[34:35], s[4:5], 3
	s_mov_b32 s40, s3
	s_waitcnt lgkmcnt(0)
	s_add_u32 s4, s24, s34
	s_addc_u32 s5, s25, s35
	s_load_dwordx2 s[24:25], s[4:5], 0x0
	s_add_u32 s4, s30, s34
	s_addc_u32 s5, s31, s35
	s_load_dwordx2 s[4:5], s[4:5], 0x0
	s_ashr_i32 s3, s2, 31
	s_ashr_i32 s41, s40, 31
	v_mov_b32_e32 v23, 0
	s_lshl_b64 s[30:31], s[2:3], 5
	s_lshl_b64 s[2:3], s[40:41], 5
	v_cmp_lt_i64_e64 s[40:41], s[12:13], 1
	v_and_b32_e32 v12, 0x3ff, v0
	v_bfe_u32 v22, v0, 10, 10
	v_mov_b32_e32 v13, v23
	s_and_b64 vcc, exec, s[40:41]
	v_mov_b32_e32 v21, v23
	v_mov_b32_e32 v20, v23
	;; [unrolled: 1-line block ×8, first 2 shown]
	s_cbranch_vccnz .LBB257_9
; %bb.1:
	v_lshl_add_u32 v4, v22, 4, v12
	s_load_dwordx4 s[40:43], s[0:1], 0x40
	v_lshrrev_b32_e32 v24, 5, v4
	v_lshrrev_b32_e32 v0, 3, v4
	v_and_b32_e32 v4, 31, v4
	v_mov_b32_e32 v25, 0
	v_and_b32_e32 v26, 7, v12
	s_add_u32 s0, s22, s34
	v_or_b32_e32 v6, s30, v4
	v_mov_b32_e32 v7, s31
	s_addc_u32 s1, s23, s35
	v_mov_b32_e32 v1, v25
	v_cmp_gt_i64_e32 vcc, s[8:9], v[6:7]
	v_lshlrev_b32_e32 v6, 3, v26
	s_load_dwordx2 s[22:23], s[0:1], 0x0
	s_add_u32 s0, s16, s34
	v_lshl_add_u64 v[2:3], v[0:1], 0, s[2:3]
	v_lshl_or_b32 v0, v0, 6, v6
	s_addc_u32 s1, s17, s35
	v_lshlrev_b32_e32 v1, 3, v4
	v_add_u32_e32 v45, 0x800, v0
	v_mov_b32_e32 v0, 0x800
	s_load_dwordx2 s[16:17], s[0:1], 0x0
	v_lshl_or_b32 v44, v24, 8, v1
	v_cmp_gt_i64_e64 s[0:1], s[10:11], v[2:3]
	v_lshl_add_u32 v47, v22, 6, v0
	s_waitcnt lgkmcnt(0)
	v_mul_lo_u32 v7, s41, v2
	v_mul_lo_u32 v3, s40, v3
	v_mad_u64_u32 v[0:1], s[34:35], s40, v2, 0
	v_add3_u32 v1, v1, v3, v7
	s_lshl_b64 s[34:35], s[42:43], 3
	v_lshl_add_u64 v[0:1], v[0:1], 3, s[34:35]
	v_mov_b32_e32 v7, v25
	v_mov_b32_e32 v5, v25
	v_lshl_add_u64 v[0:1], v[0:1], 0, v[6:7]
	v_lshl_add_u64 v[28:29], s[22:23], 0, v[0:1]
	v_lshl_add_u64 v[0:1], s[30:31], 0, v[4:5]
	v_mul_lo_u32 v2, s19, v0
	v_mul_lo_u32 v3, s18, v1
	v_mad_u64_u32 v[0:1], s[18:19], s18, v0, 0
	v_add3_u32 v1, v1, v3, v2
	s_lshl_b64 s[18:19], s[20:21], 3
	v_lshl_add_u64 v[0:1], v[0:1], 3, s[18:19]
	v_lshlrev_b32_e32 v2, 3, v24
	v_mov_b32_e32 v3, v25
	v_lshl_add_u64 v[0:1], v[0:1], 0, v[2:3]
	v_mov_b32_e32 v27, v25
	v_lshlrev_b32_e32 v46, 3, v12
	v_lshl_add_u64 v[30:31], s[16:17], 0, v[0:1]
	s_mov_b64 s[16:17], 0
	s_xor_b64 s[18:19], vcc, -1
	v_mov_b64_e32 v[32:33], s[12:13]
	v_mov_b32_e32 v14, v25
	v_mov_b32_e32 v15, v25
	;; [unrolled: 1-line block ×8, first 2 shown]
	s_branch .LBB257_3
.LBB257_2:                              ;   in Loop: Header=BB257_3 Depth=1
	s_or_b64 exec, exec, s[20:21]
	s_waitcnt vmcnt(0) lgkmcnt(0)
	ds_write_b64 v45, v[2:3]
	s_waitcnt lgkmcnt(0)
	s_barrier
	ds_read2_b64 v[4:7], v46 offset1:16
	ds_read_b128 v[48:51], v47
	ds_read2_b64 v[8:11], v46 offset0:32 offset1:48
	ds_read_b128 v[0:3], v47 offset:16
	ds_read_b128 v[52:55], v47 offset:1024
	s_add_u32 s16, s16, 8
	s_waitcnt lgkmcnt(3)
	v_pk_mul_f32 v[36:37], v[48:49], v[4:5] op_sel:[0,1]
	v_pk_mul_f32 v[56:57], v[48:49], v[6:7] op_sel:[0,1]
	v_pk_fma_f32 v[34:35], v[48:49], v[4:5], v[36:37] op_sel:[0,0,1] op_sel_hi:[1,1,0] neg_lo:[0,0,1] neg_hi:[0,0,1]
	v_pk_fma_f32 v[36:37], v[48:49], v[4:5], v[36:37] op_sel:[0,0,1] op_sel_hi:[1,0,0]
	s_waitcnt lgkmcnt(2)
	v_pk_mul_f32 v[40:41], v[50:51], v[8:9] op_sel:[0,1]
	v_pk_fma_f32 v[42:43], v[48:49], v[6:7], v[56:57] op_sel:[0,0,1] op_sel_hi:[1,1,0] neg_lo:[0,0,1] neg_hi:[0,0,1]
	v_pk_fma_f32 v[72:73], v[48:49], v[6:7], v[56:57] op_sel:[0,0,1] op_sel_hi:[1,0,0]
	v_pk_mul_f32 v[48:49], v[50:51], v[10:11] op_sel:[0,1]
	v_pk_fma_f32 v[38:39], v[50:51], v[8:9], v[40:41] op_sel:[0,0,1] op_sel_hi:[1,1,0] neg_lo:[0,0,1] neg_hi:[0,0,1]
	v_pk_fma_f32 v[40:41], v[50:51], v[8:9], v[40:41] op_sel:[0,0,1] op_sel_hi:[1,0,0]
	v_pk_fma_f32 v[74:75], v[50:51], v[10:11], v[48:49] op_sel:[0,0,1] op_sel_hi:[1,1,0] neg_lo:[0,0,1] neg_hi:[0,0,1]
	v_pk_fma_f32 v[76:77], v[50:51], v[10:11], v[48:49] op_sel:[0,0,1] op_sel_hi:[1,0,0]
	ds_read_b128 v[48:51], v47 offset:1040
	s_waitcnt lgkmcnt(1)
	v_pk_mul_f32 v[56:57], v[52:53], v[4:5] op_sel:[0,1]
	v_mov_b32_e32 v35, v37
	v_pk_fma_f32 v[78:79], v[52:53], v[4:5], v[56:57] op_sel:[0,0,1] op_sel_hi:[1,1,0] neg_lo:[0,0,1] neg_hi:[0,0,1]
	v_pk_fma_f32 v[80:81], v[52:53], v[4:5], v[56:57] op_sel:[0,0,1] op_sel_hi:[1,0,0]
	v_pk_mul_f32 v[4:5], v[52:53], v[6:7] op_sel:[0,1]
	ds_read2_b64 v[56:59], v46 offset0:96 offset1:112
	v_pk_fma_f32 v[82:83], v[52:53], v[6:7], v[4:5] op_sel:[0,0,1] op_sel_hi:[1,1,0] neg_lo:[0,0,1] neg_hi:[0,0,1]
	v_pk_fma_f32 v[84:85], v[52:53], v[6:7], v[4:5] op_sel:[0,0,1] op_sel_hi:[1,0,0]
	v_pk_mul_f32 v[4:5], v[54:55], v[8:9] op_sel:[0,1]
	v_pk_add_f32 v[20:21], v[20:21], v[34:35]
	v_pk_fma_f32 v[86:87], v[54:55], v[8:9], v[4:5] op_sel:[0,0,1] op_sel_hi:[1,1,0] neg_lo:[0,0,1] neg_hi:[0,0,1]
	v_pk_fma_f32 v[88:89], v[54:55], v[8:9], v[4:5] op_sel:[0,0,1] op_sel_hi:[1,0,0]
	ds_read2_b64 v[4:7], v46 offset0:64 offset1:80
	v_pk_mul_f32 v[8:9], v[54:55], v[10:11] op_sel:[0,1]
	v_mov_b32_e32 v79, v81
	v_pk_fma_f32 v[90:91], v[54:55], v[10:11], v[8:9] op_sel:[0,0,1] op_sel_hi:[1,1,0] neg_lo:[0,0,1] neg_hi:[0,0,1]
	v_pk_fma_f32 v[92:93], v[54:55], v[10:11], v[8:9] op_sel:[0,0,1] op_sel_hi:[1,0,0]
	s_waitcnt lgkmcnt(0)
	v_pk_mul_f32 v[8:9], v[0:1], v[4:5] op_sel:[0,1]
	v_pk_mul_f32 v[60:61], v[0:1], v[6:7] op_sel:[0,1]
	v_pk_fma_f32 v[94:95], v[0:1], v[4:5], v[8:9] op_sel:[0,0,1] op_sel_hi:[1,1,0] neg_lo:[0,0,1] neg_hi:[0,0,1]
	v_pk_fma_f32 v[96:97], v[0:1], v[4:5], v[8:9] op_sel:[0,0,1] op_sel_hi:[1,0,0]
	v_pk_mul_f32 v[8:9], v[2:3], v[56:57] op_sel:[0,1]
	v_pk_mul_f32 v[34:35], v[48:49], v[4:5] op_sel:[0,1]
	v_pk_fma_f32 v[98:99], v[2:3], v[56:57], v[8:9] op_sel:[0,0,1] op_sel_hi:[1,1,0] neg_lo:[0,0,1] neg_hi:[0,0,1]
	v_pk_fma_f32 v[100:101], v[2:3], v[56:57], v[8:9] op_sel:[0,0,1] op_sel_hi:[1,0,0]
	ds_read2_b64 v[8:11], v46 offset0:128 offset1:144
	ds_read_b128 v[52:55], v47 offset:32
	v_pk_fma_f32 v[102:103], v[0:1], v[6:7], v[60:61] op_sel:[0,0,1] op_sel_hi:[1,1,0] neg_lo:[0,0,1] neg_hi:[0,0,1]
	v_pk_fma_f32 v[104:105], v[0:1], v[6:7], v[60:61] op_sel:[0,0,1] op_sel_hi:[1,0,0]
	v_pk_mul_f32 v[0:1], v[2:3], v[58:59] op_sel:[0,1]
	v_pk_add_f32 v[16:17], v[16:17], v[78:79]
	v_mov_b32_e32 v87, v89
	v_pk_fma_f32 v[36:37], v[48:49], v[4:5], v[34:35] op_sel:[0,0,1] op_sel_hi:[1,1,0] neg_lo:[0,0,1] neg_hi:[0,0,1]
	v_pk_fma_f32 v[4:5], v[48:49], v[4:5], v[34:35] op_sel:[0,0,1] op_sel_hi:[1,0,0]
	v_pk_fma_f32 v[106:107], v[2:3], v[58:59], v[0:1] op_sel:[0,0,1] op_sel_hi:[1,1,0] neg_lo:[0,0,1] neg_hi:[0,0,1]
	v_pk_fma_f32 v[108:109], v[2:3], v[58:59], v[0:1] op_sel:[0,0,1] op_sel_hi:[1,0,0]
	ds_read2_b64 v[0:3], v46 offset0:160 offset1:176
	ds_read_b128 v[60:63], v47 offset:48
	v_pk_add_f32 v[16:17], v[16:17], v[86:87]
	v_mov_b32_e32 v37, v5
	v_pk_add_f32 v[4:5], v[16:17], v[36:37]
	ds_read_b128 v[34:37], v47 offset:1056
	s_waitcnt lgkmcnt(3)
	v_pk_mul_f32 v[64:65], v[52:53], v[8:9] op_sel:[0,1]
	v_mov_b32_e32 v39, v41
	v_pk_mul_f32 v[16:17], v[50:51], v[56:57] op_sel:[0,1]
	v_pk_fma_f32 v[110:111], v[52:53], v[8:9], v[64:65] op_sel:[0,0,1] op_sel_hi:[1,1,0] neg_lo:[0,0,1] neg_hi:[0,0,1]
	v_pk_fma_f32 v[112:113], v[52:53], v[8:9], v[64:65] op_sel:[0,0,1] op_sel_hi:[1,0,0]
	s_waitcnt lgkmcnt(2)
	v_pk_mul_f32 v[64:65], v[54:55], v[0:1] op_sel:[0,1]
	v_pk_add_f32 v[20:21], v[20:21], v[38:39]
	v_pk_fma_f32 v[38:39], v[50:51], v[56:57], v[16:17] op_sel:[0,0,1] op_sel_hi:[1,1,0] neg_lo:[0,0,1] neg_hi:[0,0,1]
	v_pk_fma_f32 v[16:17], v[50:51], v[56:57], v[16:17] op_sel:[0,0,1] op_sel_hi:[1,0,0]
	v_pk_fma_f32 v[114:115], v[54:55], v[0:1], v[64:65] op_sel:[0,0,1] op_sel_hi:[1,1,0] neg_lo:[0,0,1] neg_hi:[0,0,1]
	v_pk_fma_f32 v[116:117], v[54:55], v[0:1], v[64:65] op_sel:[0,0,1] op_sel_hi:[1,0,0]
	v_pk_mul_f32 v[64:65], v[52:53], v[10:11] op_sel:[0,1]
	v_mov_b32_e32 v39, v17
	v_pk_fma_f32 v[118:119], v[52:53], v[10:11], v[64:65] op_sel:[0,0,1] op_sel_hi:[1,1,0] neg_lo:[0,0,1] neg_hi:[0,0,1]
	v_pk_fma_f32 v[52:53], v[52:53], v[10:11], v[64:65] op_sel:[0,0,1] op_sel_hi:[1,0,0]
	ds_read2_b64 v[64:67], v46 offset0:192 offset1:208
	v_mov_b32_e32 v43, v73
	v_pk_add_f32 v[4:5], v[4:5], v[38:39]
	ds_read_b128 v[38:41], v47 offset:1072
	s_waitcnt lgkmcnt(2)
	v_pk_mul_f32 v[16:17], v[34:35], v[8:9] op_sel:[0,1]
	v_pk_add_f32 v[18:19], v[18:19], v[42:43]
	v_pk_fma_f32 v[42:43], v[34:35], v[8:9], v[16:17] op_sel:[0,0,1] op_sel_hi:[1,1,0] neg_lo:[0,0,1] neg_hi:[0,0,1]
	v_pk_fma_f32 v[8:9], v[34:35], v[8:9], v[16:17] op_sel:[0,0,1] op_sel_hi:[1,0,0]
	ds_read2_b64 v[68:71], v46 offset0:224 offset1:240
	v_mov_b32_e32 v43, v9
	v_pk_mul_f32 v[8:9], v[36:37], v[0:1] op_sel:[0,1]
	v_pk_add_f32 v[4:5], v[4:5], v[42:43]
	v_pk_fma_f32 v[16:17], v[36:37], v[0:1], v[8:9] op_sel:[0,0,1] op_sel_hi:[1,1,0] neg_lo:[0,0,1] neg_hi:[0,0,1]
	v_pk_fma_f32 v[0:1], v[36:37], v[0:1], v[8:9] op_sel:[0,0,1] op_sel_hi:[1,0,0]
	v_mov_b32_e32 v83, v85
	v_mov_b32_e32 v17, v1
	v_pk_add_f32 v[0:1], v[4:5], v[16:17]
	s_waitcnt lgkmcnt(1)
	v_pk_mul_f32 v[4:5], v[38:39], v[64:65] op_sel:[0,1]
	v_mov_b32_e32 v91, v93
	v_pk_fma_f32 v[8:9], v[38:39], v[64:65], v[4:5] op_sel:[0,0,1] op_sel_hi:[1,1,0] neg_lo:[0,0,1] neg_hi:[0,0,1]
	v_pk_fma_f32 v[4:5], v[38:39], v[64:65], v[4:5] op_sel:[0,0,1] op_sel_hi:[1,0,0]
	v_pk_mul_f32 v[120:121], v[54:55], v[2:3] op_sel:[0,1]
	v_mov_b32_e32 v9, v5
	s_waitcnt lgkmcnt(0)
	v_pk_mul_f32 v[4:5], v[40:41], v[68:69] op_sel:[0,1]
	v_pk_add_f32 v[0:1], v[0:1], v[8:9]
	v_pk_fma_f32 v[8:9], v[40:41], v[68:69], v[4:5] op_sel:[0,0,1] op_sel_hi:[1,1,0] neg_lo:[0,0,1] neg_hi:[0,0,1]
	v_pk_fma_f32 v[4:5], v[40:41], v[68:69], v[4:5] op_sel:[0,0,1] op_sel_hi:[1,0,0]
	v_mov_b32_e32 v75, v77
	v_mov_b32_e32 v9, v5
	v_pk_mul_f32 v[4:5], v[48:49], v[6:7] op_sel:[0,1]
	v_pk_add_f32 v[16:17], v[0:1], v[8:9]
	v_pk_fma_f32 v[8:9], v[48:49], v[6:7], v[4:5] op_sel:[0,0,1] op_sel_hi:[1,1,0] neg_lo:[0,0,1] neg_hi:[0,0,1]
	v_pk_fma_f32 v[4:5], v[48:49], v[6:7], v[4:5] op_sel:[0,0,1] op_sel_hi:[1,0,0]
	v_pk_add_f32 v[0:1], v[14:15], v[82:83]
	v_mov_b32_e32 v9, v5
	v_pk_mul_f32 v[4:5], v[50:51], v[58:59] op_sel:[0,1]
	v_pk_add_f32 v[0:1], v[0:1], v[90:91]
	v_pk_fma_f32 v[6:7], v[50:51], v[58:59], v[4:5] op_sel:[0,0,1] op_sel_hi:[1,1,0] neg_lo:[0,0,1] neg_hi:[0,0,1]
	v_pk_fma_f32 v[4:5], v[50:51], v[58:59], v[4:5] op_sel:[0,0,1] op_sel_hi:[1,0,0]
	v_pk_add_f32 v[0:1], v[0:1], v[8:9]
	v_mov_b32_e32 v7, v5
	v_pk_mul_f32 v[4:5], v[34:35], v[10:11] op_sel:[0,1]
	v_pk_add_f32 v[0:1], v[0:1], v[6:7]
	v_pk_fma_f32 v[6:7], v[34:35], v[10:11], v[4:5] op_sel:[0,0,1] op_sel_hi:[1,1,0] neg_lo:[0,0,1] neg_hi:[0,0,1]
	v_pk_fma_f32 v[4:5], v[34:35], v[10:11], v[4:5] op_sel:[0,0,1] op_sel_hi:[1,0,0]
	v_pk_fma_f32 v[122:123], v[54:55], v[2:3], v[120:121] op_sel:[0,0,1] op_sel_hi:[1,1,0] neg_lo:[0,0,1] neg_hi:[0,0,1]
	v_mov_b32_e32 v7, v5
	v_pk_mul_f32 v[4:5], v[36:37], v[2:3] op_sel:[0,1]
	v_pk_fma_f32 v[54:55], v[54:55], v[2:3], v[120:121] op_sel:[0,0,1] op_sel_hi:[1,0,0]
	v_mov_b32_e32 v95, v97
	v_pk_add_f32 v[18:19], v[18:19], v[74:75]
	v_mov_b32_e32 v103, v105
	v_pk_add_f32 v[0:1], v[0:1], v[6:7]
	v_pk_fma_f32 v[6:7], v[36:37], v[2:3], v[4:5] op_sel:[0,0,1] op_sel_hi:[1,1,0] neg_lo:[0,0,1] neg_hi:[0,0,1]
	v_pk_fma_f32 v[2:3], v[36:37], v[2:3], v[4:5] op_sel:[0,0,1] op_sel_hi:[1,0,0]
	v_pk_add_f32 v[20:21], v[20:21], v[94:95]
	v_mov_b32_e32 v99, v101
	v_pk_add_f32 v[18:19], v[18:19], v[102:103]
	v_mov_b32_e32 v107, v109
	v_mov_b32_e32 v7, v3
	v_pk_mul_f32 v[2:3], v[38:39], v[66:67] op_sel:[0,1]
	v_pk_mul_f32 v[120:121], v[60:61], v[64:65] op_sel:[0,1]
	;; [unrolled: 1-line block ×3, first 2 shown]
	v_pk_add_f32 v[20:21], v[20:21], v[98:99]
	v_mov_b32_e32 v111, v113
	v_pk_add_f32 v[18:19], v[18:19], v[106:107]
	v_mov_b32_e32 v119, v53
	v_pk_fma_f32 v[4:5], v[38:39], v[66:67], v[2:3] op_sel:[0,0,1] op_sel_hi:[1,1,0] neg_lo:[0,0,1] neg_hi:[0,0,1]
	v_pk_fma_f32 v[2:3], v[38:39], v[66:67], v[2:3] op_sel:[0,0,1] op_sel_hi:[1,0,0]
	v_pk_fma_f32 v[124:125], v[60:61], v[64:65], v[120:121] op_sel:[0,0,1] op_sel_hi:[1,1,0] neg_lo:[0,0,1] neg_hi:[0,0,1]
	v_pk_fma_f32 v[120:121], v[60:61], v[64:65], v[120:121] op_sel:[0,0,1] op_sel_hi:[1,0,0]
	v_pk_mul_f32 v[126:127], v[62:63], v[68:69] op_sel:[0,1]
	v_pk_fma_f32 v[132:133], v[60:61], v[66:67], v[130:131] op_sel:[0,0,1] op_sel_hi:[1,1,0] neg_lo:[0,0,1] neg_hi:[0,0,1]
	v_pk_fma_f32 v[60:61], v[60:61], v[66:67], v[130:131] op_sel:[0,0,1] op_sel_hi:[1,0,0]
	v_pk_mul_f32 v[130:131], v[62:63], v[70:71] op_sel:[0,1]
	v_pk_add_f32 v[20:21], v[20:21], v[110:111]
	v_mov_b32_e32 v115, v117
	v_pk_add_f32 v[18:19], v[18:19], v[118:119]
	v_mov_b32_e32 v123, v55
	;; [unrolled: 2-line block ×3, first 2 shown]
	v_pk_mul_f32 v[2:3], v[40:41], v[70:71] op_sel:[0,1]
	v_pk_fma_f32 v[128:129], v[62:63], v[68:69], v[126:127] op_sel:[0,0,1] op_sel_hi:[1,1,0] neg_lo:[0,0,1] neg_hi:[0,0,1]
	v_pk_fma_f32 v[126:127], v[62:63], v[68:69], v[126:127] op_sel:[0,0,1] op_sel_hi:[1,0,0]
	v_pk_fma_f32 v[134:135], v[62:63], v[70:71], v[130:131] op_sel:[0,0,1] op_sel_hi:[1,1,0] neg_lo:[0,0,1] neg_hi:[0,0,1]
	v_pk_fma_f32 v[62:63], v[62:63], v[70:71], v[130:131] op_sel:[0,0,1] op_sel_hi:[1,0,0]
	v_pk_add_f32 v[20:21], v[20:21], v[114:115]
	v_mov_b32_e32 v125, v121
	v_pk_add_f32 v[18:19], v[18:19], v[122:123]
	v_mov_b32_e32 v133, v61
	v_pk_add_f32 v[0:1], v[0:1], v[4:5]
	v_pk_fma_f32 v[4:5], v[40:41], v[70:71], v[2:3] op_sel:[0,0,1] op_sel_hi:[1,1,0] neg_lo:[0,0,1] neg_hi:[0,0,1]
	v_pk_fma_f32 v[2:3], v[40:41], v[70:71], v[2:3] op_sel:[0,0,1] op_sel_hi:[1,0,0]
	s_addc_u32 s17, s17, 0
	v_pk_add_f32 v[20:21], v[20:21], v[124:125]
	v_mov_b32_e32 v129, v127
	v_pk_add_f32 v[18:19], v[18:19], v[132:133]
	v_mov_b32_e32 v135, v63
	v_mov_b32_e32 v5, v3
	v_cmp_lt_i64_e32 vcc, s[16:17], v[32:33]
	v_pk_add_f32 v[20:21], v[20:21], v[128:129]
	v_pk_add_f32 v[18:19], v[18:19], v[134:135]
	;; [unrolled: 1-line block ×3, first 2 shown]
	v_lshl_add_u64 v[28:29], v[28:29], 0, 64
	v_lshl_add_u64 v[30:31], v[30:31], 0, 64
	s_barrier
	s_cbranch_vccz .LBB257_9
.LBB257_3:                              ; =>This Inner Loop Header: Depth=1
	v_lshl_add_u64 v[0:1], v[24:25], 0, s[16:17]
	v_cmp_le_i64_e32 vcc, s[12:13], v[0:1]
	s_or_b64 s[20:21], s[18:19], vcc
	s_and_saveexec_b64 s[22:23], s[20:21]
	s_xor_b64 s[20:21], exec, s[22:23]
; %bb.4:                                ;   in Loop: Header=BB257_3 Depth=1
	ds_write_b32 v44, v25
; %bb.5:                                ;   in Loop: Header=BB257_3 Depth=1
	s_or_saveexec_b64 s[20:21], s[20:21]
	v_mov_b32_e32 v2, 0
	v_mov_b32_e32 v0, 0
	s_xor_b64 exec, exec, s[20:21]
	s_cbranch_execz .LBB257_7
; %bb.6:                                ;   in Loop: Header=BB257_3 Depth=1
	flat_load_dwordx2 v[4:5], v[30:31]
	s_waitcnt vmcnt(0) lgkmcnt(0)
	v_xor_b32_e32 v0, 0x80000000, v5
	ds_write_b32 v44, v4
.LBB257_7:                              ;   in Loop: Header=BB257_3 Depth=1
	s_or_b64 exec, exec, s[20:21]
	ds_write_b32 v44, v0 offset:4
	v_lshl_add_u64 v[0:1], v[26:27], 0, s[16:17]
	v_cmp_gt_i64_e32 vcc, s[12:13], v[0:1]
	s_and_b64 s[22:23], vcc, s[0:1]
	v_mov_b32_e32 v3, 0
	s_and_saveexec_b64 s[20:21], s[22:23]
	s_cbranch_execz .LBB257_2
; %bb.8:                                ;   in Loop: Header=BB257_3 Depth=1
	flat_load_dwordx2 v[2:3], v[28:29]
	s_branch .LBB257_2
.LBB257_9:
	s_lshl_b64 s[0:1], s[38:39], 3
	s_waitcnt lgkmcnt(0)
	s_add_u32 s12, s4, s0
	s_addc_u32 s13, s5, s1
	s_or_b32 s0, s6, s7
	v_lshl_add_u64 v[0:1], s[2:3], 0, v[22:23]
	s_bitset0_b32 s0, 31
	s_cmp_lg_u32 s0, 0
	v_cmp_gt_i64_e64 s[0:1], s[10:11], v[0:1]
	s_mov_b64 s[2:3], -1
	s_cbranch_scc1 .LBB257_21
; %bb.10:
	s_and_saveexec_b64 s[16:17], s[0:1]
	s_cbranch_execz .LBB257_20
; %bb.11:
	v_mul_lo_u32 v6, v1, s36
	v_mul_lo_u32 v7, v0, s37
	v_mad_u64_u32 v[4:5], s[2:3], v0, s36, 0
	v_add3_u32 v5, v5, v7, v6
	v_lshl_add_u64 v[2:3], s[30:31], 0, v[12:13]
	v_lshl_add_u64 v[4:5], v[4:5], 3, s[12:13]
	v_cmp_gt_i64_e32 vcc, s[8:9], v[2:3]
	s_mov_b32 s18, s14
	s_mov_b32 s19, s14
	;; [unrolled: 1-line block ×4, first 2 shown]
	v_lshl_add_u64 v[6:7], v[2:3], 3, v[4:5]
	s_and_saveexec_b64 s[2:3], vcc
	s_cbranch_execz .LBB257_13
; %bb.12:
	v_pk_mul_f32 v[8:9], v[20:21], s[20:21]
	s_nop 0
	v_pk_fma_f32 v[10:11], v[20:21], s[18:19], v[8:9] op_sel:[0,0,1] op_sel_hi:[1,1,0] neg_lo:[0,0,1] neg_hi:[0,0,1]
	v_pk_fma_f32 v[8:9], v[20:21], s[18:19], v[8:9] op_sel:[0,0,1] op_sel_hi:[1,1,0]
	s_nop 0
	v_mov_b32_e32 v11, v9
	flat_store_dwordx2 v[6:7], v[10:11]
.LBB257_13:
	s_or_b64 exec, exec, s[2:3]
	v_lshl_add_u64 v[8:9], v[2:3], 0, 16
	v_cmp_gt_i64_e64 s[2:3], s[8:9], v[8:9]
	s_and_saveexec_b64 s[4:5], s[2:3]
	s_cbranch_execz .LBB257_15
; %bb.14:
	v_pk_mul_f32 v[8:9], v[18:19], s[20:21]
	s_nop 0
	v_pk_fma_f32 v[10:11], v[18:19], s[18:19], v[8:9] op_sel:[0,0,1] op_sel_hi:[1,1,0] neg_lo:[0,0,1] neg_hi:[0,0,1]
	v_pk_fma_f32 v[8:9], v[18:19], s[18:19], v[8:9] op_sel:[0,0,1] op_sel_hi:[1,1,0]
	s_nop 0
	v_mov_b32_e32 v11, v9
	flat_store_dwordx2 v[6:7], v[10:11] offset:128
.LBB257_15:
	s_or_b64 exec, exec, s[4:5]
	v_lshl_add_u64 v[6:7], v[0:1], 0, 16
	v_cmp_gt_i64_e64 s[4:5], s[10:11], v[6:7]
	s_and_b64 exec, exec, s[4:5]
	s_cbranch_execz .LBB257_20
; %bb.16:
	s_lshl_b64 s[4:5], s[36:37], 7
	v_lshl_add_u64 v[4:5], v[4:5], 0, s[4:5]
	v_lshl_add_u64 v[2:3], v[2:3], 3, v[4:5]
	s_and_saveexec_b64 s[4:5], vcc
	s_cbranch_execz .LBB257_18
; %bb.17:
	v_pk_mul_f32 v[4:5], v[16:17], s[20:21]
	s_nop 0
	v_pk_fma_f32 v[6:7], v[16:17], s[18:19], v[4:5] op_sel:[0,0,1] op_sel_hi:[1,1,0] neg_lo:[0,0,1] neg_hi:[0,0,1]
	v_pk_fma_f32 v[4:5], v[16:17], s[18:19], v[4:5] op_sel:[0,0,1] op_sel_hi:[1,1,0]
	s_nop 0
	v_mov_b32_e32 v7, v5
	flat_store_dwordx2 v[2:3], v[6:7]
.LBB257_18:
	s_or_b64 exec, exec, s[4:5]
	s_and_b64 exec, exec, s[2:3]
	s_cbranch_execz .LBB257_20
; %bb.19:
	v_pk_mul_f32 v[4:5], v[14:15], s[20:21]
	s_nop 0
	v_pk_fma_f32 v[6:7], v[14:15], s[18:19], v[4:5] op_sel:[0,0,1] op_sel_hi:[1,1,0] neg_lo:[0,0,1] neg_hi:[0,0,1]
	v_pk_fma_f32 v[4:5], v[14:15], s[18:19], v[4:5] op_sel:[0,0,1] op_sel_hi:[1,1,0]
	s_nop 0
	v_mov_b32_e32 v7, v5
	flat_store_dwordx2 v[2:3], v[6:7] offset:128
.LBB257_20:
	s_or_b64 exec, exec, s[16:17]
	s_mov_b64 s[2:3], 0
.LBB257_21:
	s_andn2_b64 vcc, exec, s[2:3]
	s_cbranch_vccnz .LBB257_32
; %bb.22:
	s_and_saveexec_b64 s[2:3], s[0:1]
	s_cbranch_execz .LBB257_32
; %bb.23:
	s_lshl_b64 s[0:1], s[28:29], 3
	v_mul_lo_u32 v4, v1, s26
	v_mul_lo_u32 v5, v0, s27
	v_mad_u64_u32 v[2:3], s[2:3], v0, s26, 0
	s_add_u32 s0, s24, s0
	v_add3_u32 v3, v3, v5, v4
	v_mul_lo_u32 v6, v1, s36
	v_mul_lo_u32 v7, v0, s37
	v_mad_u64_u32 v[4:5], s[2:3], v0, s36, 0
	s_addc_u32 s1, s25, s1
	v_lshl_add_u64 v[8:9], s[30:31], 0, v[12:13]
	v_add3_u32 v5, v5, v7, v6
	v_cmp_gt_i64_e32 vcc, s[8:9], v[8:9]
	s_mov_b32 s4, s14
	s_mov_b32 s5, s14
	;; [unrolled: 1-line block ×6, first 2 shown]
	v_lshl_add_u64 v[6:7], v[2:3], 3, s[0:1]
	v_lshl_add_u64 v[4:5], v[4:5], 3, s[12:13]
	v_lshlrev_b64 v[2:3], 3, v[8:9]
	s_and_saveexec_b64 s[0:1], vcc
	s_cbranch_execz .LBB257_25
; %bb.24:
	v_lshl_add_u64 v[10:11], v[6:7], 0, v[2:3]
	flat_load_dwordx2 v[10:11], v[10:11]
	v_pk_mul_f32 v[22:23], v[20:21], s[14:15]
	v_lshl_add_u64 v[12:13], v[4:5], 0, v[2:3]
	v_pk_fma_f32 v[24:25], v[20:21], s[4:5], v[22:23] op_sel:[0,0,1] op_sel_hi:[1,1,0] neg_lo:[0,0,1] neg_hi:[0,0,1]
	v_pk_fma_f32 v[20:21], v[20:21], s[4:5], v[22:23] op_sel:[0,0,1] op_sel_hi:[1,1,0]
	s_nop 0
	v_mov_b32_e32 v25, v21
	s_waitcnt vmcnt(0) lgkmcnt(0)
	v_pk_mul_f32 v[20:21], v[10:11], s[6:7]
	s_nop 0
	v_pk_fma_f32 v[22:23], v[10:11], s[16:17], v[20:21] op_sel:[0,0,1] op_sel_hi:[1,1,0] neg_lo:[0,0,1] neg_hi:[0,0,1]
	v_pk_fma_f32 v[10:11], v[10:11], s[16:17], v[20:21] op_sel:[0,0,1] op_sel_hi:[1,1,0]
	s_nop 0
	v_mov_b32_e32 v23, v11
	v_pk_add_f32 v[10:11], v[24:25], v[22:23]
	flat_store_dwordx2 v[12:13], v[10:11]
.LBB257_25:
	s_or_b64 exec, exec, s[0:1]
	v_lshl_add_u64 v[8:9], v[8:9], 0, 16
	v_cmp_gt_i64_e64 s[0:1], s[8:9], v[8:9]
	s_and_saveexec_b64 s[2:3], s[0:1]
	s_cbranch_execz .LBB257_27
; %bb.26:
	v_lshl_add_u64 v[8:9], v[6:7], 0, v[2:3]
	flat_load_dwordx2 v[8:9], v[8:9] offset:128
	v_pk_mul_f32 v[12:13], v[18:19], s[14:15]
	v_lshl_add_u64 v[10:11], v[4:5], 0, v[2:3]
	v_pk_fma_f32 v[20:21], v[18:19], s[4:5], v[12:13] op_sel:[0,0,1] op_sel_hi:[1,1,0] neg_lo:[0,0,1] neg_hi:[0,0,1]
	v_pk_fma_f32 v[12:13], v[18:19], s[4:5], v[12:13] op_sel:[0,0,1] op_sel_hi:[1,1,0]
	s_nop 0
	v_mov_b32_e32 v21, v13
	s_waitcnt vmcnt(0) lgkmcnt(0)
	v_pk_mul_f32 v[12:13], v[8:9], s[6:7]
	s_nop 0
	v_pk_fma_f32 v[18:19], v[8:9], s[16:17], v[12:13] op_sel:[0,0,1] op_sel_hi:[1,1,0] neg_lo:[0,0,1] neg_hi:[0,0,1]
	v_pk_fma_f32 v[8:9], v[8:9], s[16:17], v[12:13] op_sel:[0,0,1] op_sel_hi:[1,1,0]
	s_nop 0
	v_mov_b32_e32 v19, v9
	v_pk_add_f32 v[8:9], v[20:21], v[18:19]
	flat_store_dwordx2 v[10:11], v[8:9] offset:128
.LBB257_27:
	s_or_b64 exec, exec, s[2:3]
	v_lshl_add_u64 v[0:1], v[0:1], 0, 16
	v_cmp_gt_i64_e64 s[2:3], s[10:11], v[0:1]
	s_and_b64 exec, exec, s[2:3]
	s_cbranch_execz .LBB257_32
; %bb.28:
	s_lshl_b64 s[2:3], s[26:27], 7
	v_lshl_add_u64 v[0:1], v[6:7], 0, s[2:3]
	s_lshl_b64 s[2:3], s[36:37], 7
	v_lshl_add_u64 v[6:7], v[4:5], 0, s[2:3]
	v_lshl_add_u64 v[4:5], v[0:1], 0, v[2:3]
	;; [unrolled: 1-line block ×3, first 2 shown]
	s_and_saveexec_b64 s[2:3], vcc
	s_cbranch_execz .LBB257_30
; %bb.29:
	flat_load_dwordx2 v[2:3], v[4:5]
	v_pk_mul_f32 v[6:7], v[16:17], s[14:15]
	s_nop 0
	v_pk_fma_f32 v[8:9], v[16:17], s[4:5], v[6:7] op_sel:[0,0,1] op_sel_hi:[1,1,0] neg_lo:[0,0,1] neg_hi:[0,0,1]
	v_pk_fma_f32 v[6:7], v[16:17], s[4:5], v[6:7] op_sel:[0,0,1] op_sel_hi:[1,1,0]
	s_nop 0
	v_mov_b32_e32 v9, v7
	s_waitcnt vmcnt(0) lgkmcnt(0)
	v_pk_mul_f32 v[6:7], v[2:3], s[6:7]
	s_nop 0
	v_pk_fma_f32 v[10:11], v[2:3], s[16:17], v[6:7] op_sel:[0,0,1] op_sel_hi:[1,1,0] neg_lo:[0,0,1] neg_hi:[0,0,1]
	v_pk_fma_f32 v[2:3], v[2:3], s[16:17], v[6:7] op_sel:[0,0,1] op_sel_hi:[1,1,0]
	s_nop 0
	v_mov_b32_e32 v11, v3
	v_pk_add_f32 v[2:3], v[8:9], v[10:11]
	flat_store_dwordx2 v[0:1], v[2:3]
.LBB257_30:
	s_or_b64 exec, exec, s[2:3]
	s_and_b64 exec, exec, s[0:1]
	s_cbranch_execz .LBB257_32
; %bb.31:
	flat_load_dwordx2 v[2:3], v[4:5] offset:128
	v_pk_mul_f32 v[4:5], v[14:15], s[14:15]
	s_nop 0
	v_pk_fma_f32 v[6:7], v[14:15], s[4:5], v[4:5] op_sel:[0,0,1] op_sel_hi:[1,1,0] neg_lo:[0,0,1] neg_hi:[0,0,1]
	v_pk_fma_f32 v[4:5], v[14:15], s[4:5], v[4:5] op_sel:[0,0,1] op_sel_hi:[1,1,0]
	s_nop 0
	v_mov_b32_e32 v7, v5
	s_waitcnt vmcnt(0) lgkmcnt(0)
	v_pk_mul_f32 v[4:5], v[2:3], s[6:7]
	s_nop 0
	v_pk_fma_f32 v[8:9], v[2:3], s[16:17], v[4:5] op_sel:[0,0,1] op_sel_hi:[1,1,0] neg_lo:[0,0,1] neg_hi:[0,0,1]
	v_pk_fma_f32 v[2:3], v[2:3], s[16:17], v[4:5] op_sel:[0,0,1] op_sel_hi:[1,1,0]
	s_nop 0
	v_mov_b32_e32 v9, v3
	v_pk_add_f32 v[2:3], v[6:7], v[8:9]
	flat_store_dwordx2 v[0:1], v[2:3] offset:128
.LBB257_32:
	s_endpgm
	.section	.rodata,"a",@progbits
	.p2align	6, 0x0
	.amdhsa_kernel _ZN12_GLOBAL__N_135rocblas_gemm_batched_general_kernelI19rocblas_complex_numIfELi16ELi16ELi32ELi32ELi8ELi32ELi8ELi8ELi32ELc67ELc78EKPKS2_S5_KPS2_EEvlllT_PT11_llSA_llS8_PT12_llPT13_lli
		.amdhsa_group_segment_fixed_size 4096
		.amdhsa_private_segment_fixed_size 0
		.amdhsa_kernarg_size 140
		.amdhsa_user_sgpr_count 2
		.amdhsa_user_sgpr_dispatch_ptr 0
		.amdhsa_user_sgpr_queue_ptr 0
		.amdhsa_user_sgpr_kernarg_segment_ptr 1
		.amdhsa_user_sgpr_dispatch_id 0
		.amdhsa_user_sgpr_kernarg_preload_length 0
		.amdhsa_user_sgpr_kernarg_preload_offset 0
		.amdhsa_user_sgpr_private_segment_size 0
		.amdhsa_uses_dynamic_stack 0
		.amdhsa_enable_private_segment 0
		.amdhsa_system_sgpr_workgroup_id_x 1
		.amdhsa_system_sgpr_workgroup_id_y 1
		.amdhsa_system_sgpr_workgroup_id_z 1
		.amdhsa_system_sgpr_workgroup_info 0
		.amdhsa_system_vgpr_workitem_id 1
		.amdhsa_next_free_vgpr 136
		.amdhsa_next_free_sgpr 44
		.amdhsa_accum_offset 136
		.amdhsa_reserve_vcc 1
		.amdhsa_float_round_mode_32 0
		.amdhsa_float_round_mode_16_64 0
		.amdhsa_float_denorm_mode_32 3
		.amdhsa_float_denorm_mode_16_64 3
		.amdhsa_dx10_clamp 1
		.amdhsa_ieee_mode 1
		.amdhsa_fp16_overflow 0
		.amdhsa_tg_split 0
		.amdhsa_exception_fp_ieee_invalid_op 0
		.amdhsa_exception_fp_denorm_src 0
		.amdhsa_exception_fp_ieee_div_zero 0
		.amdhsa_exception_fp_ieee_overflow 0
		.amdhsa_exception_fp_ieee_underflow 0
		.amdhsa_exception_fp_ieee_inexact 0
		.amdhsa_exception_int_div_zero 0
	.end_amdhsa_kernel
	.section	.text._ZN12_GLOBAL__N_135rocblas_gemm_batched_general_kernelI19rocblas_complex_numIfELi16ELi16ELi32ELi32ELi8ELi32ELi8ELi8ELi32ELc67ELc78EKPKS2_S5_KPS2_EEvlllT_PT11_llSA_llS8_PT12_llPT13_lli,"axG",@progbits,_ZN12_GLOBAL__N_135rocblas_gemm_batched_general_kernelI19rocblas_complex_numIfELi16ELi16ELi32ELi32ELi8ELi32ELi8ELi8ELi32ELc67ELc78EKPKS2_S5_KPS2_EEvlllT_PT11_llSA_llS8_PT12_llPT13_lli,comdat
.Lfunc_end257:
	.size	_ZN12_GLOBAL__N_135rocblas_gemm_batched_general_kernelI19rocblas_complex_numIfELi16ELi16ELi32ELi32ELi8ELi32ELi8ELi8ELi32ELc67ELc78EKPKS2_S5_KPS2_EEvlllT_PT11_llSA_llS8_PT12_llPT13_lli, .Lfunc_end257-_ZN12_GLOBAL__N_135rocblas_gemm_batched_general_kernelI19rocblas_complex_numIfELi16ELi16ELi32ELi32ELi8ELi32ELi8ELi8ELi32ELc67ELc78EKPKS2_S5_KPS2_EEvlllT_PT11_llSA_llS8_PT12_llPT13_lli
                                        ; -- End function
	.set _ZN12_GLOBAL__N_135rocblas_gemm_batched_general_kernelI19rocblas_complex_numIfELi16ELi16ELi32ELi32ELi8ELi32ELi8ELi8ELi32ELc67ELc78EKPKS2_S5_KPS2_EEvlllT_PT11_llSA_llS8_PT12_llPT13_lli.num_vgpr, 136
	.set _ZN12_GLOBAL__N_135rocblas_gemm_batched_general_kernelI19rocblas_complex_numIfELi16ELi16ELi32ELi32ELi8ELi32ELi8ELi8ELi32ELc67ELc78EKPKS2_S5_KPS2_EEvlllT_PT11_llSA_llS8_PT12_llPT13_lli.num_agpr, 0
	.set _ZN12_GLOBAL__N_135rocblas_gemm_batched_general_kernelI19rocblas_complex_numIfELi16ELi16ELi32ELi32ELi8ELi32ELi8ELi8ELi32ELc67ELc78EKPKS2_S5_KPS2_EEvlllT_PT11_llSA_llS8_PT12_llPT13_lli.numbered_sgpr, 44
	.set _ZN12_GLOBAL__N_135rocblas_gemm_batched_general_kernelI19rocblas_complex_numIfELi16ELi16ELi32ELi32ELi8ELi32ELi8ELi8ELi32ELc67ELc78EKPKS2_S5_KPS2_EEvlllT_PT11_llSA_llS8_PT12_llPT13_lli.num_named_barrier, 0
	.set _ZN12_GLOBAL__N_135rocblas_gemm_batched_general_kernelI19rocblas_complex_numIfELi16ELi16ELi32ELi32ELi8ELi32ELi8ELi8ELi32ELc67ELc78EKPKS2_S5_KPS2_EEvlllT_PT11_llSA_llS8_PT12_llPT13_lli.private_seg_size, 0
	.set _ZN12_GLOBAL__N_135rocblas_gemm_batched_general_kernelI19rocblas_complex_numIfELi16ELi16ELi32ELi32ELi8ELi32ELi8ELi8ELi32ELc67ELc78EKPKS2_S5_KPS2_EEvlllT_PT11_llSA_llS8_PT12_llPT13_lli.uses_vcc, 1
	.set _ZN12_GLOBAL__N_135rocblas_gemm_batched_general_kernelI19rocblas_complex_numIfELi16ELi16ELi32ELi32ELi8ELi32ELi8ELi8ELi32ELc67ELc78EKPKS2_S5_KPS2_EEvlllT_PT11_llSA_llS8_PT12_llPT13_lli.uses_flat_scratch, 0
	.set _ZN12_GLOBAL__N_135rocblas_gemm_batched_general_kernelI19rocblas_complex_numIfELi16ELi16ELi32ELi32ELi8ELi32ELi8ELi8ELi32ELc67ELc78EKPKS2_S5_KPS2_EEvlllT_PT11_llSA_llS8_PT12_llPT13_lli.has_dyn_sized_stack, 0
	.set _ZN12_GLOBAL__N_135rocblas_gemm_batched_general_kernelI19rocblas_complex_numIfELi16ELi16ELi32ELi32ELi8ELi32ELi8ELi8ELi32ELc67ELc78EKPKS2_S5_KPS2_EEvlllT_PT11_llSA_llS8_PT12_llPT13_lli.has_recursion, 0
	.set _ZN12_GLOBAL__N_135rocblas_gemm_batched_general_kernelI19rocblas_complex_numIfELi16ELi16ELi32ELi32ELi8ELi32ELi8ELi8ELi32ELc67ELc78EKPKS2_S5_KPS2_EEvlllT_PT11_llSA_llS8_PT12_llPT13_lli.has_indirect_call, 0
	.section	.AMDGPU.csdata,"",@progbits
; Kernel info:
; codeLenInByte = 3156
; TotalNumSgprs: 50
; NumVgprs: 136
; NumAgprs: 0
; TotalNumVgprs: 136
; ScratchSize: 0
; MemoryBound: 0
; FloatMode: 240
; IeeeMode: 1
; LDSByteSize: 4096 bytes/workgroup (compile time only)
; SGPRBlocks: 6
; VGPRBlocks: 16
; NumSGPRsForWavesPerEU: 50
; NumVGPRsForWavesPerEU: 136
; AccumOffset: 136
; Occupancy: 3
; WaveLimiterHint : 1
; COMPUTE_PGM_RSRC2:SCRATCH_EN: 0
; COMPUTE_PGM_RSRC2:USER_SGPR: 2
; COMPUTE_PGM_RSRC2:TRAP_HANDLER: 0
; COMPUTE_PGM_RSRC2:TGID_X_EN: 1
; COMPUTE_PGM_RSRC2:TGID_Y_EN: 1
; COMPUTE_PGM_RSRC2:TGID_Z_EN: 1
; COMPUTE_PGM_RSRC2:TIDIG_COMP_CNT: 1
; COMPUTE_PGM_RSRC3_GFX90A:ACCUM_OFFSET: 33
; COMPUTE_PGM_RSRC3_GFX90A:TG_SPLIT: 0
	.section	.text._ZN12_GLOBAL__N_135rocblas_gemm_batched_general_kernelI19rocblas_complex_numIfELi16ELi16ELi32ELi32ELi8ELi32ELi8ELi8ELi32ELc67ELc84EKPKS2_S5_KPS2_EEvlllT_PT11_llSA_llS8_PT12_llPT13_lli,"axG",@progbits,_ZN12_GLOBAL__N_135rocblas_gemm_batched_general_kernelI19rocblas_complex_numIfELi16ELi16ELi32ELi32ELi8ELi32ELi8ELi8ELi32ELc67ELc84EKPKS2_S5_KPS2_EEvlllT_PT11_llSA_llS8_PT12_llPT13_lli,comdat
	.globl	_ZN12_GLOBAL__N_135rocblas_gemm_batched_general_kernelI19rocblas_complex_numIfELi16ELi16ELi32ELi32ELi8ELi32ELi8ELi8ELi32ELc67ELc84EKPKS2_S5_KPS2_EEvlllT_PT11_llSA_llS8_PT12_llPT13_lli ; -- Begin function _ZN12_GLOBAL__N_135rocblas_gemm_batched_general_kernelI19rocblas_complex_numIfELi16ELi16ELi32ELi32ELi8ELi32ELi8ELi8ELi32ELc67ELc84EKPKS2_S5_KPS2_EEvlllT_PT11_llSA_llS8_PT12_llPT13_lli
	.p2align	8
	.type	_ZN12_GLOBAL__N_135rocblas_gemm_batched_general_kernelI19rocblas_complex_numIfELi16ELi16ELi32ELi32ELi8ELi32ELi8ELi8ELi32ELc67ELc84EKPKS2_S5_KPS2_EEvlllT_PT11_llSA_llS8_PT12_llPT13_lli,@function
_ZN12_GLOBAL__N_135rocblas_gemm_batched_general_kernelI19rocblas_complex_numIfELi16ELi16ELi32ELi32ELi8ELi32ELi8ELi8ELi32ELc67ELc84EKPKS2_S5_KPS2_EEvlllT_PT11_llSA_llS8_PT12_llPT13_lli: ; @_ZN12_GLOBAL__N_135rocblas_gemm_batched_general_kernelI19rocblas_complex_numIfELi16ELi16ELi32ELi32ELi8ELi32ELi8ELi8ELi32ELc67ELc84EKPKS2_S5_KPS2_EEvlllT_PT11_llSA_llS8_PT12_llPT13_lli
; %bb.0:
	s_load_dwordx16 s[8:23], s[0:1], 0x0
	s_load_dwordx4 s[36:39], s[0:1], 0x78
	s_load_dwordx8 s[24:31], s[0:1], 0x58
	s_load_dwordx2 s[34:35], s[0:1], 0x50
	s_mov_b32 s5, 0
	s_lshl_b64 s[44:45], s[4:5], 3
	s_mov_b32 s42, s3
	s_waitcnt lgkmcnt(0)
	s_add_u32 s4, s24, s44
	s_addc_u32 s5, s25, s45
	s_load_dwordx2 s[24:25], s[4:5], 0x0
	s_add_u32 s4, s30, s44
	s_addc_u32 s5, s31, s45
	s_load_dwordx2 s[40:41], s[4:5], 0x0
	v_mov_b32_e32 v23, 0
	s_ashr_i32 s3, s2, 31
	s_ashr_i32 s43, s42, 31
	v_cmp_lt_i64_e64 s[4:5], s[12:13], 1
	v_and_b32_e32 v12, 0x3ff, v0
	v_bfe_u32 v22, v0, 10, 10
	v_mov_b32_e32 v13, v23
	s_lshl_b64 s[30:31], s[2:3], 5
	s_lshl_b64 s[2:3], s[42:43], 5
	s_and_b64 vcc, exec, s[4:5]
	v_mov_b32_e32 v21, v23
	v_mov_b32_e32 v20, v23
	;; [unrolled: 1-line block ×8, first 2 shown]
	s_cbranch_vccnz .LBB258_9
; %bb.1:
	v_lshl_add_u32 v8, v22, 4, v12
	v_mov_b32_e32 v25, 0
	s_load_dwordx4 s[4:7], s[0:1], 0x40
	v_lshrrev_b32_e32 v0, 3, v8
	v_mov_b32_e32 v1, v25
	v_and_b32_e32 v4, 31, v8
	v_lshrrev_b32_e32 v24, 5, v8
	v_and_b32_e32 v26, 7, v12
	v_lshl_add_u64 v[2:3], v[0:1], 0, s[2:3]
	v_lshlrev_b32_e32 v1, 3, v4
	s_add_u32 s0, s22, s44
	v_lshl_or_b32 v44, v24, 8, v1
	v_lshlrev_b32_e32 v1, 3, v26
	s_addc_u32 s1, s23, s45
	v_lshl_or_b32 v0, v0, 6, v1
	s_load_dwordx2 s[22:23], s[0:1], 0x0
	s_add_u32 s0, s16, s44
	v_add_u32_e32 v45, 0x800, v0
	v_mov_b32_e32 v0, 0x800
	s_addc_u32 s1, s17, s45
	v_lshl_add_u32 v47, v22, 6, v0
	s_waitcnt lgkmcnt(0)
	v_mad_u64_u32 v[0:1], s[44:45], s4, v26, 0
	s_load_dwordx2 s[16:17], s[0:1], 0x0
	v_cmp_gt_i64_e64 s[0:1], s[10:11], v[2:3]
	v_mov_b32_e32 v2, v1
	s_lshl_b64 s[42:43], s[42:43], 8
	s_lshl_b64 s[6:7], s[6:7], 3
	v_mad_u64_u32 v[2:3], s[44:45], s5, v26, v[2:3]
	s_add_u32 s6, s6, s42
	v_mov_b32_e32 v1, v2
	s_addc_u32 s7, s7, s43
	v_lshl_add_u64 v[0:1], v[0:1], 3, s[6:7]
	v_and_b32_e32 v2, 0x7ff8, v8
	v_mov_b32_e32 v3, v25
	v_mov_b32_e32 v5, v25
	v_lshl_add_u64 v[0:1], v[0:1], 0, v[2:3]
	v_lshl_add_u64 v[28:29], s[22:23], 0, v[0:1]
	;; [unrolled: 1-line block ×3, first 2 shown]
	v_mul_lo_u32 v2, s19, v0
	v_mul_lo_u32 v3, s18, v1
	v_mad_u64_u32 v[0:1], s[6:7], s18, v0, 0
	v_add3_u32 v1, v1, v3, v2
	s_lshl_b64 s[6:7], s[20:21], 3
	v_or_b32_e32 v6, s30, v4
	v_mov_b32_e32 v7, s31
	v_lshl_add_u64 v[0:1], v[0:1], 3, s[6:7]
	v_lshlrev_b32_e32 v2, 3, v24
	v_mov_b32_e32 v3, v25
	v_cmp_gt_i64_e32 vcc, s[8:9], v[6:7]
	v_lshl_add_u64 v[0:1], v[0:1], 0, v[2:3]
	v_mov_b32_e32 v27, v25
	v_lshlrev_b32_e32 v46, 3, v12
	s_lshl_b64 s[4:5], s[4:5], 6
	s_waitcnt lgkmcnt(0)
	v_lshl_add_u64 v[30:31], s[16:17], 0, v[0:1]
	s_mov_b64 s[6:7], 0
	s_xor_b64 s[16:17], vcc, -1
	v_mov_b64_e32 v[32:33], s[12:13]
	v_mov_b32_e32 v14, v25
	v_mov_b32_e32 v15, v25
	;; [unrolled: 1-line block ×8, first 2 shown]
	s_branch .LBB258_3
.LBB258_2:                              ;   in Loop: Header=BB258_3 Depth=1
	s_or_b64 exec, exec, s[18:19]
	s_waitcnt vmcnt(0) lgkmcnt(0)
	ds_write_b64 v45, v[2:3]
	s_waitcnt lgkmcnt(0)
	s_barrier
	ds_read2_b64 v[4:7], v46 offset1:16
	ds_read_b128 v[48:51], v47
	ds_read2_b64 v[8:11], v46 offset0:32 offset1:48
	ds_read_b128 v[0:3], v47 offset:16
	ds_read_b128 v[52:55], v47 offset:1024
	s_add_u32 s6, s6, 8
	s_waitcnt lgkmcnt(3)
	v_pk_mul_f32 v[36:37], v[48:49], v[4:5] op_sel:[0,1]
	v_pk_mul_f32 v[56:57], v[48:49], v[6:7] op_sel:[0,1]
	v_pk_fma_f32 v[34:35], v[48:49], v[4:5], v[36:37] op_sel:[0,0,1] op_sel_hi:[1,1,0] neg_lo:[0,0,1] neg_hi:[0,0,1]
	v_pk_fma_f32 v[36:37], v[48:49], v[4:5], v[36:37] op_sel:[0,0,1] op_sel_hi:[1,0,0]
	s_waitcnt lgkmcnt(2)
	v_pk_mul_f32 v[40:41], v[50:51], v[8:9] op_sel:[0,1]
	v_pk_fma_f32 v[42:43], v[48:49], v[6:7], v[56:57] op_sel:[0,0,1] op_sel_hi:[1,1,0] neg_lo:[0,0,1] neg_hi:[0,0,1]
	v_pk_fma_f32 v[72:73], v[48:49], v[6:7], v[56:57] op_sel:[0,0,1] op_sel_hi:[1,0,0]
	v_pk_mul_f32 v[48:49], v[50:51], v[10:11] op_sel:[0,1]
	v_pk_fma_f32 v[38:39], v[50:51], v[8:9], v[40:41] op_sel:[0,0,1] op_sel_hi:[1,1,0] neg_lo:[0,0,1] neg_hi:[0,0,1]
	v_pk_fma_f32 v[40:41], v[50:51], v[8:9], v[40:41] op_sel:[0,0,1] op_sel_hi:[1,0,0]
	v_pk_fma_f32 v[74:75], v[50:51], v[10:11], v[48:49] op_sel:[0,0,1] op_sel_hi:[1,1,0] neg_lo:[0,0,1] neg_hi:[0,0,1]
	v_pk_fma_f32 v[76:77], v[50:51], v[10:11], v[48:49] op_sel:[0,0,1] op_sel_hi:[1,0,0]
	ds_read_b128 v[48:51], v47 offset:1040
	s_waitcnt lgkmcnt(1)
	v_pk_mul_f32 v[56:57], v[52:53], v[4:5] op_sel:[0,1]
	v_mov_b32_e32 v35, v37
	v_pk_fma_f32 v[78:79], v[52:53], v[4:5], v[56:57] op_sel:[0,0,1] op_sel_hi:[1,1,0] neg_lo:[0,0,1] neg_hi:[0,0,1]
	v_pk_fma_f32 v[80:81], v[52:53], v[4:5], v[56:57] op_sel:[0,0,1] op_sel_hi:[1,0,0]
	v_pk_mul_f32 v[4:5], v[52:53], v[6:7] op_sel:[0,1]
	ds_read2_b64 v[56:59], v46 offset0:96 offset1:112
	v_pk_fma_f32 v[82:83], v[52:53], v[6:7], v[4:5] op_sel:[0,0,1] op_sel_hi:[1,1,0] neg_lo:[0,0,1] neg_hi:[0,0,1]
	v_pk_fma_f32 v[84:85], v[52:53], v[6:7], v[4:5] op_sel:[0,0,1] op_sel_hi:[1,0,0]
	v_pk_mul_f32 v[4:5], v[54:55], v[8:9] op_sel:[0,1]
	v_pk_add_f32 v[20:21], v[20:21], v[34:35]
	v_pk_fma_f32 v[86:87], v[54:55], v[8:9], v[4:5] op_sel:[0,0,1] op_sel_hi:[1,1,0] neg_lo:[0,0,1] neg_hi:[0,0,1]
	v_pk_fma_f32 v[88:89], v[54:55], v[8:9], v[4:5] op_sel:[0,0,1] op_sel_hi:[1,0,0]
	ds_read2_b64 v[4:7], v46 offset0:64 offset1:80
	v_pk_mul_f32 v[8:9], v[54:55], v[10:11] op_sel:[0,1]
	v_mov_b32_e32 v79, v81
	v_pk_fma_f32 v[90:91], v[54:55], v[10:11], v[8:9] op_sel:[0,0,1] op_sel_hi:[1,1,0] neg_lo:[0,0,1] neg_hi:[0,0,1]
	v_pk_fma_f32 v[92:93], v[54:55], v[10:11], v[8:9] op_sel:[0,0,1] op_sel_hi:[1,0,0]
	s_waitcnt lgkmcnt(0)
	v_pk_mul_f32 v[8:9], v[0:1], v[4:5] op_sel:[0,1]
	v_pk_mul_f32 v[60:61], v[0:1], v[6:7] op_sel:[0,1]
	v_pk_fma_f32 v[94:95], v[0:1], v[4:5], v[8:9] op_sel:[0,0,1] op_sel_hi:[1,1,0] neg_lo:[0,0,1] neg_hi:[0,0,1]
	v_pk_fma_f32 v[96:97], v[0:1], v[4:5], v[8:9] op_sel:[0,0,1] op_sel_hi:[1,0,0]
	v_pk_mul_f32 v[8:9], v[2:3], v[56:57] op_sel:[0,1]
	v_pk_mul_f32 v[34:35], v[48:49], v[4:5] op_sel:[0,1]
	v_pk_fma_f32 v[98:99], v[2:3], v[56:57], v[8:9] op_sel:[0,0,1] op_sel_hi:[1,1,0] neg_lo:[0,0,1] neg_hi:[0,0,1]
	v_pk_fma_f32 v[100:101], v[2:3], v[56:57], v[8:9] op_sel:[0,0,1] op_sel_hi:[1,0,0]
	ds_read2_b64 v[8:11], v46 offset0:128 offset1:144
	ds_read_b128 v[52:55], v47 offset:32
	v_pk_fma_f32 v[102:103], v[0:1], v[6:7], v[60:61] op_sel:[0,0,1] op_sel_hi:[1,1,0] neg_lo:[0,0,1] neg_hi:[0,0,1]
	v_pk_fma_f32 v[104:105], v[0:1], v[6:7], v[60:61] op_sel:[0,0,1] op_sel_hi:[1,0,0]
	v_pk_mul_f32 v[0:1], v[2:3], v[58:59] op_sel:[0,1]
	v_pk_add_f32 v[16:17], v[16:17], v[78:79]
	v_mov_b32_e32 v87, v89
	v_pk_fma_f32 v[36:37], v[48:49], v[4:5], v[34:35] op_sel:[0,0,1] op_sel_hi:[1,1,0] neg_lo:[0,0,1] neg_hi:[0,0,1]
	v_pk_fma_f32 v[4:5], v[48:49], v[4:5], v[34:35] op_sel:[0,0,1] op_sel_hi:[1,0,0]
	v_pk_fma_f32 v[106:107], v[2:3], v[58:59], v[0:1] op_sel:[0,0,1] op_sel_hi:[1,1,0] neg_lo:[0,0,1] neg_hi:[0,0,1]
	v_pk_fma_f32 v[108:109], v[2:3], v[58:59], v[0:1] op_sel:[0,0,1] op_sel_hi:[1,0,0]
	ds_read2_b64 v[0:3], v46 offset0:160 offset1:176
	ds_read_b128 v[60:63], v47 offset:48
	v_pk_add_f32 v[16:17], v[16:17], v[86:87]
	v_mov_b32_e32 v37, v5
	v_pk_add_f32 v[4:5], v[16:17], v[36:37]
	ds_read_b128 v[34:37], v47 offset:1056
	s_waitcnt lgkmcnt(3)
	v_pk_mul_f32 v[64:65], v[52:53], v[8:9] op_sel:[0,1]
	v_mov_b32_e32 v39, v41
	v_pk_mul_f32 v[16:17], v[50:51], v[56:57] op_sel:[0,1]
	v_pk_fma_f32 v[110:111], v[52:53], v[8:9], v[64:65] op_sel:[0,0,1] op_sel_hi:[1,1,0] neg_lo:[0,0,1] neg_hi:[0,0,1]
	v_pk_fma_f32 v[112:113], v[52:53], v[8:9], v[64:65] op_sel:[0,0,1] op_sel_hi:[1,0,0]
	s_waitcnt lgkmcnt(2)
	v_pk_mul_f32 v[64:65], v[54:55], v[0:1] op_sel:[0,1]
	v_pk_add_f32 v[20:21], v[20:21], v[38:39]
	v_pk_fma_f32 v[38:39], v[50:51], v[56:57], v[16:17] op_sel:[0,0,1] op_sel_hi:[1,1,0] neg_lo:[0,0,1] neg_hi:[0,0,1]
	v_pk_fma_f32 v[16:17], v[50:51], v[56:57], v[16:17] op_sel:[0,0,1] op_sel_hi:[1,0,0]
	v_pk_fma_f32 v[114:115], v[54:55], v[0:1], v[64:65] op_sel:[0,0,1] op_sel_hi:[1,1,0] neg_lo:[0,0,1] neg_hi:[0,0,1]
	v_pk_fma_f32 v[116:117], v[54:55], v[0:1], v[64:65] op_sel:[0,0,1] op_sel_hi:[1,0,0]
	v_pk_mul_f32 v[64:65], v[52:53], v[10:11] op_sel:[0,1]
	v_mov_b32_e32 v39, v17
	v_pk_fma_f32 v[118:119], v[52:53], v[10:11], v[64:65] op_sel:[0,0,1] op_sel_hi:[1,1,0] neg_lo:[0,0,1] neg_hi:[0,0,1]
	v_pk_fma_f32 v[52:53], v[52:53], v[10:11], v[64:65] op_sel:[0,0,1] op_sel_hi:[1,0,0]
	ds_read2_b64 v[64:67], v46 offset0:192 offset1:208
	v_mov_b32_e32 v43, v73
	v_pk_add_f32 v[4:5], v[4:5], v[38:39]
	ds_read_b128 v[38:41], v47 offset:1072
	s_waitcnt lgkmcnt(2)
	v_pk_mul_f32 v[16:17], v[34:35], v[8:9] op_sel:[0,1]
	v_pk_add_f32 v[18:19], v[18:19], v[42:43]
	v_pk_fma_f32 v[42:43], v[34:35], v[8:9], v[16:17] op_sel:[0,0,1] op_sel_hi:[1,1,0] neg_lo:[0,0,1] neg_hi:[0,0,1]
	v_pk_fma_f32 v[8:9], v[34:35], v[8:9], v[16:17] op_sel:[0,0,1] op_sel_hi:[1,0,0]
	ds_read2_b64 v[68:71], v46 offset0:224 offset1:240
	v_mov_b32_e32 v43, v9
	v_pk_mul_f32 v[8:9], v[36:37], v[0:1] op_sel:[0,1]
	v_pk_add_f32 v[4:5], v[4:5], v[42:43]
	v_pk_fma_f32 v[16:17], v[36:37], v[0:1], v[8:9] op_sel:[0,0,1] op_sel_hi:[1,1,0] neg_lo:[0,0,1] neg_hi:[0,0,1]
	v_pk_fma_f32 v[0:1], v[36:37], v[0:1], v[8:9] op_sel:[0,0,1] op_sel_hi:[1,0,0]
	v_mov_b32_e32 v83, v85
	v_mov_b32_e32 v17, v1
	v_pk_add_f32 v[0:1], v[4:5], v[16:17]
	s_waitcnt lgkmcnt(1)
	v_pk_mul_f32 v[4:5], v[38:39], v[64:65] op_sel:[0,1]
	v_mov_b32_e32 v91, v93
	v_pk_fma_f32 v[8:9], v[38:39], v[64:65], v[4:5] op_sel:[0,0,1] op_sel_hi:[1,1,0] neg_lo:[0,0,1] neg_hi:[0,0,1]
	v_pk_fma_f32 v[4:5], v[38:39], v[64:65], v[4:5] op_sel:[0,0,1] op_sel_hi:[1,0,0]
	v_pk_mul_f32 v[120:121], v[54:55], v[2:3] op_sel:[0,1]
	v_mov_b32_e32 v9, v5
	s_waitcnt lgkmcnt(0)
	v_pk_mul_f32 v[4:5], v[40:41], v[68:69] op_sel:[0,1]
	v_pk_add_f32 v[0:1], v[0:1], v[8:9]
	v_pk_fma_f32 v[8:9], v[40:41], v[68:69], v[4:5] op_sel:[0,0,1] op_sel_hi:[1,1,0] neg_lo:[0,0,1] neg_hi:[0,0,1]
	v_pk_fma_f32 v[4:5], v[40:41], v[68:69], v[4:5] op_sel:[0,0,1] op_sel_hi:[1,0,0]
	v_mov_b32_e32 v75, v77
	v_mov_b32_e32 v9, v5
	v_pk_mul_f32 v[4:5], v[48:49], v[6:7] op_sel:[0,1]
	v_pk_add_f32 v[16:17], v[0:1], v[8:9]
	v_pk_fma_f32 v[8:9], v[48:49], v[6:7], v[4:5] op_sel:[0,0,1] op_sel_hi:[1,1,0] neg_lo:[0,0,1] neg_hi:[0,0,1]
	v_pk_fma_f32 v[4:5], v[48:49], v[6:7], v[4:5] op_sel:[0,0,1] op_sel_hi:[1,0,0]
	v_pk_add_f32 v[0:1], v[14:15], v[82:83]
	v_mov_b32_e32 v9, v5
	v_pk_mul_f32 v[4:5], v[50:51], v[58:59] op_sel:[0,1]
	v_pk_add_f32 v[0:1], v[0:1], v[90:91]
	v_pk_fma_f32 v[6:7], v[50:51], v[58:59], v[4:5] op_sel:[0,0,1] op_sel_hi:[1,1,0] neg_lo:[0,0,1] neg_hi:[0,0,1]
	v_pk_fma_f32 v[4:5], v[50:51], v[58:59], v[4:5] op_sel:[0,0,1] op_sel_hi:[1,0,0]
	v_pk_add_f32 v[0:1], v[0:1], v[8:9]
	v_mov_b32_e32 v7, v5
	v_pk_mul_f32 v[4:5], v[34:35], v[10:11] op_sel:[0,1]
	v_pk_add_f32 v[0:1], v[0:1], v[6:7]
	v_pk_fma_f32 v[6:7], v[34:35], v[10:11], v[4:5] op_sel:[0,0,1] op_sel_hi:[1,1,0] neg_lo:[0,0,1] neg_hi:[0,0,1]
	v_pk_fma_f32 v[4:5], v[34:35], v[10:11], v[4:5] op_sel:[0,0,1] op_sel_hi:[1,0,0]
	v_pk_fma_f32 v[122:123], v[54:55], v[2:3], v[120:121] op_sel:[0,0,1] op_sel_hi:[1,1,0] neg_lo:[0,0,1] neg_hi:[0,0,1]
	v_mov_b32_e32 v7, v5
	v_pk_mul_f32 v[4:5], v[36:37], v[2:3] op_sel:[0,1]
	v_pk_fma_f32 v[54:55], v[54:55], v[2:3], v[120:121] op_sel:[0,0,1] op_sel_hi:[1,0,0]
	v_mov_b32_e32 v95, v97
	v_pk_add_f32 v[18:19], v[18:19], v[74:75]
	v_mov_b32_e32 v103, v105
	v_pk_add_f32 v[0:1], v[0:1], v[6:7]
	v_pk_fma_f32 v[6:7], v[36:37], v[2:3], v[4:5] op_sel:[0,0,1] op_sel_hi:[1,1,0] neg_lo:[0,0,1] neg_hi:[0,0,1]
	v_pk_fma_f32 v[2:3], v[36:37], v[2:3], v[4:5] op_sel:[0,0,1] op_sel_hi:[1,0,0]
	v_pk_add_f32 v[20:21], v[20:21], v[94:95]
	v_mov_b32_e32 v99, v101
	v_pk_add_f32 v[18:19], v[18:19], v[102:103]
	v_mov_b32_e32 v107, v109
	v_mov_b32_e32 v7, v3
	v_pk_mul_f32 v[2:3], v[38:39], v[66:67] op_sel:[0,1]
	v_pk_mul_f32 v[120:121], v[60:61], v[64:65] op_sel:[0,1]
	;; [unrolled: 1-line block ×3, first 2 shown]
	v_pk_add_f32 v[20:21], v[20:21], v[98:99]
	v_mov_b32_e32 v111, v113
	v_pk_add_f32 v[18:19], v[18:19], v[106:107]
	v_mov_b32_e32 v119, v53
	v_pk_fma_f32 v[4:5], v[38:39], v[66:67], v[2:3] op_sel:[0,0,1] op_sel_hi:[1,1,0] neg_lo:[0,0,1] neg_hi:[0,0,1]
	v_pk_fma_f32 v[2:3], v[38:39], v[66:67], v[2:3] op_sel:[0,0,1] op_sel_hi:[1,0,0]
	v_pk_fma_f32 v[124:125], v[60:61], v[64:65], v[120:121] op_sel:[0,0,1] op_sel_hi:[1,1,0] neg_lo:[0,0,1] neg_hi:[0,0,1]
	v_pk_fma_f32 v[120:121], v[60:61], v[64:65], v[120:121] op_sel:[0,0,1] op_sel_hi:[1,0,0]
	v_pk_mul_f32 v[126:127], v[62:63], v[68:69] op_sel:[0,1]
	v_pk_fma_f32 v[132:133], v[60:61], v[66:67], v[130:131] op_sel:[0,0,1] op_sel_hi:[1,1,0] neg_lo:[0,0,1] neg_hi:[0,0,1]
	v_pk_fma_f32 v[60:61], v[60:61], v[66:67], v[130:131] op_sel:[0,0,1] op_sel_hi:[1,0,0]
	v_pk_mul_f32 v[130:131], v[62:63], v[70:71] op_sel:[0,1]
	v_pk_add_f32 v[20:21], v[20:21], v[110:111]
	v_mov_b32_e32 v115, v117
	v_pk_add_f32 v[18:19], v[18:19], v[118:119]
	v_mov_b32_e32 v123, v55
	;; [unrolled: 2-line block ×3, first 2 shown]
	v_pk_mul_f32 v[2:3], v[40:41], v[70:71] op_sel:[0,1]
	v_pk_fma_f32 v[128:129], v[62:63], v[68:69], v[126:127] op_sel:[0,0,1] op_sel_hi:[1,1,0] neg_lo:[0,0,1] neg_hi:[0,0,1]
	v_pk_fma_f32 v[126:127], v[62:63], v[68:69], v[126:127] op_sel:[0,0,1] op_sel_hi:[1,0,0]
	v_pk_fma_f32 v[134:135], v[62:63], v[70:71], v[130:131] op_sel:[0,0,1] op_sel_hi:[1,1,0] neg_lo:[0,0,1] neg_hi:[0,0,1]
	v_pk_fma_f32 v[62:63], v[62:63], v[70:71], v[130:131] op_sel:[0,0,1] op_sel_hi:[1,0,0]
	v_pk_add_f32 v[20:21], v[20:21], v[114:115]
	v_mov_b32_e32 v125, v121
	v_pk_add_f32 v[18:19], v[18:19], v[122:123]
	v_mov_b32_e32 v133, v61
	v_pk_add_f32 v[0:1], v[0:1], v[4:5]
	v_pk_fma_f32 v[4:5], v[40:41], v[70:71], v[2:3] op_sel:[0,0,1] op_sel_hi:[1,1,0] neg_lo:[0,0,1] neg_hi:[0,0,1]
	v_pk_fma_f32 v[2:3], v[40:41], v[70:71], v[2:3] op_sel:[0,0,1] op_sel_hi:[1,0,0]
	s_addc_u32 s7, s7, 0
	v_pk_add_f32 v[20:21], v[20:21], v[124:125]
	v_mov_b32_e32 v129, v127
	v_pk_add_f32 v[18:19], v[18:19], v[132:133]
	v_mov_b32_e32 v135, v63
	v_mov_b32_e32 v5, v3
	v_cmp_lt_i64_e32 vcc, s[6:7], v[32:33]
	v_pk_add_f32 v[20:21], v[20:21], v[128:129]
	v_pk_add_f32 v[18:19], v[18:19], v[134:135]
	;; [unrolled: 1-line block ×3, first 2 shown]
	v_lshl_add_u64 v[28:29], v[28:29], 0, s[4:5]
	v_lshl_add_u64 v[30:31], v[30:31], 0, 64
	s_barrier
	s_cbranch_vccz .LBB258_9
.LBB258_3:                              ; =>This Inner Loop Header: Depth=1
	v_lshl_add_u64 v[0:1], v[24:25], 0, s[6:7]
	v_cmp_le_i64_e32 vcc, s[12:13], v[0:1]
	s_or_b64 s[18:19], s[16:17], vcc
	s_and_saveexec_b64 s[20:21], s[18:19]
	s_xor_b64 s[18:19], exec, s[20:21]
; %bb.4:                                ;   in Loop: Header=BB258_3 Depth=1
	ds_write_b32 v44, v25
; %bb.5:                                ;   in Loop: Header=BB258_3 Depth=1
	s_or_saveexec_b64 s[18:19], s[18:19]
	v_mov_b32_e32 v2, 0
	v_mov_b32_e32 v0, 0
	s_xor_b64 exec, exec, s[18:19]
	s_cbranch_execz .LBB258_7
; %bb.6:                                ;   in Loop: Header=BB258_3 Depth=1
	flat_load_dwordx2 v[4:5], v[30:31]
	s_waitcnt vmcnt(0) lgkmcnt(0)
	v_xor_b32_e32 v0, 0x80000000, v5
	ds_write_b32 v44, v4
.LBB258_7:                              ;   in Loop: Header=BB258_3 Depth=1
	s_or_b64 exec, exec, s[18:19]
	ds_write_b32 v44, v0 offset:4
	v_lshl_add_u64 v[0:1], v[26:27], 0, s[6:7]
	v_cmp_gt_i64_e32 vcc, s[12:13], v[0:1]
	s_and_b64 s[20:21], vcc, s[0:1]
	v_mov_b32_e32 v3, 0
	s_and_saveexec_b64 s[18:19], s[20:21]
	s_cbranch_execz .LBB258_2
; %bb.8:                                ;   in Loop: Header=BB258_3 Depth=1
	flat_load_dwordx2 v[2:3], v[28:29]
	s_branch .LBB258_2
.LBB258_9:
	s_lshl_b64 s[0:1], s[38:39], 3
	s_waitcnt lgkmcnt(0)
	s_add_u32 s6, s40, s0
	s_addc_u32 s7, s41, s1
	s_or_b32 s0, s34, s35
	v_lshl_add_u64 v[0:1], s[2:3], 0, v[22:23]
	s_bitset0_b32 s0, 31
	s_cmp_lg_u32 s0, 0
	v_cmp_gt_i64_e64 s[0:1], s[10:11], v[0:1]
	s_mov_b64 s[2:3], -1
	s_cbranch_scc1 .LBB258_21
; %bb.10:
	s_and_saveexec_b64 s[12:13], s[0:1]
	s_cbranch_execz .LBB258_20
; %bb.11:
	v_mul_lo_u32 v6, v1, s36
	v_mul_lo_u32 v7, v0, s37
	v_mad_u64_u32 v[4:5], s[2:3], v0, s36, 0
	v_add3_u32 v5, v5, v7, v6
	v_lshl_add_u64 v[2:3], s[30:31], 0, v[12:13]
	v_lshl_add_u64 v[4:5], v[4:5], 3, s[6:7]
	v_cmp_gt_i64_e32 vcc, s[8:9], v[2:3]
	s_mov_b32 s16, s14
	s_mov_b32 s17, s14
	;; [unrolled: 1-line block ×4, first 2 shown]
	v_lshl_add_u64 v[6:7], v[2:3], 3, v[4:5]
	s_and_saveexec_b64 s[2:3], vcc
	s_cbranch_execz .LBB258_13
; %bb.12:
	v_pk_mul_f32 v[8:9], v[20:21], s[18:19]
	s_nop 0
	v_pk_fma_f32 v[10:11], v[20:21], s[16:17], v[8:9] op_sel:[0,0,1] op_sel_hi:[1,1,0] neg_lo:[0,0,1] neg_hi:[0,0,1]
	v_pk_fma_f32 v[8:9], v[20:21], s[16:17], v[8:9] op_sel:[0,0,1] op_sel_hi:[1,1,0]
	s_nop 0
	v_mov_b32_e32 v11, v9
	flat_store_dwordx2 v[6:7], v[10:11]
.LBB258_13:
	s_or_b64 exec, exec, s[2:3]
	v_lshl_add_u64 v[8:9], v[2:3], 0, 16
	v_cmp_gt_i64_e64 s[2:3], s[8:9], v[8:9]
	s_and_saveexec_b64 s[4:5], s[2:3]
	s_cbranch_execz .LBB258_15
; %bb.14:
	v_pk_mul_f32 v[8:9], v[18:19], s[18:19]
	s_nop 0
	v_pk_fma_f32 v[10:11], v[18:19], s[16:17], v[8:9] op_sel:[0,0,1] op_sel_hi:[1,1,0] neg_lo:[0,0,1] neg_hi:[0,0,1]
	v_pk_fma_f32 v[8:9], v[18:19], s[16:17], v[8:9] op_sel:[0,0,1] op_sel_hi:[1,1,0]
	s_nop 0
	v_mov_b32_e32 v11, v9
	flat_store_dwordx2 v[6:7], v[10:11] offset:128
.LBB258_15:
	s_or_b64 exec, exec, s[4:5]
	v_lshl_add_u64 v[6:7], v[0:1], 0, 16
	v_cmp_gt_i64_e64 s[4:5], s[10:11], v[6:7]
	s_and_b64 exec, exec, s[4:5]
	s_cbranch_execz .LBB258_20
; %bb.16:
	s_lshl_b64 s[4:5], s[36:37], 7
	v_lshl_add_u64 v[4:5], v[4:5], 0, s[4:5]
	v_lshl_add_u64 v[2:3], v[2:3], 3, v[4:5]
	s_and_saveexec_b64 s[4:5], vcc
	s_cbranch_execz .LBB258_18
; %bb.17:
	v_pk_mul_f32 v[4:5], v[16:17], s[18:19]
	s_nop 0
	v_pk_fma_f32 v[6:7], v[16:17], s[16:17], v[4:5] op_sel:[0,0,1] op_sel_hi:[1,1,0] neg_lo:[0,0,1] neg_hi:[0,0,1]
	v_pk_fma_f32 v[4:5], v[16:17], s[16:17], v[4:5] op_sel:[0,0,1] op_sel_hi:[1,1,0]
	s_nop 0
	v_mov_b32_e32 v7, v5
	flat_store_dwordx2 v[2:3], v[6:7]
.LBB258_18:
	s_or_b64 exec, exec, s[4:5]
	s_and_b64 exec, exec, s[2:3]
	s_cbranch_execz .LBB258_20
; %bb.19:
	v_pk_mul_f32 v[4:5], v[14:15], s[18:19]
	s_nop 0
	v_pk_fma_f32 v[6:7], v[14:15], s[16:17], v[4:5] op_sel:[0,0,1] op_sel_hi:[1,1,0] neg_lo:[0,0,1] neg_hi:[0,0,1]
	v_pk_fma_f32 v[4:5], v[14:15], s[16:17], v[4:5] op_sel:[0,0,1] op_sel_hi:[1,1,0]
	s_nop 0
	v_mov_b32_e32 v7, v5
	flat_store_dwordx2 v[2:3], v[6:7] offset:128
.LBB258_20:
	s_or_b64 exec, exec, s[12:13]
	s_mov_b64 s[2:3], 0
.LBB258_21:
	s_andn2_b64 vcc, exec, s[2:3]
	s_cbranch_vccnz .LBB258_32
; %bb.22:
	s_and_saveexec_b64 s[2:3], s[0:1]
	s_cbranch_execz .LBB258_32
; %bb.23:
	s_lshl_b64 s[0:1], s[28:29], 3
	v_mul_lo_u32 v4, v1, s26
	v_mul_lo_u32 v5, v0, s27
	v_mad_u64_u32 v[2:3], s[2:3], v0, s26, 0
	s_add_u32 s0, s24, s0
	v_add3_u32 v3, v3, v5, v4
	v_mul_lo_u32 v6, v1, s36
	v_mul_lo_u32 v7, v0, s37
	v_mad_u64_u32 v[4:5], s[2:3], v0, s36, 0
	s_addc_u32 s1, s25, s1
	v_lshl_add_u64 v[8:9], s[30:31], 0, v[12:13]
	v_add3_u32 v5, v5, v7, v6
	v_cmp_gt_i64_e32 vcc, s[8:9], v[8:9]
	s_mov_b32 s4, s14
	s_mov_b32 s5, s14
	;; [unrolled: 1-line block ×6, first 2 shown]
	v_lshl_add_u64 v[6:7], v[2:3], 3, s[0:1]
	v_lshl_add_u64 v[4:5], v[4:5], 3, s[6:7]
	v_lshlrev_b64 v[2:3], 3, v[8:9]
	s_and_saveexec_b64 s[0:1], vcc
	s_cbranch_execz .LBB258_25
; %bb.24:
	v_lshl_add_u64 v[10:11], v[6:7], 0, v[2:3]
	flat_load_dwordx2 v[10:11], v[10:11]
	v_pk_mul_f32 v[22:23], v[20:21], s[14:15]
	v_lshl_add_u64 v[12:13], v[4:5], 0, v[2:3]
	v_pk_fma_f32 v[24:25], v[20:21], s[4:5], v[22:23] op_sel:[0,0,1] op_sel_hi:[1,1,0] neg_lo:[0,0,1] neg_hi:[0,0,1]
	v_pk_fma_f32 v[20:21], v[20:21], s[4:5], v[22:23] op_sel:[0,0,1] op_sel_hi:[1,1,0]
	s_nop 0
	v_mov_b32_e32 v25, v21
	s_waitcnt vmcnt(0) lgkmcnt(0)
	v_pk_mul_f32 v[20:21], v[10:11], s[34:35]
	s_nop 0
	v_pk_fma_f32 v[22:23], v[10:11], s[12:13], v[20:21] op_sel:[0,0,1] op_sel_hi:[1,1,0] neg_lo:[0,0,1] neg_hi:[0,0,1]
	v_pk_fma_f32 v[10:11], v[10:11], s[12:13], v[20:21] op_sel:[0,0,1] op_sel_hi:[1,1,0]
	s_nop 0
	v_mov_b32_e32 v23, v11
	v_pk_add_f32 v[10:11], v[24:25], v[22:23]
	flat_store_dwordx2 v[12:13], v[10:11]
.LBB258_25:
	s_or_b64 exec, exec, s[0:1]
	v_lshl_add_u64 v[8:9], v[8:9], 0, 16
	v_cmp_gt_i64_e64 s[0:1], s[8:9], v[8:9]
	s_and_saveexec_b64 s[2:3], s[0:1]
	s_cbranch_execz .LBB258_27
; %bb.26:
	v_lshl_add_u64 v[8:9], v[6:7], 0, v[2:3]
	flat_load_dwordx2 v[8:9], v[8:9] offset:128
	v_pk_mul_f32 v[12:13], v[18:19], s[14:15]
	v_lshl_add_u64 v[10:11], v[4:5], 0, v[2:3]
	v_pk_fma_f32 v[20:21], v[18:19], s[4:5], v[12:13] op_sel:[0,0,1] op_sel_hi:[1,1,0] neg_lo:[0,0,1] neg_hi:[0,0,1]
	v_pk_fma_f32 v[12:13], v[18:19], s[4:5], v[12:13] op_sel:[0,0,1] op_sel_hi:[1,1,0]
	s_nop 0
	v_mov_b32_e32 v21, v13
	s_waitcnt vmcnt(0) lgkmcnt(0)
	v_pk_mul_f32 v[12:13], v[8:9], s[34:35]
	s_nop 0
	v_pk_fma_f32 v[18:19], v[8:9], s[12:13], v[12:13] op_sel:[0,0,1] op_sel_hi:[1,1,0] neg_lo:[0,0,1] neg_hi:[0,0,1]
	v_pk_fma_f32 v[8:9], v[8:9], s[12:13], v[12:13] op_sel:[0,0,1] op_sel_hi:[1,1,0]
	s_nop 0
	v_mov_b32_e32 v19, v9
	v_pk_add_f32 v[8:9], v[20:21], v[18:19]
	flat_store_dwordx2 v[10:11], v[8:9] offset:128
.LBB258_27:
	s_or_b64 exec, exec, s[2:3]
	v_lshl_add_u64 v[0:1], v[0:1], 0, 16
	v_cmp_gt_i64_e64 s[2:3], s[10:11], v[0:1]
	s_and_b64 exec, exec, s[2:3]
	s_cbranch_execz .LBB258_32
; %bb.28:
	s_lshl_b64 s[2:3], s[26:27], 7
	v_lshl_add_u64 v[0:1], v[6:7], 0, s[2:3]
	s_lshl_b64 s[2:3], s[36:37], 7
	v_lshl_add_u64 v[6:7], v[4:5], 0, s[2:3]
	v_lshl_add_u64 v[4:5], v[0:1], 0, v[2:3]
	;; [unrolled: 1-line block ×3, first 2 shown]
	s_and_saveexec_b64 s[2:3], vcc
	s_cbranch_execz .LBB258_30
; %bb.29:
	flat_load_dwordx2 v[2:3], v[4:5]
	v_pk_mul_f32 v[6:7], v[16:17], s[14:15]
	s_nop 0
	v_pk_fma_f32 v[8:9], v[16:17], s[4:5], v[6:7] op_sel:[0,0,1] op_sel_hi:[1,1,0] neg_lo:[0,0,1] neg_hi:[0,0,1]
	v_pk_fma_f32 v[6:7], v[16:17], s[4:5], v[6:7] op_sel:[0,0,1] op_sel_hi:[1,1,0]
	s_nop 0
	v_mov_b32_e32 v9, v7
	s_waitcnt vmcnt(0) lgkmcnt(0)
	v_pk_mul_f32 v[6:7], v[2:3], s[34:35]
	s_nop 0
	v_pk_fma_f32 v[10:11], v[2:3], s[12:13], v[6:7] op_sel:[0,0,1] op_sel_hi:[1,1,0] neg_lo:[0,0,1] neg_hi:[0,0,1]
	v_pk_fma_f32 v[2:3], v[2:3], s[12:13], v[6:7] op_sel:[0,0,1] op_sel_hi:[1,1,0]
	s_nop 0
	v_mov_b32_e32 v11, v3
	v_pk_add_f32 v[2:3], v[8:9], v[10:11]
	flat_store_dwordx2 v[0:1], v[2:3]
.LBB258_30:
	s_or_b64 exec, exec, s[2:3]
	s_and_b64 exec, exec, s[0:1]
	s_cbranch_execz .LBB258_32
; %bb.31:
	flat_load_dwordx2 v[2:3], v[4:5] offset:128
	v_pk_mul_f32 v[4:5], v[14:15], s[14:15]
	s_nop 0
	v_pk_fma_f32 v[6:7], v[14:15], s[4:5], v[4:5] op_sel:[0,0,1] op_sel_hi:[1,1,0] neg_lo:[0,0,1] neg_hi:[0,0,1]
	v_pk_fma_f32 v[4:5], v[14:15], s[4:5], v[4:5] op_sel:[0,0,1] op_sel_hi:[1,1,0]
	s_nop 0
	v_mov_b32_e32 v7, v5
	s_waitcnt vmcnt(0) lgkmcnt(0)
	v_pk_mul_f32 v[4:5], v[2:3], s[34:35]
	s_nop 0
	v_pk_fma_f32 v[8:9], v[2:3], s[12:13], v[4:5] op_sel:[0,0,1] op_sel_hi:[1,1,0] neg_lo:[0,0,1] neg_hi:[0,0,1]
	v_pk_fma_f32 v[2:3], v[2:3], s[12:13], v[4:5] op_sel:[0,0,1] op_sel_hi:[1,1,0]
	s_nop 0
	v_mov_b32_e32 v9, v3
	v_pk_add_f32 v[2:3], v[6:7], v[8:9]
	flat_store_dwordx2 v[0:1], v[2:3] offset:128
.LBB258_32:
	s_endpgm
	.section	.rodata,"a",@progbits
	.p2align	6, 0x0
	.amdhsa_kernel _ZN12_GLOBAL__N_135rocblas_gemm_batched_general_kernelI19rocblas_complex_numIfELi16ELi16ELi32ELi32ELi8ELi32ELi8ELi8ELi32ELc67ELc84EKPKS2_S5_KPS2_EEvlllT_PT11_llSA_llS8_PT12_llPT13_lli
		.amdhsa_group_segment_fixed_size 4096
		.amdhsa_private_segment_fixed_size 0
		.amdhsa_kernarg_size 140
		.amdhsa_user_sgpr_count 2
		.amdhsa_user_sgpr_dispatch_ptr 0
		.amdhsa_user_sgpr_queue_ptr 0
		.amdhsa_user_sgpr_kernarg_segment_ptr 1
		.amdhsa_user_sgpr_dispatch_id 0
		.amdhsa_user_sgpr_kernarg_preload_length 0
		.amdhsa_user_sgpr_kernarg_preload_offset 0
		.amdhsa_user_sgpr_private_segment_size 0
		.amdhsa_uses_dynamic_stack 0
		.amdhsa_enable_private_segment 0
		.amdhsa_system_sgpr_workgroup_id_x 1
		.amdhsa_system_sgpr_workgroup_id_y 1
		.amdhsa_system_sgpr_workgroup_id_z 1
		.amdhsa_system_sgpr_workgroup_info 0
		.amdhsa_system_vgpr_workitem_id 1
		.amdhsa_next_free_vgpr 136
		.amdhsa_next_free_sgpr 46
		.amdhsa_accum_offset 136
		.amdhsa_reserve_vcc 1
		.amdhsa_float_round_mode_32 0
		.amdhsa_float_round_mode_16_64 0
		.amdhsa_float_denorm_mode_32 3
		.amdhsa_float_denorm_mode_16_64 3
		.amdhsa_dx10_clamp 1
		.amdhsa_ieee_mode 1
		.amdhsa_fp16_overflow 0
		.amdhsa_tg_split 0
		.amdhsa_exception_fp_ieee_invalid_op 0
		.amdhsa_exception_fp_denorm_src 0
		.amdhsa_exception_fp_ieee_div_zero 0
		.amdhsa_exception_fp_ieee_overflow 0
		.amdhsa_exception_fp_ieee_underflow 0
		.amdhsa_exception_fp_ieee_inexact 0
		.amdhsa_exception_int_div_zero 0
	.end_amdhsa_kernel
	.section	.text._ZN12_GLOBAL__N_135rocblas_gemm_batched_general_kernelI19rocblas_complex_numIfELi16ELi16ELi32ELi32ELi8ELi32ELi8ELi8ELi32ELc67ELc84EKPKS2_S5_KPS2_EEvlllT_PT11_llSA_llS8_PT12_llPT13_lli,"axG",@progbits,_ZN12_GLOBAL__N_135rocblas_gemm_batched_general_kernelI19rocblas_complex_numIfELi16ELi16ELi32ELi32ELi8ELi32ELi8ELi8ELi32ELc67ELc84EKPKS2_S5_KPS2_EEvlllT_PT11_llSA_llS8_PT12_llPT13_lli,comdat
.Lfunc_end258:
	.size	_ZN12_GLOBAL__N_135rocblas_gemm_batched_general_kernelI19rocblas_complex_numIfELi16ELi16ELi32ELi32ELi8ELi32ELi8ELi8ELi32ELc67ELc84EKPKS2_S5_KPS2_EEvlllT_PT11_llSA_llS8_PT12_llPT13_lli, .Lfunc_end258-_ZN12_GLOBAL__N_135rocblas_gemm_batched_general_kernelI19rocblas_complex_numIfELi16ELi16ELi32ELi32ELi8ELi32ELi8ELi8ELi32ELc67ELc84EKPKS2_S5_KPS2_EEvlllT_PT11_llSA_llS8_PT12_llPT13_lli
                                        ; -- End function
	.set _ZN12_GLOBAL__N_135rocblas_gemm_batched_general_kernelI19rocblas_complex_numIfELi16ELi16ELi32ELi32ELi8ELi32ELi8ELi8ELi32ELc67ELc84EKPKS2_S5_KPS2_EEvlllT_PT11_llSA_llS8_PT12_llPT13_lli.num_vgpr, 136
	.set _ZN12_GLOBAL__N_135rocblas_gemm_batched_general_kernelI19rocblas_complex_numIfELi16ELi16ELi32ELi32ELi8ELi32ELi8ELi8ELi32ELc67ELc84EKPKS2_S5_KPS2_EEvlllT_PT11_llSA_llS8_PT12_llPT13_lli.num_agpr, 0
	.set _ZN12_GLOBAL__N_135rocblas_gemm_batched_general_kernelI19rocblas_complex_numIfELi16ELi16ELi32ELi32ELi8ELi32ELi8ELi8ELi32ELc67ELc84EKPKS2_S5_KPS2_EEvlllT_PT11_llSA_llS8_PT12_llPT13_lli.numbered_sgpr, 46
	.set _ZN12_GLOBAL__N_135rocblas_gemm_batched_general_kernelI19rocblas_complex_numIfELi16ELi16ELi32ELi32ELi8ELi32ELi8ELi8ELi32ELc67ELc84EKPKS2_S5_KPS2_EEvlllT_PT11_llSA_llS8_PT12_llPT13_lli.num_named_barrier, 0
	.set _ZN12_GLOBAL__N_135rocblas_gemm_batched_general_kernelI19rocblas_complex_numIfELi16ELi16ELi32ELi32ELi8ELi32ELi8ELi8ELi32ELc67ELc84EKPKS2_S5_KPS2_EEvlllT_PT11_llSA_llS8_PT12_llPT13_lli.private_seg_size, 0
	.set _ZN12_GLOBAL__N_135rocblas_gemm_batched_general_kernelI19rocblas_complex_numIfELi16ELi16ELi32ELi32ELi8ELi32ELi8ELi8ELi32ELc67ELc84EKPKS2_S5_KPS2_EEvlllT_PT11_llSA_llS8_PT12_llPT13_lli.uses_vcc, 1
	.set _ZN12_GLOBAL__N_135rocblas_gemm_batched_general_kernelI19rocblas_complex_numIfELi16ELi16ELi32ELi32ELi8ELi32ELi8ELi8ELi32ELc67ELc84EKPKS2_S5_KPS2_EEvlllT_PT11_llSA_llS8_PT12_llPT13_lli.uses_flat_scratch, 0
	.set _ZN12_GLOBAL__N_135rocblas_gemm_batched_general_kernelI19rocblas_complex_numIfELi16ELi16ELi32ELi32ELi8ELi32ELi8ELi8ELi32ELc67ELc84EKPKS2_S5_KPS2_EEvlllT_PT11_llSA_llS8_PT12_llPT13_lli.has_dyn_sized_stack, 0
	.set _ZN12_GLOBAL__N_135rocblas_gemm_batched_general_kernelI19rocblas_complex_numIfELi16ELi16ELi32ELi32ELi8ELi32ELi8ELi8ELi32ELc67ELc84EKPKS2_S5_KPS2_EEvlllT_PT11_llSA_llS8_PT12_llPT13_lli.has_recursion, 0
	.set _ZN12_GLOBAL__N_135rocblas_gemm_batched_general_kernelI19rocblas_complex_numIfELi16ELi16ELi32ELi32ELi8ELi32ELi8ELi8ELi32ELc67ELc84EKPKS2_S5_KPS2_EEvlllT_PT11_llSA_llS8_PT12_llPT13_lli.has_indirect_call, 0
	.section	.AMDGPU.csdata,"",@progbits
; Kernel info:
; codeLenInByte = 3176
; TotalNumSgprs: 52
; NumVgprs: 136
; NumAgprs: 0
; TotalNumVgprs: 136
; ScratchSize: 0
; MemoryBound: 0
; FloatMode: 240
; IeeeMode: 1
; LDSByteSize: 4096 bytes/workgroup (compile time only)
; SGPRBlocks: 6
; VGPRBlocks: 16
; NumSGPRsForWavesPerEU: 52
; NumVGPRsForWavesPerEU: 136
; AccumOffset: 136
; Occupancy: 3
; WaveLimiterHint : 1
; COMPUTE_PGM_RSRC2:SCRATCH_EN: 0
; COMPUTE_PGM_RSRC2:USER_SGPR: 2
; COMPUTE_PGM_RSRC2:TRAP_HANDLER: 0
; COMPUTE_PGM_RSRC2:TGID_X_EN: 1
; COMPUTE_PGM_RSRC2:TGID_Y_EN: 1
; COMPUTE_PGM_RSRC2:TGID_Z_EN: 1
; COMPUTE_PGM_RSRC2:TIDIG_COMP_CNT: 1
; COMPUTE_PGM_RSRC3_GFX90A:ACCUM_OFFSET: 33
; COMPUTE_PGM_RSRC3_GFX90A:TG_SPLIT: 0
	.section	.text._ZN12_GLOBAL__N_135rocblas_gemm_batched_general_kernelI19rocblas_complex_numIfELi16ELi16ELi32ELi32ELi8ELi32ELi8ELi8ELi32ELc78ELc67EKPKS2_S5_KPS2_EEvlllT_PT11_llSA_llS8_PT12_llPT13_lli,"axG",@progbits,_ZN12_GLOBAL__N_135rocblas_gemm_batched_general_kernelI19rocblas_complex_numIfELi16ELi16ELi32ELi32ELi8ELi32ELi8ELi8ELi32ELc78ELc67EKPKS2_S5_KPS2_EEvlllT_PT11_llSA_llS8_PT12_llPT13_lli,comdat
	.globl	_ZN12_GLOBAL__N_135rocblas_gemm_batched_general_kernelI19rocblas_complex_numIfELi16ELi16ELi32ELi32ELi8ELi32ELi8ELi8ELi32ELc78ELc67EKPKS2_S5_KPS2_EEvlllT_PT11_llSA_llS8_PT12_llPT13_lli ; -- Begin function _ZN12_GLOBAL__N_135rocblas_gemm_batched_general_kernelI19rocblas_complex_numIfELi16ELi16ELi32ELi32ELi8ELi32ELi8ELi8ELi32ELc78ELc67EKPKS2_S5_KPS2_EEvlllT_PT11_llSA_llS8_PT12_llPT13_lli
	.p2align	8
	.type	_ZN12_GLOBAL__N_135rocblas_gemm_batched_general_kernelI19rocblas_complex_numIfELi16ELi16ELi32ELi32ELi8ELi32ELi8ELi8ELi32ELc78ELc67EKPKS2_S5_KPS2_EEvlllT_PT11_llSA_llS8_PT12_llPT13_lli,@function
_ZN12_GLOBAL__N_135rocblas_gemm_batched_general_kernelI19rocblas_complex_numIfELi16ELi16ELi32ELi32ELi8ELi32ELi8ELi8ELi32ELc78ELc67EKPKS2_S5_KPS2_EEvlllT_PT11_llSA_llS8_PT12_llPT13_lli: ; @_ZN12_GLOBAL__N_135rocblas_gemm_batched_general_kernelI19rocblas_complex_numIfELi16ELi16ELi32ELi32ELi8ELi32ELi8ELi8ELi32ELc78ELc67EKPKS2_S5_KPS2_EEvlllT_PT11_llSA_llS8_PT12_llPT13_lli
; %bb.0:
	s_load_dwordx16 s[8:23], s[0:1], 0x0
	s_load_dwordx4 s[36:39], s[0:1], 0x78
	s_load_dwordx8 s[24:31], s[0:1], 0x58
	s_load_dwordx2 s[34:35], s[0:1], 0x50
	s_mov_b32 s5, 0
	s_lshl_b64 s[46:47], s[4:5], 3
	s_mov_b32 s44, s3
	s_waitcnt lgkmcnt(0)
	s_add_u32 s4, s24, s46
	s_addc_u32 s5, s25, s47
	s_load_dwordx2 s[24:25], s[4:5], 0x0
	s_add_u32 s4, s30, s46
	s_addc_u32 s5, s31, s47
	s_load_dwordx2 s[42:43], s[4:5], 0x0
	v_mov_b32_e32 v23, 0
	s_ashr_i32 s3, s2, 31
	s_ashr_i32 s45, s44, 31
	v_cmp_lt_i64_e64 s[4:5], s[12:13], 1
	v_and_b32_e32 v12, 0x3ff, v0
	v_bfe_u32 v22, v0, 10, 10
	v_mov_b32_e32 v13, v23
	s_lshl_b64 s[30:31], s[2:3], 5
	s_lshl_b64 s[40:41], s[44:45], 5
	s_and_b64 vcc, exec, s[4:5]
	v_mov_b32_e32 v21, v23
	v_mov_b32_e32 v20, v23
	;; [unrolled: 1-line block ×8, first 2 shown]
	s_cbranch_vccnz .LBB259_9
; %bb.1:
	s_load_dwordx4 s[4:7], s[0:1], 0x40
	v_lshl_add_u32 v6, v22, 4, v12
	v_mov_b32_e32 v25, 0
	s_add_u32 s0, s22, s46
	s_addc_u32 s1, s23, s47
	v_lshrrev_b32_e32 v0, 3, v6
	v_mov_b32_e32 v1, v25
	s_load_dwordx2 s[22:23], s[0:1], 0x0
	s_add_u32 s0, s16, s46
	v_lshl_add_u64 v[2:3], v[0:1], 0, s[40:41]
	v_and_b32_e32 v1, 31, v6
	v_and_b32_e32 v26, 7, v12
	s_addc_u32 s1, s17, s47
	v_or_b32_e32 v4, s30, v1
	v_mov_b32_e32 v5, s31
	s_load_dwordx2 s[16:17], s[0:1], 0x0
	v_cmp_gt_i64_e64 s[0:1], s[8:9], v[4:5]
	v_lshlrev_b32_e32 v4, 3, v1
	v_lshlrev_b32_e32 v1, 3, v26
	v_lshl_or_b32 v0, v0, 6, v1
	v_add_u32_e32 v45, 0x800, v0
	v_mov_b32_e32 v0, 0x800
	v_lshl_add_u32 v47, v22, 6, v0
	s_waitcnt lgkmcnt(0)
	v_mad_u64_u32 v[0:1], s[46:47], s4, v26, 0
	v_cmp_gt_i64_e32 vcc, s[10:11], v[2:3]
	v_mov_b32_e32 v2, v1
	s_lshl_b64 s[44:45], s[44:45], 8
	s_lshl_b64 s[6:7], s[6:7], 3
	v_mad_u64_u32 v[2:3], s[46:47], s5, v26, v[2:3]
	s_add_u32 s6, s6, s44
	v_mov_b32_e32 v1, v2
	s_addc_u32 s7, s7, s45
	v_lshl_add_u64 v[0:1], v[0:1], 3, s[6:7]
	v_and_b32_e32 v2, 0x7ff8, v6
	v_mov_b32_e32 v3, v25
	v_lshrrev_b32_e32 v24, 5, v6
	v_lshl_add_u64 v[0:1], v[0:1], 0, v[2:3]
	v_lshl_add_u64 v[28:29], s[22:23], 0, v[0:1]
	v_mad_u64_u32 v[0:1], s[6:7], s18, v24, 0
	v_mov_b32_e32 v2, v1
	v_mad_u64_u32 v[2:3], s[6:7], s19, v24, v[2:3]
	s_lshl_b64 s[4:5], s[4:5], 6
	s_lshl_b64 s[2:3], s[2:3], 8
	;; [unrolled: 1-line block ×3, first 2 shown]
	s_add_u32 s2, s6, s2
	v_mov_b32_e32 v1, v2
	s_addc_u32 s3, s7, s3
	v_lshl_add_u64 v[0:1], v[0:1], 3, s[2:3]
	v_mov_b32_e32 v5, v25
	v_lshl_add_u64 v[0:1], v[0:1], 0, v[4:5]
	v_mov_b32_e32 v27, v25
	v_lshl_or_b32 v44, v24, 8, v4
	v_lshlrev_b32_e32 v46, 3, v12
	v_lshl_add_u64 v[30:31], s[16:17], 0, v[0:1]
	s_lshl_b64 s[2:3], s[18:19], 6
	s_mov_b64 s[6:7], 0
	s_xor_b64 s[16:17], vcc, -1
	v_mov_b64_e32 v[32:33], s[12:13]
	v_mov_b32_e32 v14, v25
	v_mov_b32_e32 v15, v25
	;; [unrolled: 1-line block ×8, first 2 shown]
	s_branch .LBB259_3
.LBB259_2:                              ;   in Loop: Header=BB259_3 Depth=1
	s_or_b64 exec, exec, s[18:19]
	ds_write_b32 v45, v0 offset:4
	s_waitcnt lgkmcnt(0)
	s_barrier
	ds_read2_b64 v[4:7], v46 offset1:16
	ds_read_b128 v[48:51], v47
	ds_read2_b64 v[8:11], v46 offset0:32 offset1:48
	ds_read_b128 v[0:3], v47 offset:16
	ds_read_b128 v[52:55], v47 offset:1024
	s_add_u32 s6, s6, 8
	s_waitcnt lgkmcnt(3)
	v_pk_mul_f32 v[36:37], v[48:49], v[4:5] op_sel:[0,1]
	v_pk_mul_f32 v[56:57], v[48:49], v[6:7] op_sel:[0,1]
	v_pk_fma_f32 v[34:35], v[48:49], v[4:5], v[36:37] op_sel:[0,0,1] op_sel_hi:[1,1,0] neg_lo:[0,0,1] neg_hi:[0,0,1]
	v_pk_fma_f32 v[36:37], v[48:49], v[4:5], v[36:37] op_sel:[0,0,1] op_sel_hi:[1,0,0]
	s_waitcnt lgkmcnt(2)
	v_pk_mul_f32 v[40:41], v[50:51], v[8:9] op_sel:[0,1]
	v_pk_fma_f32 v[42:43], v[48:49], v[6:7], v[56:57] op_sel:[0,0,1] op_sel_hi:[1,1,0] neg_lo:[0,0,1] neg_hi:[0,0,1]
	v_pk_fma_f32 v[68:69], v[48:49], v[6:7], v[56:57] op_sel:[0,0,1] op_sel_hi:[1,0,0]
	v_pk_mul_f32 v[48:49], v[50:51], v[10:11] op_sel:[0,1]
	v_pk_fma_f32 v[38:39], v[50:51], v[8:9], v[40:41] op_sel:[0,0,1] op_sel_hi:[1,1,0] neg_lo:[0,0,1] neg_hi:[0,0,1]
	v_pk_fma_f32 v[40:41], v[50:51], v[8:9], v[40:41] op_sel:[0,0,1] op_sel_hi:[1,0,0]
	v_pk_fma_f32 v[70:71], v[50:51], v[10:11], v[48:49] op_sel:[0,0,1] op_sel_hi:[1,1,0] neg_lo:[0,0,1] neg_hi:[0,0,1]
	v_pk_fma_f32 v[72:73], v[50:51], v[10:11], v[48:49] op_sel:[0,0,1] op_sel_hi:[1,0,0]
	ds_read_b128 v[48:51], v47 offset:1040
	s_waitcnt lgkmcnt(1)
	v_pk_mul_f32 v[56:57], v[52:53], v[4:5] op_sel:[0,1]
	v_mov_b32_e32 v43, v69
	v_pk_fma_f32 v[74:75], v[52:53], v[4:5], v[56:57] op_sel:[0,0,1] op_sel_hi:[1,1,0] neg_lo:[0,0,1] neg_hi:[0,0,1]
	v_pk_fma_f32 v[76:77], v[52:53], v[4:5], v[56:57] op_sel:[0,0,1] op_sel_hi:[1,0,0]
	v_pk_mul_f32 v[4:5], v[52:53], v[6:7] op_sel:[0,1]
	ds_read2_b64 v[56:59], v46 offset0:96 offset1:112
	v_pk_fma_f32 v[78:79], v[52:53], v[6:7], v[4:5] op_sel:[0,0,1] op_sel_hi:[1,1,0] neg_lo:[0,0,1] neg_hi:[0,0,1]
	v_pk_fma_f32 v[80:81], v[52:53], v[6:7], v[4:5] op_sel:[0,0,1] op_sel_hi:[1,0,0]
	v_pk_mul_f32 v[4:5], v[54:55], v[8:9] op_sel:[0,1]
	v_pk_add_f32 v[18:19], v[18:19], v[42:43]
	v_pk_fma_f32 v[82:83], v[54:55], v[8:9], v[4:5] op_sel:[0,0,1] op_sel_hi:[1,1,0] neg_lo:[0,0,1] neg_hi:[0,0,1]
	v_pk_fma_f32 v[84:85], v[54:55], v[8:9], v[4:5] op_sel:[0,0,1] op_sel_hi:[1,0,0]
	ds_read2_b64 v[4:7], v46 offset0:64 offset1:80
	v_pk_mul_f32 v[8:9], v[54:55], v[10:11] op_sel:[0,1]
	v_mov_b32_e32 v71, v73
	v_pk_fma_f32 v[86:87], v[54:55], v[10:11], v[8:9] op_sel:[0,0,1] op_sel_hi:[1,1,0] neg_lo:[0,0,1] neg_hi:[0,0,1]
	v_pk_fma_f32 v[88:89], v[54:55], v[10:11], v[8:9] op_sel:[0,0,1] op_sel_hi:[1,0,0]
	s_waitcnt lgkmcnt(0)
	v_pk_mul_f32 v[8:9], v[0:1], v[4:5] op_sel:[0,1]
	v_pk_mul_f32 v[60:61], v[0:1], v[6:7] op_sel:[0,1]
	v_pk_fma_f32 v[90:91], v[0:1], v[4:5], v[8:9] op_sel:[0,0,1] op_sel_hi:[1,1,0] neg_lo:[0,0,1] neg_hi:[0,0,1]
	v_pk_fma_f32 v[92:93], v[0:1], v[4:5], v[8:9] op_sel:[0,0,1] op_sel_hi:[1,0,0]
	v_pk_mul_f32 v[8:9], v[2:3], v[56:57] op_sel:[0,1]
	v_pk_fma_f32 v[98:99], v[0:1], v[6:7], v[60:61] op_sel:[0,0,1] op_sel_hi:[1,1,0] neg_lo:[0,0,1] neg_hi:[0,0,1]
	v_pk_fma_f32 v[94:95], v[2:3], v[56:57], v[8:9] op_sel:[0,0,1] op_sel_hi:[1,1,0] neg_lo:[0,0,1] neg_hi:[0,0,1]
	v_pk_fma_f32 v[96:97], v[2:3], v[56:57], v[8:9] op_sel:[0,0,1] op_sel_hi:[1,0,0]
	ds_read2_b64 v[8:11], v46 offset0:128 offset1:144
	ds_read_b128 v[52:55], v47 offset:32
	v_pk_fma_f32 v[100:101], v[0:1], v[6:7], v[60:61] op_sel:[0,0,1] op_sel_hi:[1,0,0]
	v_pk_mul_f32 v[0:1], v[2:3], v[58:59] op_sel:[0,1]
	v_pk_add_f32 v[18:19], v[18:19], v[70:71]
	v_pk_fma_f32 v[102:103], v[2:3], v[58:59], v[0:1] op_sel:[0,0,1] op_sel_hi:[1,1,0] neg_lo:[0,0,1] neg_hi:[0,0,1]
	s_waitcnt lgkmcnt(0)
	v_pk_mul_f32 v[60:61], v[52:53], v[8:9] op_sel:[0,1]
	v_pk_fma_f32 v[104:105], v[2:3], v[58:59], v[0:1] op_sel:[0,0,1] op_sel_hi:[1,0,0]
	v_pk_fma_f32 v[106:107], v[52:53], v[8:9], v[60:61] op_sel:[0,0,1] op_sel_hi:[1,1,0] neg_lo:[0,0,1] neg_hi:[0,0,1]
	v_pk_fma_f32 v[108:109], v[52:53], v[8:9], v[60:61] op_sel:[0,0,1] op_sel_hi:[1,0,0]
	ds_read2_b64 v[60:63], v46 offset0:160 offset1:176
	ds_read_b128 v[0:3], v47 offset:48
	v_mov_b32_e32 v99, v101
	v_pk_add_f32 v[18:19], v[18:19], v[98:99]
	v_mov_b32_e32 v103, v105
	s_waitcnt lgkmcnt(1)
	v_pk_mul_f32 v[64:65], v[54:55], v[60:61] op_sel:[0,1]
	v_pk_add_f32 v[18:19], v[18:19], v[102:103]
	v_pk_fma_f32 v[110:111], v[54:55], v[60:61], v[64:65] op_sel:[0,0,1] op_sel_hi:[1,1,0] neg_lo:[0,0,1] neg_hi:[0,0,1]
	v_pk_fma_f32 v[112:113], v[54:55], v[60:61], v[64:65] op_sel:[0,0,1] op_sel_hi:[1,0,0]
	v_pk_mul_f32 v[64:65], v[52:53], v[10:11] op_sel:[0,1]
	v_mov_b32_e32 v75, v77
	v_pk_fma_f32 v[114:115], v[52:53], v[10:11], v[64:65] op_sel:[0,0,1] op_sel_hi:[1,1,0] neg_lo:[0,0,1] neg_hi:[0,0,1]
	v_pk_fma_f32 v[116:117], v[52:53], v[10:11], v[64:65] op_sel:[0,0,1] op_sel_hi:[1,0,0]
	v_pk_mul_f32 v[52:53], v[54:55], v[62:63] op_sel:[0,1]
	v_mov_b32_e32 v115, v117
	v_pk_fma_f32 v[118:119], v[54:55], v[62:63], v[52:53] op_sel:[0,0,1] op_sel_hi:[1,1,0] neg_lo:[0,0,1] neg_hi:[0,0,1]
	v_pk_fma_f32 v[120:121], v[54:55], v[62:63], v[52:53] op_sel:[0,0,1] op_sel_hi:[1,0,0]
	ds_read2_b64 v[52:55], v46 offset0:192 offset1:208
	v_pk_add_f32 v[18:19], v[18:19], v[114:115]
	v_mov_b32_e32 v119, v121
	v_pk_add_f32 v[18:19], v[18:19], v[118:119]
	v_mov_b32_e32 v83, v85
	s_waitcnt lgkmcnt(0)
	v_pk_mul_f32 v[64:65], v[0:1], v[52:53] op_sel:[0,1]
	v_pk_mul_f32 v[130:131], v[0:1], v[54:55] op_sel:[0,1]
	v_pk_fma_f32 v[122:123], v[0:1], v[52:53], v[64:65] op_sel:[0,0,1] op_sel_hi:[1,1,0] neg_lo:[0,0,1] neg_hi:[0,0,1]
	v_pk_fma_f32 v[124:125], v[0:1], v[52:53], v[64:65] op_sel:[0,0,1] op_sel_hi:[1,0,0]
	ds_read2_b64 v[64:67], v46 offset0:224 offset1:240
	v_pk_fma_f32 v[132:133], v[0:1], v[54:55], v[130:131] op_sel:[0,0,1] op_sel_hi:[1,1,0] neg_lo:[0,0,1] neg_hi:[0,0,1]
	v_pk_fma_f32 v[0:1], v[0:1], v[54:55], v[130:131] op_sel:[0,0,1] op_sel_hi:[1,0,0]
	v_mov_b32_e32 v35, v37
	v_mov_b32_e32 v133, v1
	s_waitcnt lgkmcnt(0)
	v_pk_mul_f32 v[126:127], v[2:3], v[64:65] op_sel:[0,1]
	v_pk_mul_f32 v[130:131], v[2:3], v[66:67] op_sel:[0,1]
	v_pk_fma_f32 v[128:129], v[2:3], v[64:65], v[126:127] op_sel:[0,0,1] op_sel_hi:[1,1,0] neg_lo:[0,0,1] neg_hi:[0,0,1]
	v_pk_fma_f32 v[126:127], v[2:3], v[64:65], v[126:127] op_sel:[0,0,1] op_sel_hi:[1,0,0]
	v_pk_fma_f32 v[134:135], v[2:3], v[66:67], v[130:131] op_sel:[0,0,1] op_sel_hi:[1,1,0] neg_lo:[0,0,1] neg_hi:[0,0,1]
	v_pk_fma_f32 v[2:3], v[2:3], v[66:67], v[130:131] op_sel:[0,0,1] op_sel_hi:[1,0,0]
	v_pk_add_f32 v[0:1], v[18:19], v[132:133]
	v_mov_b32_e32 v135, v3
	v_pk_mul_f32 v[2:3], v[48:49], v[4:5] op_sel:[0,1]
	v_pk_add_f32 v[18:19], v[0:1], v[134:135]
	v_pk_add_f32 v[0:1], v[16:17], v[74:75]
	v_pk_fma_f32 v[16:17], v[48:49], v[4:5], v[2:3] op_sel:[0,0,1] op_sel_hi:[1,1,0] neg_lo:[0,0,1] neg_hi:[0,0,1]
	v_pk_fma_f32 v[2:3], v[48:49], v[4:5], v[2:3] op_sel:[0,0,1] op_sel_hi:[1,0,0]
	v_pk_add_f32 v[0:1], v[0:1], v[82:83]
	v_mov_b32_e32 v17, v3
	v_pk_add_f32 v[4:5], v[0:1], v[16:17]
	ds_read_b128 v[0:3], v47 offset:1056
	v_pk_mul_f32 v[16:17], v[50:51], v[56:57] op_sel:[0,1]
	v_pk_add_f32 v[20:21], v[20:21], v[34:35]
	v_pk_fma_f32 v[34:35], v[50:51], v[56:57], v[16:17] op_sel:[0,0,1] op_sel_hi:[1,1,0] neg_lo:[0,0,1] neg_hi:[0,0,1]
	v_pk_fma_f32 v[16:17], v[50:51], v[56:57], v[16:17] op_sel:[0,0,1] op_sel_hi:[1,0,0]
	v_mov_b32_e32 v39, v41
	v_mov_b32_e32 v35, v17
	v_pk_add_f32 v[4:5], v[4:5], v[34:35]
	ds_read_b128 v[34:37], v47 offset:1072
	s_waitcnt lgkmcnt(1)
	v_pk_mul_f32 v[16:17], v[0:1], v[8:9] op_sel:[0,1]
	v_pk_add_f32 v[20:21], v[20:21], v[38:39]
	v_pk_fma_f32 v[38:39], v[0:1], v[8:9], v[16:17] op_sel:[0,0,1] op_sel_hi:[1,1,0] neg_lo:[0,0,1] neg_hi:[0,0,1]
	v_pk_fma_f32 v[8:9], v[0:1], v[8:9], v[16:17] op_sel:[0,0,1] op_sel_hi:[1,0,0]
	v_mov_b32_e32 v79, v81
	v_mov_b32_e32 v39, v9
	v_pk_mul_f32 v[8:9], v[2:3], v[60:61] op_sel:[0,1]
	v_pk_add_f32 v[4:5], v[4:5], v[38:39]
	v_pk_fma_f32 v[16:17], v[2:3], v[60:61], v[8:9] op_sel:[0,0,1] op_sel_hi:[1,1,0] neg_lo:[0,0,1] neg_hi:[0,0,1]
	v_pk_fma_f32 v[8:9], v[2:3], v[60:61], v[8:9] op_sel:[0,0,1] op_sel_hi:[1,0,0]
	v_mov_b32_e32 v87, v89
	v_mov_b32_e32 v17, v9
	s_waitcnt lgkmcnt(0)
	v_pk_mul_f32 v[8:9], v[34:35], v[52:53] op_sel:[0,1]
	v_pk_add_f32 v[4:5], v[4:5], v[16:17]
	v_pk_fma_f32 v[16:17], v[34:35], v[52:53], v[8:9] op_sel:[0,0,1] op_sel_hi:[1,1,0] neg_lo:[0,0,1] neg_hi:[0,0,1]
	v_pk_fma_f32 v[8:9], v[34:35], v[52:53], v[8:9] op_sel:[0,0,1] op_sel_hi:[1,0,0]
	v_mov_b32_e32 v91, v93
	v_mov_b32_e32 v17, v9
	v_pk_mul_f32 v[8:9], v[36:37], v[64:65] op_sel:[0,1]
	v_pk_add_f32 v[4:5], v[4:5], v[16:17]
	v_pk_fma_f32 v[16:17], v[36:37], v[64:65], v[8:9] op_sel:[0,0,1] op_sel_hi:[1,1,0] neg_lo:[0,0,1] neg_hi:[0,0,1]
	v_pk_fma_f32 v[8:9], v[36:37], v[64:65], v[8:9] op_sel:[0,0,1] op_sel_hi:[1,0,0]
	v_pk_add_f32 v[20:21], v[20:21], v[90:91]
	v_mov_b32_e32 v17, v9
	v_pk_mul_f32 v[8:9], v[48:49], v[6:7] op_sel:[0,1]
	v_pk_add_f32 v[16:17], v[4:5], v[16:17]
	v_pk_add_f32 v[4:5], v[14:15], v[78:79]
	v_pk_fma_f32 v[14:15], v[48:49], v[6:7], v[8:9] op_sel:[0,0,1] op_sel_hi:[1,1,0] neg_lo:[0,0,1] neg_hi:[0,0,1]
	v_pk_fma_f32 v[6:7], v[48:49], v[6:7], v[8:9] op_sel:[0,0,1] op_sel_hi:[1,0,0]
	v_pk_add_f32 v[4:5], v[4:5], v[86:87]
	v_mov_b32_e32 v15, v7
	v_pk_mul_f32 v[6:7], v[50:51], v[58:59] op_sel:[0,1]
	v_pk_add_f32 v[4:5], v[4:5], v[14:15]
	v_pk_fma_f32 v[8:9], v[50:51], v[58:59], v[6:7] op_sel:[0,0,1] op_sel_hi:[1,1,0] neg_lo:[0,0,1] neg_hi:[0,0,1]
	v_pk_fma_f32 v[6:7], v[50:51], v[58:59], v[6:7] op_sel:[0,0,1] op_sel_hi:[1,0,0]
	v_mov_b32_e32 v95, v97
	v_mov_b32_e32 v9, v7
	v_pk_mul_f32 v[6:7], v[0:1], v[10:11] op_sel:[0,1]
	v_pk_add_f32 v[4:5], v[4:5], v[8:9]
	v_pk_fma_f32 v[8:9], v[0:1], v[10:11], v[6:7] op_sel:[0,0,1] op_sel_hi:[1,1,0] neg_lo:[0,0,1] neg_hi:[0,0,1]
	v_pk_fma_f32 v[0:1], v[0:1], v[10:11], v[6:7] op_sel:[0,0,1] op_sel_hi:[1,0,0]
	v_pk_add_f32 v[20:21], v[20:21], v[94:95]
	v_mov_b32_e32 v9, v1
	v_pk_add_f32 v[0:1], v[4:5], v[8:9]
	v_pk_mul_f32 v[4:5], v[2:3], v[62:63] op_sel:[0,1]
	v_mov_b32_e32 v107, v109
	v_pk_fma_f32 v[6:7], v[2:3], v[62:63], v[4:5] op_sel:[0,0,1] op_sel_hi:[1,1,0] neg_lo:[0,0,1] neg_hi:[0,0,1]
	v_pk_fma_f32 v[2:3], v[2:3], v[62:63], v[4:5] op_sel:[0,0,1] op_sel_hi:[1,0,0]
	v_pk_add_f32 v[20:21], v[20:21], v[106:107]
	v_mov_b32_e32 v7, v3
	v_pk_mul_f32 v[2:3], v[34:35], v[54:55] op_sel:[0,1]
	v_mov_b32_e32 v111, v113
	v_pk_fma_f32 v[4:5], v[34:35], v[54:55], v[2:3] op_sel:[0,0,1] op_sel_hi:[1,1,0] neg_lo:[0,0,1] neg_hi:[0,0,1]
	v_pk_fma_f32 v[2:3], v[34:35], v[54:55], v[2:3] op_sel:[0,0,1] op_sel_hi:[1,0,0]
	v_pk_add_f32 v[0:1], v[0:1], v[6:7]
	v_mov_b32_e32 v5, v3
	v_pk_mul_f32 v[2:3], v[36:37], v[66:67] op_sel:[0,1]
	v_pk_add_f32 v[20:21], v[20:21], v[110:111]
	v_mov_b32_e32 v123, v125
	v_pk_add_f32 v[0:1], v[0:1], v[4:5]
	v_pk_fma_f32 v[4:5], v[36:37], v[66:67], v[2:3] op_sel:[0,0,1] op_sel_hi:[1,1,0] neg_lo:[0,0,1] neg_hi:[0,0,1]
	v_pk_fma_f32 v[2:3], v[36:37], v[66:67], v[2:3] op_sel:[0,0,1] op_sel_hi:[1,0,0]
	s_addc_u32 s7, s7, 0
	v_pk_add_f32 v[20:21], v[20:21], v[122:123]
	v_mov_b32_e32 v129, v127
	v_mov_b32_e32 v5, v3
	v_cmp_lt_i64_e32 vcc, s[6:7], v[32:33]
	v_pk_add_f32 v[20:21], v[20:21], v[128:129]
	v_pk_add_f32 v[14:15], v[0:1], v[4:5]
	v_lshl_add_u64 v[28:29], v[28:29], 0, s[4:5]
	v_lshl_add_u64 v[30:31], v[30:31], 0, s[2:3]
	s_barrier
	s_cbranch_vccz .LBB259_9
.LBB259_3:                              ; =>This Inner Loop Header: Depth=1
	v_lshl_add_u64 v[0:1], v[24:25], 0, s[6:7]
	v_cmp_gt_i64_e32 vcc, s[12:13], v[0:1]
	s_and_b64 s[20:21], s[0:1], vcc
	v_mov_b32_e32 v0, 0
	v_mov_b32_e32 v1, 0
	s_and_saveexec_b64 s[18:19], s[20:21]
	s_cbranch_execz .LBB259_5
; %bb.4:                                ;   in Loop: Header=BB259_3 Depth=1
	flat_load_dwordx2 v[0:1], v[30:31]
.LBB259_5:                              ;   in Loop: Header=BB259_3 Depth=1
	s_or_b64 exec, exec, s[18:19]
	s_waitcnt vmcnt(0) lgkmcnt(0)
	ds_write_b64 v44, v[0:1]
	v_lshl_add_u64 v[0:1], v[26:27], 0, s[6:7]
	v_cmp_le_i64_e32 vcc, s[12:13], v[0:1]
	s_or_b64 s[18:19], vcc, s[16:17]
	s_and_saveexec_b64 s[20:21], s[18:19]
	s_xor_b64 s[18:19], exec, s[20:21]
; %bb.6:                                ;   in Loop: Header=BB259_3 Depth=1
	ds_write_b32 v45, v25
; %bb.7:                                ;   in Loop: Header=BB259_3 Depth=1
	s_or_saveexec_b64 s[18:19], s[18:19]
	v_mov_b32_e32 v0, 0
	s_xor_b64 exec, exec, s[18:19]
	s_cbranch_execz .LBB259_2
; %bb.8:                                ;   in Loop: Header=BB259_3 Depth=1
	flat_load_dwordx2 v[2:3], v[28:29]
	s_waitcnt vmcnt(0) lgkmcnt(0)
	v_xor_b32_e32 v0, 0x80000000, v3
	ds_write_b32 v45, v2
	s_branch .LBB259_2
.LBB259_9:
	s_lshl_b64 s[0:1], s[38:39], 3
	s_waitcnt lgkmcnt(0)
	s_add_u32 s6, s42, s0
	s_addc_u32 s7, s43, s1
	s_or_b32 s0, s34, s35
	v_lshl_add_u64 v[0:1], s[40:41], 0, v[22:23]
	s_bitset0_b32 s0, 31
	s_cmp_lg_u32 s0, 0
	v_cmp_gt_i64_e64 s[0:1], s[10:11], v[0:1]
	s_mov_b64 s[2:3], -1
	s_cbranch_scc1 .LBB259_21
; %bb.10:
	s_and_saveexec_b64 s[12:13], s[0:1]
	s_cbranch_execz .LBB259_20
; %bb.11:
	v_mul_lo_u32 v6, v1, s36
	v_mul_lo_u32 v7, v0, s37
	v_mad_u64_u32 v[4:5], s[2:3], v0, s36, 0
	v_add3_u32 v5, v5, v7, v6
	v_lshl_add_u64 v[2:3], s[30:31], 0, v[12:13]
	v_lshl_add_u64 v[4:5], v[4:5], 3, s[6:7]
	v_cmp_gt_i64_e32 vcc, s[8:9], v[2:3]
	s_mov_b32 s16, s14
	s_mov_b32 s17, s14
	;; [unrolled: 1-line block ×4, first 2 shown]
	v_lshl_add_u64 v[6:7], v[2:3], 3, v[4:5]
	s_and_saveexec_b64 s[2:3], vcc
	s_cbranch_execz .LBB259_13
; %bb.12:
	v_pk_mul_f32 v[8:9], v[20:21], s[18:19]
	s_nop 0
	v_pk_fma_f32 v[10:11], v[20:21], s[16:17], v[8:9] op_sel:[0,0,1] op_sel_hi:[1,1,0] neg_lo:[0,0,1] neg_hi:[0,0,1]
	v_pk_fma_f32 v[8:9], v[20:21], s[16:17], v[8:9] op_sel:[0,0,1] op_sel_hi:[1,1,0]
	s_nop 0
	v_mov_b32_e32 v11, v9
	flat_store_dwordx2 v[6:7], v[10:11]
.LBB259_13:
	s_or_b64 exec, exec, s[2:3]
	v_lshl_add_u64 v[8:9], v[2:3], 0, 16
	v_cmp_gt_i64_e64 s[2:3], s[8:9], v[8:9]
	s_and_saveexec_b64 s[4:5], s[2:3]
	s_cbranch_execz .LBB259_15
; %bb.14:
	v_pk_mul_f32 v[8:9], v[18:19], s[18:19]
	s_nop 0
	v_pk_fma_f32 v[10:11], v[18:19], s[16:17], v[8:9] op_sel:[0,0,1] op_sel_hi:[1,1,0] neg_lo:[0,0,1] neg_hi:[0,0,1]
	v_pk_fma_f32 v[8:9], v[18:19], s[16:17], v[8:9] op_sel:[0,0,1] op_sel_hi:[1,1,0]
	s_nop 0
	v_mov_b32_e32 v11, v9
	flat_store_dwordx2 v[6:7], v[10:11] offset:128
.LBB259_15:
	s_or_b64 exec, exec, s[4:5]
	v_lshl_add_u64 v[6:7], v[0:1], 0, 16
	v_cmp_gt_i64_e64 s[4:5], s[10:11], v[6:7]
	s_and_b64 exec, exec, s[4:5]
	s_cbranch_execz .LBB259_20
; %bb.16:
	s_lshl_b64 s[4:5], s[36:37], 7
	v_lshl_add_u64 v[4:5], v[4:5], 0, s[4:5]
	v_lshl_add_u64 v[2:3], v[2:3], 3, v[4:5]
	s_and_saveexec_b64 s[4:5], vcc
	s_cbranch_execz .LBB259_18
; %bb.17:
	v_pk_mul_f32 v[4:5], v[16:17], s[18:19]
	s_nop 0
	v_pk_fma_f32 v[6:7], v[16:17], s[16:17], v[4:5] op_sel:[0,0,1] op_sel_hi:[1,1,0] neg_lo:[0,0,1] neg_hi:[0,0,1]
	v_pk_fma_f32 v[4:5], v[16:17], s[16:17], v[4:5] op_sel:[0,0,1] op_sel_hi:[1,1,0]
	s_nop 0
	v_mov_b32_e32 v7, v5
	flat_store_dwordx2 v[2:3], v[6:7]
.LBB259_18:
	s_or_b64 exec, exec, s[4:5]
	s_and_b64 exec, exec, s[2:3]
	s_cbranch_execz .LBB259_20
; %bb.19:
	v_pk_mul_f32 v[4:5], v[14:15], s[18:19]
	s_nop 0
	v_pk_fma_f32 v[6:7], v[14:15], s[16:17], v[4:5] op_sel:[0,0,1] op_sel_hi:[1,1,0] neg_lo:[0,0,1] neg_hi:[0,0,1]
	v_pk_fma_f32 v[4:5], v[14:15], s[16:17], v[4:5] op_sel:[0,0,1] op_sel_hi:[1,1,0]
	s_nop 0
	v_mov_b32_e32 v7, v5
	flat_store_dwordx2 v[2:3], v[6:7] offset:128
.LBB259_20:
	s_or_b64 exec, exec, s[12:13]
	s_mov_b64 s[2:3], 0
.LBB259_21:
	s_andn2_b64 vcc, exec, s[2:3]
	s_cbranch_vccnz .LBB259_32
; %bb.22:
	s_and_saveexec_b64 s[2:3], s[0:1]
	s_cbranch_execz .LBB259_32
; %bb.23:
	s_lshl_b64 s[0:1], s[28:29], 3
	v_mul_lo_u32 v4, v1, s26
	v_mul_lo_u32 v5, v0, s27
	v_mad_u64_u32 v[2:3], s[2:3], v0, s26, 0
	s_add_u32 s0, s24, s0
	v_add3_u32 v3, v3, v5, v4
	v_mul_lo_u32 v6, v1, s36
	v_mul_lo_u32 v7, v0, s37
	v_mad_u64_u32 v[4:5], s[2:3], v0, s36, 0
	s_addc_u32 s1, s25, s1
	v_lshl_add_u64 v[8:9], s[30:31], 0, v[12:13]
	v_add3_u32 v5, v5, v7, v6
	v_cmp_gt_i64_e32 vcc, s[8:9], v[8:9]
	s_mov_b32 s4, s14
	s_mov_b32 s5, s14
	;; [unrolled: 1-line block ×6, first 2 shown]
	v_lshl_add_u64 v[6:7], v[2:3], 3, s[0:1]
	v_lshl_add_u64 v[4:5], v[4:5], 3, s[6:7]
	v_lshlrev_b64 v[2:3], 3, v[8:9]
	s_and_saveexec_b64 s[0:1], vcc
	s_cbranch_execz .LBB259_25
; %bb.24:
	v_lshl_add_u64 v[10:11], v[6:7], 0, v[2:3]
	flat_load_dwordx2 v[10:11], v[10:11]
	v_pk_mul_f32 v[22:23], v[20:21], s[14:15]
	v_lshl_add_u64 v[12:13], v[4:5], 0, v[2:3]
	v_pk_fma_f32 v[24:25], v[20:21], s[4:5], v[22:23] op_sel:[0,0,1] op_sel_hi:[1,1,0] neg_lo:[0,0,1] neg_hi:[0,0,1]
	v_pk_fma_f32 v[20:21], v[20:21], s[4:5], v[22:23] op_sel:[0,0,1] op_sel_hi:[1,1,0]
	s_nop 0
	v_mov_b32_e32 v25, v21
	s_waitcnt vmcnt(0) lgkmcnt(0)
	v_pk_mul_f32 v[20:21], v[10:11], s[34:35]
	s_nop 0
	v_pk_fma_f32 v[22:23], v[10:11], s[12:13], v[20:21] op_sel:[0,0,1] op_sel_hi:[1,1,0] neg_lo:[0,0,1] neg_hi:[0,0,1]
	v_pk_fma_f32 v[10:11], v[10:11], s[12:13], v[20:21] op_sel:[0,0,1] op_sel_hi:[1,1,0]
	s_nop 0
	v_mov_b32_e32 v23, v11
	v_pk_add_f32 v[10:11], v[24:25], v[22:23]
	flat_store_dwordx2 v[12:13], v[10:11]
.LBB259_25:
	s_or_b64 exec, exec, s[0:1]
	v_lshl_add_u64 v[8:9], v[8:9], 0, 16
	v_cmp_gt_i64_e64 s[0:1], s[8:9], v[8:9]
	s_and_saveexec_b64 s[2:3], s[0:1]
	s_cbranch_execz .LBB259_27
; %bb.26:
	v_lshl_add_u64 v[8:9], v[6:7], 0, v[2:3]
	flat_load_dwordx2 v[8:9], v[8:9] offset:128
	v_pk_mul_f32 v[12:13], v[18:19], s[14:15]
	v_lshl_add_u64 v[10:11], v[4:5], 0, v[2:3]
	v_pk_fma_f32 v[20:21], v[18:19], s[4:5], v[12:13] op_sel:[0,0,1] op_sel_hi:[1,1,0] neg_lo:[0,0,1] neg_hi:[0,0,1]
	v_pk_fma_f32 v[12:13], v[18:19], s[4:5], v[12:13] op_sel:[0,0,1] op_sel_hi:[1,1,0]
	s_nop 0
	v_mov_b32_e32 v21, v13
	s_waitcnt vmcnt(0) lgkmcnt(0)
	v_pk_mul_f32 v[12:13], v[8:9], s[34:35]
	s_nop 0
	v_pk_fma_f32 v[18:19], v[8:9], s[12:13], v[12:13] op_sel:[0,0,1] op_sel_hi:[1,1,0] neg_lo:[0,0,1] neg_hi:[0,0,1]
	v_pk_fma_f32 v[8:9], v[8:9], s[12:13], v[12:13] op_sel:[0,0,1] op_sel_hi:[1,1,0]
	s_nop 0
	v_mov_b32_e32 v19, v9
	v_pk_add_f32 v[8:9], v[20:21], v[18:19]
	flat_store_dwordx2 v[10:11], v[8:9] offset:128
.LBB259_27:
	s_or_b64 exec, exec, s[2:3]
	v_lshl_add_u64 v[0:1], v[0:1], 0, 16
	v_cmp_gt_i64_e64 s[2:3], s[10:11], v[0:1]
	s_and_b64 exec, exec, s[2:3]
	s_cbranch_execz .LBB259_32
; %bb.28:
	s_lshl_b64 s[2:3], s[26:27], 7
	v_lshl_add_u64 v[0:1], v[6:7], 0, s[2:3]
	s_lshl_b64 s[2:3], s[36:37], 7
	v_lshl_add_u64 v[6:7], v[4:5], 0, s[2:3]
	v_lshl_add_u64 v[4:5], v[0:1], 0, v[2:3]
	;; [unrolled: 1-line block ×3, first 2 shown]
	s_and_saveexec_b64 s[2:3], vcc
	s_cbranch_execz .LBB259_30
; %bb.29:
	flat_load_dwordx2 v[2:3], v[4:5]
	v_pk_mul_f32 v[6:7], v[16:17], s[14:15]
	s_nop 0
	v_pk_fma_f32 v[8:9], v[16:17], s[4:5], v[6:7] op_sel:[0,0,1] op_sel_hi:[1,1,0] neg_lo:[0,0,1] neg_hi:[0,0,1]
	v_pk_fma_f32 v[6:7], v[16:17], s[4:5], v[6:7] op_sel:[0,0,1] op_sel_hi:[1,1,0]
	s_nop 0
	v_mov_b32_e32 v9, v7
	s_waitcnt vmcnt(0) lgkmcnt(0)
	v_pk_mul_f32 v[6:7], v[2:3], s[34:35]
	s_nop 0
	v_pk_fma_f32 v[10:11], v[2:3], s[12:13], v[6:7] op_sel:[0,0,1] op_sel_hi:[1,1,0] neg_lo:[0,0,1] neg_hi:[0,0,1]
	v_pk_fma_f32 v[2:3], v[2:3], s[12:13], v[6:7] op_sel:[0,0,1] op_sel_hi:[1,1,0]
	s_nop 0
	v_mov_b32_e32 v11, v3
	v_pk_add_f32 v[2:3], v[8:9], v[10:11]
	flat_store_dwordx2 v[0:1], v[2:3]
.LBB259_30:
	s_or_b64 exec, exec, s[2:3]
	s_and_b64 exec, exec, s[0:1]
	s_cbranch_execz .LBB259_32
; %bb.31:
	flat_load_dwordx2 v[2:3], v[4:5] offset:128
	v_pk_mul_f32 v[4:5], v[14:15], s[14:15]
	s_nop 0
	v_pk_fma_f32 v[6:7], v[14:15], s[4:5], v[4:5] op_sel:[0,0,1] op_sel_hi:[1,1,0] neg_lo:[0,0,1] neg_hi:[0,0,1]
	v_pk_fma_f32 v[4:5], v[14:15], s[4:5], v[4:5] op_sel:[0,0,1] op_sel_hi:[1,1,0]
	s_nop 0
	v_mov_b32_e32 v7, v5
	s_waitcnt vmcnt(0) lgkmcnt(0)
	v_pk_mul_f32 v[4:5], v[2:3], s[34:35]
	s_nop 0
	v_pk_fma_f32 v[8:9], v[2:3], s[12:13], v[4:5] op_sel:[0,0,1] op_sel_hi:[1,1,0] neg_lo:[0,0,1] neg_hi:[0,0,1]
	v_pk_fma_f32 v[2:3], v[2:3], s[12:13], v[4:5] op_sel:[0,0,1] op_sel_hi:[1,1,0]
	s_nop 0
	v_mov_b32_e32 v9, v3
	v_pk_add_f32 v[2:3], v[6:7], v[8:9]
	flat_store_dwordx2 v[0:1], v[2:3] offset:128
.LBB259_32:
	s_endpgm
	.section	.rodata,"a",@progbits
	.p2align	6, 0x0
	.amdhsa_kernel _ZN12_GLOBAL__N_135rocblas_gemm_batched_general_kernelI19rocblas_complex_numIfELi16ELi16ELi32ELi32ELi8ELi32ELi8ELi8ELi32ELc78ELc67EKPKS2_S5_KPS2_EEvlllT_PT11_llSA_llS8_PT12_llPT13_lli
		.amdhsa_group_segment_fixed_size 4096
		.amdhsa_private_segment_fixed_size 0
		.amdhsa_kernarg_size 140
		.amdhsa_user_sgpr_count 2
		.amdhsa_user_sgpr_dispatch_ptr 0
		.amdhsa_user_sgpr_queue_ptr 0
		.amdhsa_user_sgpr_kernarg_segment_ptr 1
		.amdhsa_user_sgpr_dispatch_id 0
		.amdhsa_user_sgpr_kernarg_preload_length 0
		.amdhsa_user_sgpr_kernarg_preload_offset 0
		.amdhsa_user_sgpr_private_segment_size 0
		.amdhsa_uses_dynamic_stack 0
		.amdhsa_enable_private_segment 0
		.amdhsa_system_sgpr_workgroup_id_x 1
		.amdhsa_system_sgpr_workgroup_id_y 1
		.amdhsa_system_sgpr_workgroup_id_z 1
		.amdhsa_system_sgpr_workgroup_info 0
		.amdhsa_system_vgpr_workitem_id 1
		.amdhsa_next_free_vgpr 136
		.amdhsa_next_free_sgpr 48
		.amdhsa_accum_offset 136
		.amdhsa_reserve_vcc 1
		.amdhsa_float_round_mode_32 0
		.amdhsa_float_round_mode_16_64 0
		.amdhsa_float_denorm_mode_32 3
		.amdhsa_float_denorm_mode_16_64 3
		.amdhsa_dx10_clamp 1
		.amdhsa_ieee_mode 1
		.amdhsa_fp16_overflow 0
		.amdhsa_tg_split 0
		.amdhsa_exception_fp_ieee_invalid_op 0
		.amdhsa_exception_fp_denorm_src 0
		.amdhsa_exception_fp_ieee_div_zero 0
		.amdhsa_exception_fp_ieee_overflow 0
		.amdhsa_exception_fp_ieee_underflow 0
		.amdhsa_exception_fp_ieee_inexact 0
		.amdhsa_exception_int_div_zero 0
	.end_amdhsa_kernel
	.section	.text._ZN12_GLOBAL__N_135rocblas_gemm_batched_general_kernelI19rocblas_complex_numIfELi16ELi16ELi32ELi32ELi8ELi32ELi8ELi8ELi32ELc78ELc67EKPKS2_S5_KPS2_EEvlllT_PT11_llSA_llS8_PT12_llPT13_lli,"axG",@progbits,_ZN12_GLOBAL__N_135rocblas_gemm_batched_general_kernelI19rocblas_complex_numIfELi16ELi16ELi32ELi32ELi8ELi32ELi8ELi8ELi32ELc78ELc67EKPKS2_S5_KPS2_EEvlllT_PT11_llSA_llS8_PT12_llPT13_lli,comdat
.Lfunc_end259:
	.size	_ZN12_GLOBAL__N_135rocblas_gemm_batched_general_kernelI19rocblas_complex_numIfELi16ELi16ELi32ELi32ELi8ELi32ELi8ELi8ELi32ELc78ELc67EKPKS2_S5_KPS2_EEvlllT_PT11_llSA_llS8_PT12_llPT13_lli, .Lfunc_end259-_ZN12_GLOBAL__N_135rocblas_gemm_batched_general_kernelI19rocblas_complex_numIfELi16ELi16ELi32ELi32ELi8ELi32ELi8ELi8ELi32ELc78ELc67EKPKS2_S5_KPS2_EEvlllT_PT11_llSA_llS8_PT12_llPT13_lli
                                        ; -- End function
	.set _ZN12_GLOBAL__N_135rocblas_gemm_batched_general_kernelI19rocblas_complex_numIfELi16ELi16ELi32ELi32ELi8ELi32ELi8ELi8ELi32ELc78ELc67EKPKS2_S5_KPS2_EEvlllT_PT11_llSA_llS8_PT12_llPT13_lli.num_vgpr, 136
	.set _ZN12_GLOBAL__N_135rocblas_gemm_batched_general_kernelI19rocblas_complex_numIfELi16ELi16ELi32ELi32ELi8ELi32ELi8ELi8ELi32ELc78ELc67EKPKS2_S5_KPS2_EEvlllT_PT11_llSA_llS8_PT12_llPT13_lli.num_agpr, 0
	.set _ZN12_GLOBAL__N_135rocblas_gemm_batched_general_kernelI19rocblas_complex_numIfELi16ELi16ELi32ELi32ELi8ELi32ELi8ELi8ELi32ELc78ELc67EKPKS2_S5_KPS2_EEvlllT_PT11_llSA_llS8_PT12_llPT13_lli.numbered_sgpr, 48
	.set _ZN12_GLOBAL__N_135rocblas_gemm_batched_general_kernelI19rocblas_complex_numIfELi16ELi16ELi32ELi32ELi8ELi32ELi8ELi8ELi32ELc78ELc67EKPKS2_S5_KPS2_EEvlllT_PT11_llSA_llS8_PT12_llPT13_lli.num_named_barrier, 0
	.set _ZN12_GLOBAL__N_135rocblas_gemm_batched_general_kernelI19rocblas_complex_numIfELi16ELi16ELi32ELi32ELi8ELi32ELi8ELi8ELi32ELc78ELc67EKPKS2_S5_KPS2_EEvlllT_PT11_llSA_llS8_PT12_llPT13_lli.private_seg_size, 0
	.set _ZN12_GLOBAL__N_135rocblas_gemm_batched_general_kernelI19rocblas_complex_numIfELi16ELi16ELi32ELi32ELi8ELi32ELi8ELi8ELi32ELc78ELc67EKPKS2_S5_KPS2_EEvlllT_PT11_llSA_llS8_PT12_llPT13_lli.uses_vcc, 1
	.set _ZN12_GLOBAL__N_135rocblas_gemm_batched_general_kernelI19rocblas_complex_numIfELi16ELi16ELi32ELi32ELi8ELi32ELi8ELi8ELi32ELc78ELc67EKPKS2_S5_KPS2_EEvlllT_PT11_llSA_llS8_PT12_llPT13_lli.uses_flat_scratch, 0
	.set _ZN12_GLOBAL__N_135rocblas_gemm_batched_general_kernelI19rocblas_complex_numIfELi16ELi16ELi32ELi32ELi8ELi32ELi8ELi8ELi32ELc78ELc67EKPKS2_S5_KPS2_EEvlllT_PT11_llSA_llS8_PT12_llPT13_lli.has_dyn_sized_stack, 0
	.set _ZN12_GLOBAL__N_135rocblas_gemm_batched_general_kernelI19rocblas_complex_numIfELi16ELi16ELi32ELi32ELi8ELi32ELi8ELi8ELi32ELc78ELc67EKPKS2_S5_KPS2_EEvlllT_PT11_llSA_llS8_PT12_llPT13_lli.has_recursion, 0
	.set _ZN12_GLOBAL__N_135rocblas_gemm_batched_general_kernelI19rocblas_complex_numIfELi16ELi16ELi32ELi32ELi8ELi32ELi8ELi8ELi32ELc78ELc67EKPKS2_S5_KPS2_EEvlllT_PT11_llSA_llS8_PT12_llPT13_lli.has_indirect_call, 0
	.section	.AMDGPU.csdata,"",@progbits
; Kernel info:
; codeLenInByte = 3168
; TotalNumSgprs: 54
; NumVgprs: 136
; NumAgprs: 0
; TotalNumVgprs: 136
; ScratchSize: 0
; MemoryBound: 0
; FloatMode: 240
; IeeeMode: 1
; LDSByteSize: 4096 bytes/workgroup (compile time only)
; SGPRBlocks: 6
; VGPRBlocks: 16
; NumSGPRsForWavesPerEU: 54
; NumVGPRsForWavesPerEU: 136
; AccumOffset: 136
; Occupancy: 3
; WaveLimiterHint : 1
; COMPUTE_PGM_RSRC2:SCRATCH_EN: 0
; COMPUTE_PGM_RSRC2:USER_SGPR: 2
; COMPUTE_PGM_RSRC2:TRAP_HANDLER: 0
; COMPUTE_PGM_RSRC2:TGID_X_EN: 1
; COMPUTE_PGM_RSRC2:TGID_Y_EN: 1
; COMPUTE_PGM_RSRC2:TGID_Z_EN: 1
; COMPUTE_PGM_RSRC2:TIDIG_COMP_CNT: 1
; COMPUTE_PGM_RSRC3_GFX90A:ACCUM_OFFSET: 33
; COMPUTE_PGM_RSRC3_GFX90A:TG_SPLIT: 0
	.section	.text._ZN12_GLOBAL__N_135rocblas_gemm_batched_general_kernelI19rocblas_complex_numIfELi16ELi16ELi32ELi32ELi8ELi32ELi8ELi8ELi32ELc84ELc67EKPKS2_S5_KPS2_EEvlllT_PT11_llSA_llS8_PT12_llPT13_lli,"axG",@progbits,_ZN12_GLOBAL__N_135rocblas_gemm_batched_general_kernelI19rocblas_complex_numIfELi16ELi16ELi32ELi32ELi8ELi32ELi8ELi8ELi32ELc84ELc67EKPKS2_S5_KPS2_EEvlllT_PT11_llSA_llS8_PT12_llPT13_lli,comdat
	.globl	_ZN12_GLOBAL__N_135rocblas_gemm_batched_general_kernelI19rocblas_complex_numIfELi16ELi16ELi32ELi32ELi8ELi32ELi8ELi8ELi32ELc84ELc67EKPKS2_S5_KPS2_EEvlllT_PT11_llSA_llS8_PT12_llPT13_lli ; -- Begin function _ZN12_GLOBAL__N_135rocblas_gemm_batched_general_kernelI19rocblas_complex_numIfELi16ELi16ELi32ELi32ELi8ELi32ELi8ELi8ELi32ELc84ELc67EKPKS2_S5_KPS2_EEvlllT_PT11_llSA_llS8_PT12_llPT13_lli
	.p2align	8
	.type	_ZN12_GLOBAL__N_135rocblas_gemm_batched_general_kernelI19rocblas_complex_numIfELi16ELi16ELi32ELi32ELi8ELi32ELi8ELi8ELi32ELc84ELc67EKPKS2_S5_KPS2_EEvlllT_PT11_llSA_llS8_PT12_llPT13_lli,@function
_ZN12_GLOBAL__N_135rocblas_gemm_batched_general_kernelI19rocblas_complex_numIfELi16ELi16ELi32ELi32ELi8ELi32ELi8ELi8ELi32ELc84ELc67EKPKS2_S5_KPS2_EEvlllT_PT11_llSA_llS8_PT12_llPT13_lli: ; @_ZN12_GLOBAL__N_135rocblas_gemm_batched_general_kernelI19rocblas_complex_numIfELi16ELi16ELi32ELi32ELi8ELi32ELi8ELi8ELi32ELc84ELc67EKPKS2_S5_KPS2_EEvlllT_PT11_llSA_llS8_PT12_llPT13_lli
; %bb.0:
	s_load_dwordx16 s[8:23], s[0:1], 0x0
	s_load_dwordx4 s[36:39], s[0:1], 0x78
	s_load_dwordx8 s[24:31], s[0:1], 0x58
	s_load_dwordx2 s[34:35], s[0:1], 0x50
	s_mov_b32 s5, 0
	s_lshl_b64 s[44:45], s[4:5], 3
	s_mov_b32 s42, s3
	s_waitcnt lgkmcnt(0)
	s_add_u32 s4, s24, s44
	s_addc_u32 s5, s25, s45
	s_load_dwordx2 s[24:25], s[4:5], 0x0
	s_add_u32 s4, s30, s44
	s_addc_u32 s5, s31, s45
	s_load_dwordx2 s[40:41], s[4:5], 0x0
	v_mov_b32_e32 v23, 0
	s_ashr_i32 s3, s2, 31
	s_ashr_i32 s43, s42, 31
	v_cmp_lt_i64_e64 s[4:5], s[12:13], 1
	v_and_b32_e32 v12, 0x3ff, v0
	v_bfe_u32 v22, v0, 10, 10
	v_mov_b32_e32 v13, v23
	s_lshl_b64 s[30:31], s[2:3], 5
	s_lshl_b64 s[2:3], s[42:43], 5
	s_and_b64 vcc, exec, s[4:5]
	v_mov_b32_e32 v21, v23
	v_mov_b32_e32 v20, v23
	;; [unrolled: 1-line block ×8, first 2 shown]
	s_cbranch_vccnz .LBB260_9
; %bb.1:
	v_lshl_add_u32 v8, v22, 4, v12
	v_mov_b32_e32 v25, 0
	s_load_dwordx4 s[4:7], s[0:1], 0x40
	v_lshrrev_b32_e32 v0, 3, v8
	v_mov_b32_e32 v1, v25
	v_and_b32_e32 v4, 31, v8
	v_lshrrev_b32_e32 v24, 5, v8
	v_and_b32_e32 v26, 7, v12
	v_lshl_add_u64 v[2:3], v[0:1], 0, s[2:3]
	v_lshlrev_b32_e32 v1, 3, v4
	s_add_u32 s0, s22, s44
	v_lshl_or_b32 v44, v24, 8, v1
	v_lshlrev_b32_e32 v1, 3, v26
	s_addc_u32 s1, s23, s45
	v_lshl_or_b32 v0, v0, 6, v1
	s_load_dwordx2 s[22:23], s[0:1], 0x0
	s_add_u32 s0, s16, s44
	v_add_u32_e32 v45, 0x800, v0
	v_mov_b32_e32 v0, 0x800
	s_addc_u32 s1, s17, s45
	v_lshl_add_u32 v47, v22, 6, v0
	s_waitcnt lgkmcnt(0)
	v_mad_u64_u32 v[0:1], s[44:45], s4, v26, 0
	v_cmp_gt_i64_e32 vcc, s[10:11], v[2:3]
	v_mov_b32_e32 v2, v1
	s_lshl_b64 s[42:43], s[42:43], 8
	s_lshl_b64 s[6:7], s[6:7], 3
	v_mad_u64_u32 v[2:3], s[44:45], s5, v26, v[2:3]
	s_add_u32 s6, s6, s42
	v_mov_b32_e32 v1, v2
	s_addc_u32 s7, s7, s43
	v_lshl_add_u64 v[0:1], v[0:1], 3, s[6:7]
	v_and_b32_e32 v2, 0x7ff8, v8
	v_mov_b32_e32 v3, v25
	v_mov_b32_e32 v5, v25
	v_lshl_add_u64 v[0:1], v[0:1], 0, v[2:3]
	s_load_dwordx2 s[16:17], s[0:1], 0x0
	v_lshl_add_u64 v[28:29], s[22:23], 0, v[0:1]
	v_lshl_add_u64 v[0:1], s[30:31], 0, v[4:5]
	v_mul_lo_u32 v2, s19, v0
	v_mul_lo_u32 v3, s18, v1
	v_mad_u64_u32 v[0:1], s[6:7], s18, v0, 0
	v_add3_u32 v1, v1, v3, v2
	s_lshl_b64 s[6:7], s[20:21], 3
	v_lshl_add_u64 v[0:1], v[0:1], 3, s[6:7]
	v_lshlrev_b32_e32 v2, 3, v24
	v_mov_b32_e32 v3, v25
	v_or_b32_e32 v6, s30, v4
	v_mov_b32_e32 v7, s31
	v_lshl_add_u64 v[0:1], v[0:1], 0, v[2:3]
	v_mov_b32_e32 v27, v25
	v_cmp_gt_i64_e64 s[0:1], s[8:9], v[6:7]
	v_lshlrev_b32_e32 v46, 3, v12
	s_lshl_b64 s[4:5], s[4:5], 6
	s_waitcnt lgkmcnt(0)
	v_lshl_add_u64 v[30:31], s[16:17], 0, v[0:1]
	s_mov_b64 s[6:7], 0
	s_xor_b64 s[16:17], vcc, -1
	v_mov_b64_e32 v[32:33], s[12:13]
	v_mov_b32_e32 v14, v25
	v_mov_b32_e32 v15, v25
	;; [unrolled: 1-line block ×8, first 2 shown]
	s_branch .LBB260_3
.LBB260_2:                              ;   in Loop: Header=BB260_3 Depth=1
	s_or_b64 exec, exec, s[18:19]
	ds_write_b32 v45, v0 offset:4
	s_waitcnt lgkmcnt(0)
	s_barrier
	ds_read2_b64 v[4:7], v46 offset1:16
	ds_read_b128 v[48:51], v47
	ds_read2_b64 v[8:11], v46 offset0:32 offset1:48
	ds_read_b128 v[0:3], v47 offset:16
	ds_read_b128 v[52:55], v47 offset:1024
	s_add_u32 s6, s6, 8
	s_waitcnt lgkmcnt(3)
	v_pk_mul_f32 v[36:37], v[48:49], v[4:5] op_sel:[0,1]
	v_pk_mul_f32 v[56:57], v[48:49], v[6:7] op_sel:[0,1]
	v_pk_fma_f32 v[34:35], v[48:49], v[4:5], v[36:37] op_sel:[0,0,1] op_sel_hi:[1,1,0] neg_lo:[0,0,1] neg_hi:[0,0,1]
	v_pk_fma_f32 v[36:37], v[48:49], v[4:5], v[36:37] op_sel:[0,0,1] op_sel_hi:[1,0,0]
	s_waitcnt lgkmcnt(2)
	v_pk_mul_f32 v[40:41], v[50:51], v[8:9] op_sel:[0,1]
	v_pk_fma_f32 v[42:43], v[48:49], v[6:7], v[56:57] op_sel:[0,0,1] op_sel_hi:[1,1,0] neg_lo:[0,0,1] neg_hi:[0,0,1]
	v_pk_fma_f32 v[68:69], v[48:49], v[6:7], v[56:57] op_sel:[0,0,1] op_sel_hi:[1,0,0]
	v_pk_mul_f32 v[48:49], v[50:51], v[10:11] op_sel:[0,1]
	v_pk_fma_f32 v[38:39], v[50:51], v[8:9], v[40:41] op_sel:[0,0,1] op_sel_hi:[1,1,0] neg_lo:[0,0,1] neg_hi:[0,0,1]
	v_pk_fma_f32 v[40:41], v[50:51], v[8:9], v[40:41] op_sel:[0,0,1] op_sel_hi:[1,0,0]
	v_pk_fma_f32 v[70:71], v[50:51], v[10:11], v[48:49] op_sel:[0,0,1] op_sel_hi:[1,1,0] neg_lo:[0,0,1] neg_hi:[0,0,1]
	v_pk_fma_f32 v[72:73], v[50:51], v[10:11], v[48:49] op_sel:[0,0,1] op_sel_hi:[1,0,0]
	ds_read_b128 v[48:51], v47 offset:1040
	s_waitcnt lgkmcnt(1)
	v_pk_mul_f32 v[56:57], v[52:53], v[4:5] op_sel:[0,1]
	v_mov_b32_e32 v43, v69
	v_pk_fma_f32 v[74:75], v[52:53], v[4:5], v[56:57] op_sel:[0,0,1] op_sel_hi:[1,1,0] neg_lo:[0,0,1] neg_hi:[0,0,1]
	v_pk_fma_f32 v[76:77], v[52:53], v[4:5], v[56:57] op_sel:[0,0,1] op_sel_hi:[1,0,0]
	v_pk_mul_f32 v[4:5], v[52:53], v[6:7] op_sel:[0,1]
	ds_read2_b64 v[56:59], v46 offset0:96 offset1:112
	v_pk_fma_f32 v[78:79], v[52:53], v[6:7], v[4:5] op_sel:[0,0,1] op_sel_hi:[1,1,0] neg_lo:[0,0,1] neg_hi:[0,0,1]
	v_pk_fma_f32 v[80:81], v[52:53], v[6:7], v[4:5] op_sel:[0,0,1] op_sel_hi:[1,0,0]
	v_pk_mul_f32 v[4:5], v[54:55], v[8:9] op_sel:[0,1]
	v_pk_add_f32 v[18:19], v[18:19], v[42:43]
	v_pk_fma_f32 v[82:83], v[54:55], v[8:9], v[4:5] op_sel:[0,0,1] op_sel_hi:[1,1,0] neg_lo:[0,0,1] neg_hi:[0,0,1]
	v_pk_fma_f32 v[84:85], v[54:55], v[8:9], v[4:5] op_sel:[0,0,1] op_sel_hi:[1,0,0]
	ds_read2_b64 v[4:7], v46 offset0:64 offset1:80
	v_pk_mul_f32 v[8:9], v[54:55], v[10:11] op_sel:[0,1]
	v_mov_b32_e32 v71, v73
	v_pk_fma_f32 v[86:87], v[54:55], v[10:11], v[8:9] op_sel:[0,0,1] op_sel_hi:[1,1,0] neg_lo:[0,0,1] neg_hi:[0,0,1]
	v_pk_fma_f32 v[88:89], v[54:55], v[10:11], v[8:9] op_sel:[0,0,1] op_sel_hi:[1,0,0]
	s_waitcnt lgkmcnt(0)
	v_pk_mul_f32 v[8:9], v[0:1], v[4:5] op_sel:[0,1]
	v_pk_mul_f32 v[60:61], v[0:1], v[6:7] op_sel:[0,1]
	v_pk_fma_f32 v[90:91], v[0:1], v[4:5], v[8:9] op_sel:[0,0,1] op_sel_hi:[1,1,0] neg_lo:[0,0,1] neg_hi:[0,0,1]
	v_pk_fma_f32 v[92:93], v[0:1], v[4:5], v[8:9] op_sel:[0,0,1] op_sel_hi:[1,0,0]
	v_pk_mul_f32 v[8:9], v[2:3], v[56:57] op_sel:[0,1]
	v_pk_fma_f32 v[98:99], v[0:1], v[6:7], v[60:61] op_sel:[0,0,1] op_sel_hi:[1,1,0] neg_lo:[0,0,1] neg_hi:[0,0,1]
	v_pk_fma_f32 v[94:95], v[2:3], v[56:57], v[8:9] op_sel:[0,0,1] op_sel_hi:[1,1,0] neg_lo:[0,0,1] neg_hi:[0,0,1]
	v_pk_fma_f32 v[96:97], v[2:3], v[56:57], v[8:9] op_sel:[0,0,1] op_sel_hi:[1,0,0]
	ds_read2_b64 v[8:11], v46 offset0:128 offset1:144
	ds_read_b128 v[52:55], v47 offset:32
	v_pk_fma_f32 v[100:101], v[0:1], v[6:7], v[60:61] op_sel:[0,0,1] op_sel_hi:[1,0,0]
	v_pk_mul_f32 v[0:1], v[2:3], v[58:59] op_sel:[0,1]
	v_pk_add_f32 v[18:19], v[18:19], v[70:71]
	v_pk_fma_f32 v[102:103], v[2:3], v[58:59], v[0:1] op_sel:[0,0,1] op_sel_hi:[1,1,0] neg_lo:[0,0,1] neg_hi:[0,0,1]
	s_waitcnt lgkmcnt(0)
	v_pk_mul_f32 v[60:61], v[52:53], v[8:9] op_sel:[0,1]
	v_pk_fma_f32 v[104:105], v[2:3], v[58:59], v[0:1] op_sel:[0,0,1] op_sel_hi:[1,0,0]
	v_pk_fma_f32 v[106:107], v[52:53], v[8:9], v[60:61] op_sel:[0,0,1] op_sel_hi:[1,1,0] neg_lo:[0,0,1] neg_hi:[0,0,1]
	v_pk_fma_f32 v[108:109], v[52:53], v[8:9], v[60:61] op_sel:[0,0,1] op_sel_hi:[1,0,0]
	ds_read2_b64 v[60:63], v46 offset0:160 offset1:176
	ds_read_b128 v[0:3], v47 offset:48
	v_mov_b32_e32 v99, v101
	v_pk_add_f32 v[18:19], v[18:19], v[98:99]
	v_mov_b32_e32 v103, v105
	s_waitcnt lgkmcnt(1)
	v_pk_mul_f32 v[64:65], v[54:55], v[60:61] op_sel:[0,1]
	v_pk_add_f32 v[18:19], v[18:19], v[102:103]
	v_pk_fma_f32 v[110:111], v[54:55], v[60:61], v[64:65] op_sel:[0,0,1] op_sel_hi:[1,1,0] neg_lo:[0,0,1] neg_hi:[0,0,1]
	v_pk_fma_f32 v[112:113], v[54:55], v[60:61], v[64:65] op_sel:[0,0,1] op_sel_hi:[1,0,0]
	v_pk_mul_f32 v[64:65], v[52:53], v[10:11] op_sel:[0,1]
	v_mov_b32_e32 v75, v77
	v_pk_fma_f32 v[114:115], v[52:53], v[10:11], v[64:65] op_sel:[0,0,1] op_sel_hi:[1,1,0] neg_lo:[0,0,1] neg_hi:[0,0,1]
	v_pk_fma_f32 v[116:117], v[52:53], v[10:11], v[64:65] op_sel:[0,0,1] op_sel_hi:[1,0,0]
	v_pk_mul_f32 v[52:53], v[54:55], v[62:63] op_sel:[0,1]
	v_mov_b32_e32 v115, v117
	v_pk_fma_f32 v[118:119], v[54:55], v[62:63], v[52:53] op_sel:[0,0,1] op_sel_hi:[1,1,0] neg_lo:[0,0,1] neg_hi:[0,0,1]
	v_pk_fma_f32 v[120:121], v[54:55], v[62:63], v[52:53] op_sel:[0,0,1] op_sel_hi:[1,0,0]
	ds_read2_b64 v[52:55], v46 offset0:192 offset1:208
	v_pk_add_f32 v[18:19], v[18:19], v[114:115]
	v_mov_b32_e32 v119, v121
	v_pk_add_f32 v[18:19], v[18:19], v[118:119]
	v_mov_b32_e32 v83, v85
	s_waitcnt lgkmcnt(0)
	v_pk_mul_f32 v[64:65], v[0:1], v[52:53] op_sel:[0,1]
	v_pk_mul_f32 v[130:131], v[0:1], v[54:55] op_sel:[0,1]
	v_pk_fma_f32 v[122:123], v[0:1], v[52:53], v[64:65] op_sel:[0,0,1] op_sel_hi:[1,1,0] neg_lo:[0,0,1] neg_hi:[0,0,1]
	v_pk_fma_f32 v[124:125], v[0:1], v[52:53], v[64:65] op_sel:[0,0,1] op_sel_hi:[1,0,0]
	ds_read2_b64 v[64:67], v46 offset0:224 offset1:240
	v_pk_fma_f32 v[132:133], v[0:1], v[54:55], v[130:131] op_sel:[0,0,1] op_sel_hi:[1,1,0] neg_lo:[0,0,1] neg_hi:[0,0,1]
	v_pk_fma_f32 v[0:1], v[0:1], v[54:55], v[130:131] op_sel:[0,0,1] op_sel_hi:[1,0,0]
	v_mov_b32_e32 v35, v37
	v_mov_b32_e32 v133, v1
	s_waitcnt lgkmcnt(0)
	v_pk_mul_f32 v[126:127], v[2:3], v[64:65] op_sel:[0,1]
	v_pk_mul_f32 v[130:131], v[2:3], v[66:67] op_sel:[0,1]
	v_pk_fma_f32 v[128:129], v[2:3], v[64:65], v[126:127] op_sel:[0,0,1] op_sel_hi:[1,1,0] neg_lo:[0,0,1] neg_hi:[0,0,1]
	v_pk_fma_f32 v[126:127], v[2:3], v[64:65], v[126:127] op_sel:[0,0,1] op_sel_hi:[1,0,0]
	v_pk_fma_f32 v[134:135], v[2:3], v[66:67], v[130:131] op_sel:[0,0,1] op_sel_hi:[1,1,0] neg_lo:[0,0,1] neg_hi:[0,0,1]
	v_pk_fma_f32 v[2:3], v[2:3], v[66:67], v[130:131] op_sel:[0,0,1] op_sel_hi:[1,0,0]
	v_pk_add_f32 v[0:1], v[18:19], v[132:133]
	v_mov_b32_e32 v135, v3
	v_pk_mul_f32 v[2:3], v[48:49], v[4:5] op_sel:[0,1]
	v_pk_add_f32 v[18:19], v[0:1], v[134:135]
	v_pk_add_f32 v[0:1], v[16:17], v[74:75]
	v_pk_fma_f32 v[16:17], v[48:49], v[4:5], v[2:3] op_sel:[0,0,1] op_sel_hi:[1,1,0] neg_lo:[0,0,1] neg_hi:[0,0,1]
	v_pk_fma_f32 v[2:3], v[48:49], v[4:5], v[2:3] op_sel:[0,0,1] op_sel_hi:[1,0,0]
	v_pk_add_f32 v[0:1], v[0:1], v[82:83]
	v_mov_b32_e32 v17, v3
	v_pk_add_f32 v[4:5], v[0:1], v[16:17]
	ds_read_b128 v[0:3], v47 offset:1056
	v_pk_mul_f32 v[16:17], v[50:51], v[56:57] op_sel:[0,1]
	v_pk_add_f32 v[20:21], v[20:21], v[34:35]
	v_pk_fma_f32 v[34:35], v[50:51], v[56:57], v[16:17] op_sel:[0,0,1] op_sel_hi:[1,1,0] neg_lo:[0,0,1] neg_hi:[0,0,1]
	v_pk_fma_f32 v[16:17], v[50:51], v[56:57], v[16:17] op_sel:[0,0,1] op_sel_hi:[1,0,0]
	v_mov_b32_e32 v39, v41
	v_mov_b32_e32 v35, v17
	v_pk_add_f32 v[4:5], v[4:5], v[34:35]
	ds_read_b128 v[34:37], v47 offset:1072
	s_waitcnt lgkmcnt(1)
	v_pk_mul_f32 v[16:17], v[0:1], v[8:9] op_sel:[0,1]
	v_pk_add_f32 v[20:21], v[20:21], v[38:39]
	v_pk_fma_f32 v[38:39], v[0:1], v[8:9], v[16:17] op_sel:[0,0,1] op_sel_hi:[1,1,0] neg_lo:[0,0,1] neg_hi:[0,0,1]
	v_pk_fma_f32 v[8:9], v[0:1], v[8:9], v[16:17] op_sel:[0,0,1] op_sel_hi:[1,0,0]
	v_mov_b32_e32 v79, v81
	v_mov_b32_e32 v39, v9
	v_pk_mul_f32 v[8:9], v[2:3], v[60:61] op_sel:[0,1]
	v_pk_add_f32 v[4:5], v[4:5], v[38:39]
	v_pk_fma_f32 v[16:17], v[2:3], v[60:61], v[8:9] op_sel:[0,0,1] op_sel_hi:[1,1,0] neg_lo:[0,0,1] neg_hi:[0,0,1]
	v_pk_fma_f32 v[8:9], v[2:3], v[60:61], v[8:9] op_sel:[0,0,1] op_sel_hi:[1,0,0]
	v_mov_b32_e32 v87, v89
	v_mov_b32_e32 v17, v9
	s_waitcnt lgkmcnt(0)
	v_pk_mul_f32 v[8:9], v[34:35], v[52:53] op_sel:[0,1]
	v_pk_add_f32 v[4:5], v[4:5], v[16:17]
	v_pk_fma_f32 v[16:17], v[34:35], v[52:53], v[8:9] op_sel:[0,0,1] op_sel_hi:[1,1,0] neg_lo:[0,0,1] neg_hi:[0,0,1]
	v_pk_fma_f32 v[8:9], v[34:35], v[52:53], v[8:9] op_sel:[0,0,1] op_sel_hi:[1,0,0]
	v_mov_b32_e32 v91, v93
	v_mov_b32_e32 v17, v9
	v_pk_mul_f32 v[8:9], v[36:37], v[64:65] op_sel:[0,1]
	v_pk_add_f32 v[4:5], v[4:5], v[16:17]
	v_pk_fma_f32 v[16:17], v[36:37], v[64:65], v[8:9] op_sel:[0,0,1] op_sel_hi:[1,1,0] neg_lo:[0,0,1] neg_hi:[0,0,1]
	v_pk_fma_f32 v[8:9], v[36:37], v[64:65], v[8:9] op_sel:[0,0,1] op_sel_hi:[1,0,0]
	v_pk_add_f32 v[20:21], v[20:21], v[90:91]
	v_mov_b32_e32 v17, v9
	v_pk_mul_f32 v[8:9], v[48:49], v[6:7] op_sel:[0,1]
	v_pk_add_f32 v[16:17], v[4:5], v[16:17]
	v_pk_add_f32 v[4:5], v[14:15], v[78:79]
	v_pk_fma_f32 v[14:15], v[48:49], v[6:7], v[8:9] op_sel:[0,0,1] op_sel_hi:[1,1,0] neg_lo:[0,0,1] neg_hi:[0,0,1]
	v_pk_fma_f32 v[6:7], v[48:49], v[6:7], v[8:9] op_sel:[0,0,1] op_sel_hi:[1,0,0]
	v_pk_add_f32 v[4:5], v[4:5], v[86:87]
	v_mov_b32_e32 v15, v7
	v_pk_mul_f32 v[6:7], v[50:51], v[58:59] op_sel:[0,1]
	v_pk_add_f32 v[4:5], v[4:5], v[14:15]
	v_pk_fma_f32 v[8:9], v[50:51], v[58:59], v[6:7] op_sel:[0,0,1] op_sel_hi:[1,1,0] neg_lo:[0,0,1] neg_hi:[0,0,1]
	v_pk_fma_f32 v[6:7], v[50:51], v[58:59], v[6:7] op_sel:[0,0,1] op_sel_hi:[1,0,0]
	v_mov_b32_e32 v95, v97
	v_mov_b32_e32 v9, v7
	v_pk_mul_f32 v[6:7], v[0:1], v[10:11] op_sel:[0,1]
	v_pk_add_f32 v[4:5], v[4:5], v[8:9]
	v_pk_fma_f32 v[8:9], v[0:1], v[10:11], v[6:7] op_sel:[0,0,1] op_sel_hi:[1,1,0] neg_lo:[0,0,1] neg_hi:[0,0,1]
	v_pk_fma_f32 v[0:1], v[0:1], v[10:11], v[6:7] op_sel:[0,0,1] op_sel_hi:[1,0,0]
	v_pk_add_f32 v[20:21], v[20:21], v[94:95]
	v_mov_b32_e32 v9, v1
	v_pk_add_f32 v[0:1], v[4:5], v[8:9]
	v_pk_mul_f32 v[4:5], v[2:3], v[62:63] op_sel:[0,1]
	v_mov_b32_e32 v107, v109
	v_pk_fma_f32 v[6:7], v[2:3], v[62:63], v[4:5] op_sel:[0,0,1] op_sel_hi:[1,1,0] neg_lo:[0,0,1] neg_hi:[0,0,1]
	v_pk_fma_f32 v[2:3], v[2:3], v[62:63], v[4:5] op_sel:[0,0,1] op_sel_hi:[1,0,0]
	v_pk_add_f32 v[20:21], v[20:21], v[106:107]
	v_mov_b32_e32 v7, v3
	v_pk_mul_f32 v[2:3], v[34:35], v[54:55] op_sel:[0,1]
	v_mov_b32_e32 v111, v113
	v_pk_fma_f32 v[4:5], v[34:35], v[54:55], v[2:3] op_sel:[0,0,1] op_sel_hi:[1,1,0] neg_lo:[0,0,1] neg_hi:[0,0,1]
	v_pk_fma_f32 v[2:3], v[34:35], v[54:55], v[2:3] op_sel:[0,0,1] op_sel_hi:[1,0,0]
	v_pk_add_f32 v[0:1], v[0:1], v[6:7]
	v_mov_b32_e32 v5, v3
	v_pk_mul_f32 v[2:3], v[36:37], v[66:67] op_sel:[0,1]
	v_pk_add_f32 v[20:21], v[20:21], v[110:111]
	v_mov_b32_e32 v123, v125
	v_pk_add_f32 v[0:1], v[0:1], v[4:5]
	v_pk_fma_f32 v[4:5], v[36:37], v[66:67], v[2:3] op_sel:[0,0,1] op_sel_hi:[1,1,0] neg_lo:[0,0,1] neg_hi:[0,0,1]
	v_pk_fma_f32 v[2:3], v[36:37], v[66:67], v[2:3] op_sel:[0,0,1] op_sel_hi:[1,0,0]
	s_addc_u32 s7, s7, 0
	v_pk_add_f32 v[20:21], v[20:21], v[122:123]
	v_mov_b32_e32 v129, v127
	v_mov_b32_e32 v5, v3
	v_cmp_lt_i64_e32 vcc, s[6:7], v[32:33]
	v_pk_add_f32 v[20:21], v[20:21], v[128:129]
	v_pk_add_f32 v[14:15], v[0:1], v[4:5]
	v_lshl_add_u64 v[28:29], v[28:29], 0, s[4:5]
	v_lshl_add_u64 v[30:31], v[30:31], 0, 64
	s_barrier
	s_cbranch_vccz .LBB260_9
.LBB260_3:                              ; =>This Inner Loop Header: Depth=1
	v_lshl_add_u64 v[0:1], v[24:25], 0, s[6:7]
	v_cmp_gt_i64_e32 vcc, s[12:13], v[0:1]
	s_and_b64 s[20:21], s[0:1], vcc
	v_mov_b32_e32 v0, 0
	v_mov_b32_e32 v1, 0
	s_and_saveexec_b64 s[18:19], s[20:21]
	s_cbranch_execz .LBB260_5
; %bb.4:                                ;   in Loop: Header=BB260_3 Depth=1
	flat_load_dwordx2 v[0:1], v[30:31]
.LBB260_5:                              ;   in Loop: Header=BB260_3 Depth=1
	s_or_b64 exec, exec, s[18:19]
	s_waitcnt vmcnt(0) lgkmcnt(0)
	ds_write_b64 v44, v[0:1]
	v_lshl_add_u64 v[0:1], v[26:27], 0, s[6:7]
	v_cmp_le_i64_e32 vcc, s[12:13], v[0:1]
	s_or_b64 s[18:19], vcc, s[16:17]
	s_and_saveexec_b64 s[20:21], s[18:19]
	s_xor_b64 s[18:19], exec, s[20:21]
; %bb.6:                                ;   in Loop: Header=BB260_3 Depth=1
	ds_write_b32 v45, v25
; %bb.7:                                ;   in Loop: Header=BB260_3 Depth=1
	s_or_saveexec_b64 s[18:19], s[18:19]
	v_mov_b32_e32 v0, 0
	s_xor_b64 exec, exec, s[18:19]
	s_cbranch_execz .LBB260_2
; %bb.8:                                ;   in Loop: Header=BB260_3 Depth=1
	flat_load_dwordx2 v[2:3], v[28:29]
	s_waitcnt vmcnt(0) lgkmcnt(0)
	v_xor_b32_e32 v0, 0x80000000, v3
	ds_write_b32 v45, v2
	s_branch .LBB260_2
.LBB260_9:
	s_lshl_b64 s[0:1], s[38:39], 3
	s_waitcnt lgkmcnt(0)
	s_add_u32 s6, s40, s0
	s_addc_u32 s7, s41, s1
	s_or_b32 s0, s34, s35
	v_lshl_add_u64 v[0:1], s[2:3], 0, v[22:23]
	s_bitset0_b32 s0, 31
	s_cmp_lg_u32 s0, 0
	v_cmp_gt_i64_e64 s[0:1], s[10:11], v[0:1]
	s_mov_b64 s[2:3], -1
	s_cbranch_scc1 .LBB260_21
; %bb.10:
	s_and_saveexec_b64 s[12:13], s[0:1]
	s_cbranch_execz .LBB260_20
; %bb.11:
	v_mul_lo_u32 v6, v1, s36
	v_mul_lo_u32 v7, v0, s37
	v_mad_u64_u32 v[4:5], s[2:3], v0, s36, 0
	v_add3_u32 v5, v5, v7, v6
	v_lshl_add_u64 v[2:3], s[30:31], 0, v[12:13]
	v_lshl_add_u64 v[4:5], v[4:5], 3, s[6:7]
	v_cmp_gt_i64_e32 vcc, s[8:9], v[2:3]
	s_mov_b32 s16, s14
	s_mov_b32 s17, s14
	;; [unrolled: 1-line block ×4, first 2 shown]
	v_lshl_add_u64 v[6:7], v[2:3], 3, v[4:5]
	s_and_saveexec_b64 s[2:3], vcc
	s_cbranch_execz .LBB260_13
; %bb.12:
	v_pk_mul_f32 v[8:9], v[20:21], s[18:19]
	s_nop 0
	v_pk_fma_f32 v[10:11], v[20:21], s[16:17], v[8:9] op_sel:[0,0,1] op_sel_hi:[1,1,0] neg_lo:[0,0,1] neg_hi:[0,0,1]
	v_pk_fma_f32 v[8:9], v[20:21], s[16:17], v[8:9] op_sel:[0,0,1] op_sel_hi:[1,1,0]
	s_nop 0
	v_mov_b32_e32 v11, v9
	flat_store_dwordx2 v[6:7], v[10:11]
.LBB260_13:
	s_or_b64 exec, exec, s[2:3]
	v_lshl_add_u64 v[8:9], v[2:3], 0, 16
	v_cmp_gt_i64_e64 s[2:3], s[8:9], v[8:9]
	s_and_saveexec_b64 s[4:5], s[2:3]
	s_cbranch_execz .LBB260_15
; %bb.14:
	v_pk_mul_f32 v[8:9], v[18:19], s[18:19]
	s_nop 0
	v_pk_fma_f32 v[10:11], v[18:19], s[16:17], v[8:9] op_sel:[0,0,1] op_sel_hi:[1,1,0] neg_lo:[0,0,1] neg_hi:[0,0,1]
	v_pk_fma_f32 v[8:9], v[18:19], s[16:17], v[8:9] op_sel:[0,0,1] op_sel_hi:[1,1,0]
	s_nop 0
	v_mov_b32_e32 v11, v9
	flat_store_dwordx2 v[6:7], v[10:11] offset:128
.LBB260_15:
	s_or_b64 exec, exec, s[4:5]
	v_lshl_add_u64 v[6:7], v[0:1], 0, 16
	v_cmp_gt_i64_e64 s[4:5], s[10:11], v[6:7]
	s_and_b64 exec, exec, s[4:5]
	s_cbranch_execz .LBB260_20
; %bb.16:
	s_lshl_b64 s[4:5], s[36:37], 7
	v_lshl_add_u64 v[4:5], v[4:5], 0, s[4:5]
	v_lshl_add_u64 v[2:3], v[2:3], 3, v[4:5]
	s_and_saveexec_b64 s[4:5], vcc
	s_cbranch_execz .LBB260_18
; %bb.17:
	v_pk_mul_f32 v[4:5], v[16:17], s[18:19]
	s_nop 0
	v_pk_fma_f32 v[6:7], v[16:17], s[16:17], v[4:5] op_sel:[0,0,1] op_sel_hi:[1,1,0] neg_lo:[0,0,1] neg_hi:[0,0,1]
	v_pk_fma_f32 v[4:5], v[16:17], s[16:17], v[4:5] op_sel:[0,0,1] op_sel_hi:[1,1,0]
	s_nop 0
	v_mov_b32_e32 v7, v5
	flat_store_dwordx2 v[2:3], v[6:7]
.LBB260_18:
	s_or_b64 exec, exec, s[4:5]
	s_and_b64 exec, exec, s[2:3]
	s_cbranch_execz .LBB260_20
; %bb.19:
	v_pk_mul_f32 v[4:5], v[14:15], s[18:19]
	s_nop 0
	v_pk_fma_f32 v[6:7], v[14:15], s[16:17], v[4:5] op_sel:[0,0,1] op_sel_hi:[1,1,0] neg_lo:[0,0,1] neg_hi:[0,0,1]
	v_pk_fma_f32 v[4:5], v[14:15], s[16:17], v[4:5] op_sel:[0,0,1] op_sel_hi:[1,1,0]
	s_nop 0
	v_mov_b32_e32 v7, v5
	flat_store_dwordx2 v[2:3], v[6:7] offset:128
.LBB260_20:
	s_or_b64 exec, exec, s[12:13]
	s_mov_b64 s[2:3], 0
.LBB260_21:
	s_andn2_b64 vcc, exec, s[2:3]
	s_cbranch_vccnz .LBB260_32
; %bb.22:
	s_and_saveexec_b64 s[2:3], s[0:1]
	s_cbranch_execz .LBB260_32
; %bb.23:
	s_lshl_b64 s[0:1], s[28:29], 3
	v_mul_lo_u32 v4, v1, s26
	v_mul_lo_u32 v5, v0, s27
	v_mad_u64_u32 v[2:3], s[2:3], v0, s26, 0
	s_add_u32 s0, s24, s0
	v_add3_u32 v3, v3, v5, v4
	v_mul_lo_u32 v6, v1, s36
	v_mul_lo_u32 v7, v0, s37
	v_mad_u64_u32 v[4:5], s[2:3], v0, s36, 0
	s_addc_u32 s1, s25, s1
	v_lshl_add_u64 v[8:9], s[30:31], 0, v[12:13]
	v_add3_u32 v5, v5, v7, v6
	v_cmp_gt_i64_e32 vcc, s[8:9], v[8:9]
	s_mov_b32 s4, s14
	s_mov_b32 s5, s14
	;; [unrolled: 1-line block ×6, first 2 shown]
	v_lshl_add_u64 v[6:7], v[2:3], 3, s[0:1]
	v_lshl_add_u64 v[4:5], v[4:5], 3, s[6:7]
	v_lshlrev_b64 v[2:3], 3, v[8:9]
	s_and_saveexec_b64 s[0:1], vcc
	s_cbranch_execz .LBB260_25
; %bb.24:
	v_lshl_add_u64 v[10:11], v[6:7], 0, v[2:3]
	flat_load_dwordx2 v[10:11], v[10:11]
	v_pk_mul_f32 v[22:23], v[20:21], s[14:15]
	v_lshl_add_u64 v[12:13], v[4:5], 0, v[2:3]
	v_pk_fma_f32 v[24:25], v[20:21], s[4:5], v[22:23] op_sel:[0,0,1] op_sel_hi:[1,1,0] neg_lo:[0,0,1] neg_hi:[0,0,1]
	v_pk_fma_f32 v[20:21], v[20:21], s[4:5], v[22:23] op_sel:[0,0,1] op_sel_hi:[1,1,0]
	s_nop 0
	v_mov_b32_e32 v25, v21
	s_waitcnt vmcnt(0) lgkmcnt(0)
	v_pk_mul_f32 v[20:21], v[10:11], s[34:35]
	s_nop 0
	v_pk_fma_f32 v[22:23], v[10:11], s[12:13], v[20:21] op_sel:[0,0,1] op_sel_hi:[1,1,0] neg_lo:[0,0,1] neg_hi:[0,0,1]
	v_pk_fma_f32 v[10:11], v[10:11], s[12:13], v[20:21] op_sel:[0,0,1] op_sel_hi:[1,1,0]
	s_nop 0
	v_mov_b32_e32 v23, v11
	v_pk_add_f32 v[10:11], v[24:25], v[22:23]
	flat_store_dwordx2 v[12:13], v[10:11]
.LBB260_25:
	s_or_b64 exec, exec, s[0:1]
	v_lshl_add_u64 v[8:9], v[8:9], 0, 16
	v_cmp_gt_i64_e64 s[0:1], s[8:9], v[8:9]
	s_and_saveexec_b64 s[2:3], s[0:1]
	s_cbranch_execz .LBB260_27
; %bb.26:
	v_lshl_add_u64 v[8:9], v[6:7], 0, v[2:3]
	flat_load_dwordx2 v[8:9], v[8:9] offset:128
	v_pk_mul_f32 v[12:13], v[18:19], s[14:15]
	v_lshl_add_u64 v[10:11], v[4:5], 0, v[2:3]
	v_pk_fma_f32 v[20:21], v[18:19], s[4:5], v[12:13] op_sel:[0,0,1] op_sel_hi:[1,1,0] neg_lo:[0,0,1] neg_hi:[0,0,1]
	v_pk_fma_f32 v[12:13], v[18:19], s[4:5], v[12:13] op_sel:[0,0,1] op_sel_hi:[1,1,0]
	s_nop 0
	v_mov_b32_e32 v21, v13
	s_waitcnt vmcnt(0) lgkmcnt(0)
	v_pk_mul_f32 v[12:13], v[8:9], s[34:35]
	s_nop 0
	v_pk_fma_f32 v[18:19], v[8:9], s[12:13], v[12:13] op_sel:[0,0,1] op_sel_hi:[1,1,0] neg_lo:[0,0,1] neg_hi:[0,0,1]
	v_pk_fma_f32 v[8:9], v[8:9], s[12:13], v[12:13] op_sel:[0,0,1] op_sel_hi:[1,1,0]
	s_nop 0
	v_mov_b32_e32 v19, v9
	v_pk_add_f32 v[8:9], v[20:21], v[18:19]
	flat_store_dwordx2 v[10:11], v[8:9] offset:128
.LBB260_27:
	s_or_b64 exec, exec, s[2:3]
	v_lshl_add_u64 v[0:1], v[0:1], 0, 16
	v_cmp_gt_i64_e64 s[2:3], s[10:11], v[0:1]
	s_and_b64 exec, exec, s[2:3]
	s_cbranch_execz .LBB260_32
; %bb.28:
	s_lshl_b64 s[2:3], s[26:27], 7
	v_lshl_add_u64 v[0:1], v[6:7], 0, s[2:3]
	s_lshl_b64 s[2:3], s[36:37], 7
	v_lshl_add_u64 v[6:7], v[4:5], 0, s[2:3]
	v_lshl_add_u64 v[4:5], v[0:1], 0, v[2:3]
	;; [unrolled: 1-line block ×3, first 2 shown]
	s_and_saveexec_b64 s[2:3], vcc
	s_cbranch_execz .LBB260_30
; %bb.29:
	flat_load_dwordx2 v[2:3], v[4:5]
	v_pk_mul_f32 v[6:7], v[16:17], s[14:15]
	s_nop 0
	v_pk_fma_f32 v[8:9], v[16:17], s[4:5], v[6:7] op_sel:[0,0,1] op_sel_hi:[1,1,0] neg_lo:[0,0,1] neg_hi:[0,0,1]
	v_pk_fma_f32 v[6:7], v[16:17], s[4:5], v[6:7] op_sel:[0,0,1] op_sel_hi:[1,1,0]
	s_nop 0
	v_mov_b32_e32 v9, v7
	s_waitcnt vmcnt(0) lgkmcnt(0)
	v_pk_mul_f32 v[6:7], v[2:3], s[34:35]
	s_nop 0
	v_pk_fma_f32 v[10:11], v[2:3], s[12:13], v[6:7] op_sel:[0,0,1] op_sel_hi:[1,1,0] neg_lo:[0,0,1] neg_hi:[0,0,1]
	v_pk_fma_f32 v[2:3], v[2:3], s[12:13], v[6:7] op_sel:[0,0,1] op_sel_hi:[1,1,0]
	s_nop 0
	v_mov_b32_e32 v11, v3
	v_pk_add_f32 v[2:3], v[8:9], v[10:11]
	flat_store_dwordx2 v[0:1], v[2:3]
.LBB260_30:
	s_or_b64 exec, exec, s[2:3]
	s_and_b64 exec, exec, s[0:1]
	s_cbranch_execz .LBB260_32
; %bb.31:
	flat_load_dwordx2 v[2:3], v[4:5] offset:128
	v_pk_mul_f32 v[4:5], v[14:15], s[14:15]
	s_nop 0
	v_pk_fma_f32 v[6:7], v[14:15], s[4:5], v[4:5] op_sel:[0,0,1] op_sel_hi:[1,1,0] neg_lo:[0,0,1] neg_hi:[0,0,1]
	v_pk_fma_f32 v[4:5], v[14:15], s[4:5], v[4:5] op_sel:[0,0,1] op_sel_hi:[1,1,0]
	s_nop 0
	v_mov_b32_e32 v7, v5
	s_waitcnt vmcnt(0) lgkmcnt(0)
	v_pk_mul_f32 v[4:5], v[2:3], s[34:35]
	s_nop 0
	v_pk_fma_f32 v[8:9], v[2:3], s[12:13], v[4:5] op_sel:[0,0,1] op_sel_hi:[1,1,0] neg_lo:[0,0,1] neg_hi:[0,0,1]
	v_pk_fma_f32 v[2:3], v[2:3], s[12:13], v[4:5] op_sel:[0,0,1] op_sel_hi:[1,1,0]
	s_nop 0
	v_mov_b32_e32 v9, v3
	v_pk_add_f32 v[2:3], v[6:7], v[8:9]
	flat_store_dwordx2 v[0:1], v[2:3] offset:128
.LBB260_32:
	s_endpgm
	.section	.rodata,"a",@progbits
	.p2align	6, 0x0
	.amdhsa_kernel _ZN12_GLOBAL__N_135rocblas_gemm_batched_general_kernelI19rocblas_complex_numIfELi16ELi16ELi32ELi32ELi8ELi32ELi8ELi8ELi32ELc84ELc67EKPKS2_S5_KPS2_EEvlllT_PT11_llSA_llS8_PT12_llPT13_lli
		.amdhsa_group_segment_fixed_size 4096
		.amdhsa_private_segment_fixed_size 0
		.amdhsa_kernarg_size 140
		.amdhsa_user_sgpr_count 2
		.amdhsa_user_sgpr_dispatch_ptr 0
		.amdhsa_user_sgpr_queue_ptr 0
		.amdhsa_user_sgpr_kernarg_segment_ptr 1
		.amdhsa_user_sgpr_dispatch_id 0
		.amdhsa_user_sgpr_kernarg_preload_length 0
		.amdhsa_user_sgpr_kernarg_preload_offset 0
		.amdhsa_user_sgpr_private_segment_size 0
		.amdhsa_uses_dynamic_stack 0
		.amdhsa_enable_private_segment 0
		.amdhsa_system_sgpr_workgroup_id_x 1
		.amdhsa_system_sgpr_workgroup_id_y 1
		.amdhsa_system_sgpr_workgroup_id_z 1
		.amdhsa_system_sgpr_workgroup_info 0
		.amdhsa_system_vgpr_workitem_id 1
		.amdhsa_next_free_vgpr 136
		.amdhsa_next_free_sgpr 46
		.amdhsa_accum_offset 136
		.amdhsa_reserve_vcc 1
		.amdhsa_float_round_mode_32 0
		.amdhsa_float_round_mode_16_64 0
		.amdhsa_float_denorm_mode_32 3
		.amdhsa_float_denorm_mode_16_64 3
		.amdhsa_dx10_clamp 1
		.amdhsa_ieee_mode 1
		.amdhsa_fp16_overflow 0
		.amdhsa_tg_split 0
		.amdhsa_exception_fp_ieee_invalid_op 0
		.amdhsa_exception_fp_denorm_src 0
		.amdhsa_exception_fp_ieee_div_zero 0
		.amdhsa_exception_fp_ieee_overflow 0
		.amdhsa_exception_fp_ieee_underflow 0
		.amdhsa_exception_fp_ieee_inexact 0
		.amdhsa_exception_int_div_zero 0
	.end_amdhsa_kernel
	.section	.text._ZN12_GLOBAL__N_135rocblas_gemm_batched_general_kernelI19rocblas_complex_numIfELi16ELi16ELi32ELi32ELi8ELi32ELi8ELi8ELi32ELc84ELc67EKPKS2_S5_KPS2_EEvlllT_PT11_llSA_llS8_PT12_llPT13_lli,"axG",@progbits,_ZN12_GLOBAL__N_135rocblas_gemm_batched_general_kernelI19rocblas_complex_numIfELi16ELi16ELi32ELi32ELi8ELi32ELi8ELi8ELi32ELc84ELc67EKPKS2_S5_KPS2_EEvlllT_PT11_llSA_llS8_PT12_llPT13_lli,comdat
.Lfunc_end260:
	.size	_ZN12_GLOBAL__N_135rocblas_gemm_batched_general_kernelI19rocblas_complex_numIfELi16ELi16ELi32ELi32ELi8ELi32ELi8ELi8ELi32ELc84ELc67EKPKS2_S5_KPS2_EEvlllT_PT11_llSA_llS8_PT12_llPT13_lli, .Lfunc_end260-_ZN12_GLOBAL__N_135rocblas_gemm_batched_general_kernelI19rocblas_complex_numIfELi16ELi16ELi32ELi32ELi8ELi32ELi8ELi8ELi32ELc84ELc67EKPKS2_S5_KPS2_EEvlllT_PT11_llSA_llS8_PT12_llPT13_lli
                                        ; -- End function
	.set _ZN12_GLOBAL__N_135rocblas_gemm_batched_general_kernelI19rocblas_complex_numIfELi16ELi16ELi32ELi32ELi8ELi32ELi8ELi8ELi32ELc84ELc67EKPKS2_S5_KPS2_EEvlllT_PT11_llSA_llS8_PT12_llPT13_lli.num_vgpr, 136
	.set _ZN12_GLOBAL__N_135rocblas_gemm_batched_general_kernelI19rocblas_complex_numIfELi16ELi16ELi32ELi32ELi8ELi32ELi8ELi8ELi32ELc84ELc67EKPKS2_S5_KPS2_EEvlllT_PT11_llSA_llS8_PT12_llPT13_lli.num_agpr, 0
	.set _ZN12_GLOBAL__N_135rocblas_gemm_batched_general_kernelI19rocblas_complex_numIfELi16ELi16ELi32ELi32ELi8ELi32ELi8ELi8ELi32ELc84ELc67EKPKS2_S5_KPS2_EEvlllT_PT11_llSA_llS8_PT12_llPT13_lli.numbered_sgpr, 46
	.set _ZN12_GLOBAL__N_135rocblas_gemm_batched_general_kernelI19rocblas_complex_numIfELi16ELi16ELi32ELi32ELi8ELi32ELi8ELi8ELi32ELc84ELc67EKPKS2_S5_KPS2_EEvlllT_PT11_llSA_llS8_PT12_llPT13_lli.num_named_barrier, 0
	.set _ZN12_GLOBAL__N_135rocblas_gemm_batched_general_kernelI19rocblas_complex_numIfELi16ELi16ELi32ELi32ELi8ELi32ELi8ELi8ELi32ELc84ELc67EKPKS2_S5_KPS2_EEvlllT_PT11_llSA_llS8_PT12_llPT13_lli.private_seg_size, 0
	.set _ZN12_GLOBAL__N_135rocblas_gemm_batched_general_kernelI19rocblas_complex_numIfELi16ELi16ELi32ELi32ELi8ELi32ELi8ELi8ELi32ELc84ELc67EKPKS2_S5_KPS2_EEvlllT_PT11_llSA_llS8_PT12_llPT13_lli.uses_vcc, 1
	.set _ZN12_GLOBAL__N_135rocblas_gemm_batched_general_kernelI19rocblas_complex_numIfELi16ELi16ELi32ELi32ELi8ELi32ELi8ELi8ELi32ELc84ELc67EKPKS2_S5_KPS2_EEvlllT_PT11_llSA_llS8_PT12_llPT13_lli.uses_flat_scratch, 0
	.set _ZN12_GLOBAL__N_135rocblas_gemm_batched_general_kernelI19rocblas_complex_numIfELi16ELi16ELi32ELi32ELi8ELi32ELi8ELi8ELi32ELc84ELc67EKPKS2_S5_KPS2_EEvlllT_PT11_llSA_llS8_PT12_llPT13_lli.has_dyn_sized_stack, 0
	.set _ZN12_GLOBAL__N_135rocblas_gemm_batched_general_kernelI19rocblas_complex_numIfELi16ELi16ELi32ELi32ELi8ELi32ELi8ELi8ELi32ELc84ELc67EKPKS2_S5_KPS2_EEvlllT_PT11_llSA_llS8_PT12_llPT13_lli.has_recursion, 0
	.set _ZN12_GLOBAL__N_135rocblas_gemm_batched_general_kernelI19rocblas_complex_numIfELi16ELi16ELi32ELi32ELi8ELi32ELi8ELi8ELi32ELc84ELc67EKPKS2_S5_KPS2_EEvlllT_PT11_llSA_llS8_PT12_llPT13_lli.has_indirect_call, 0
	.section	.AMDGPU.csdata,"",@progbits
; Kernel info:
; codeLenInByte = 3180
; TotalNumSgprs: 52
; NumVgprs: 136
; NumAgprs: 0
; TotalNumVgprs: 136
; ScratchSize: 0
; MemoryBound: 0
; FloatMode: 240
; IeeeMode: 1
; LDSByteSize: 4096 bytes/workgroup (compile time only)
; SGPRBlocks: 6
; VGPRBlocks: 16
; NumSGPRsForWavesPerEU: 52
; NumVGPRsForWavesPerEU: 136
; AccumOffset: 136
; Occupancy: 3
; WaveLimiterHint : 1
; COMPUTE_PGM_RSRC2:SCRATCH_EN: 0
; COMPUTE_PGM_RSRC2:USER_SGPR: 2
; COMPUTE_PGM_RSRC2:TRAP_HANDLER: 0
; COMPUTE_PGM_RSRC2:TGID_X_EN: 1
; COMPUTE_PGM_RSRC2:TGID_Y_EN: 1
; COMPUTE_PGM_RSRC2:TGID_Z_EN: 1
; COMPUTE_PGM_RSRC2:TIDIG_COMP_CNT: 1
; COMPUTE_PGM_RSRC3_GFX90A:ACCUM_OFFSET: 33
; COMPUTE_PGM_RSRC3_GFX90A:TG_SPLIT: 0
	.section	.text._ZN12_GLOBAL__N_125rocblas_gemm_scale_kernelILi32ELi32E19rocblas_complex_numIdEPKPS2_EEviiT1_T2_llli,"axG",@progbits,_ZN12_GLOBAL__N_125rocblas_gemm_scale_kernelILi32ELi32E19rocblas_complex_numIdEPKPS2_EEviiT1_T2_llli,comdat
	.globl	_ZN12_GLOBAL__N_125rocblas_gemm_scale_kernelILi32ELi32E19rocblas_complex_numIdEPKPS2_EEviiT1_T2_llli ; -- Begin function _ZN12_GLOBAL__N_125rocblas_gemm_scale_kernelILi32ELi32E19rocblas_complex_numIdEPKPS2_EEviiT1_T2_llli
	.p2align	8
	.type	_ZN12_GLOBAL__N_125rocblas_gemm_scale_kernelILi32ELi32E19rocblas_complex_numIdEPKPS2_EEviiT1_T2_llli,@function
_ZN12_GLOBAL__N_125rocblas_gemm_scale_kernelILi32ELi32E19rocblas_complex_numIdEPKPS2_EEviiT1_T2_llli: ; @_ZN12_GLOBAL__N_125rocblas_gemm_scale_kernelILi32ELi32E19rocblas_complex_numIdEPKPS2_EEviiT1_T2_llli
; %bb.0:
	s_load_dwordx2 s[6:7], s[0:1], 0x0
	v_and_b32_e32 v1, 0x3ff, v0
	v_bfe_u32 v0, v0, 10, 10
	v_lshl_add_u32 v4, s2, 5, v1
	v_lshl_add_u32 v0, s3, 5, v0
	s_waitcnt lgkmcnt(0)
	v_cmp_gt_u32_e32 vcc, s6, v4
	v_cmp_gt_u32_e64 s[2:3], s7, v0
	s_and_b64 s[2:3], vcc, s[2:3]
	s_and_saveexec_b64 s[6:7], s[2:3]
	s_cbranch_execz .LBB261_4
; %bb.1:
	s_load_dwordx8 s[8:15], s[0:1], 0x8
	s_load_dwordx2 s[2:3], s[0:1], 0x28
	s_mov_b32 s5, 0
	s_lshl_b64 s[0:1], s[4:5], 3
	v_mov_b64_e32 v[2:3], 0
	s_waitcnt lgkmcnt(0)
	s_add_u32 s0, s12, s0
	s_addc_u32 s1, s13, s1
	s_load_dwordx2 s[0:1], s[0:1], 0x0
	s_lshl_b64 s[12:13], s[14:15], 4
	v_cmp_neq_f64_e64 s[4:5], s[8:9], 0
	v_cmp_neq_f64_e64 s[6:7], s[10:11], 0
	v_mov_b32_e32 v5, 0
	s_waitcnt lgkmcnt(0)
	s_add_u32 s0, s0, s12
	s_addc_u32 s1, s1, s13
	v_mad_u64_u32 v[6:7], s[12:13], s2, v0, 0
	v_mov_b32_e32 v8, v7
	v_mad_u64_u32 v[0:1], s[2:3], s3, v0, v[8:9]
	v_mov_b32_e32 v7, v0
	s_or_b64 s[2:3], s[4:5], s[6:7]
	s_andn2_b64 vcc, exec, s[2:3]
	v_lshl_add_u64 v[6:7], v[6:7], 4, s[0:1]
	v_mov_b64_e32 v[0:1], 0
	s_cbranch_vccnz .LBB261_3
; %bb.2:
	v_lshl_add_u64 v[0:1], v[4:5], 4, v[6:7]
	flat_load_dwordx4 v[8:11], v[0:1]
	s_waitcnt vmcnt(0) lgkmcnt(0)
	v_mul_f64 v[0:1], s[10:11], v[10:11]
	v_mul_f64 v[2:3], s[8:9], v[10:11]
	v_fma_f64 v[0:1], s[8:9], v[8:9], -v[0:1]
	v_fmac_f64_e32 v[2:3], s[10:11], v[8:9]
.LBB261_3:
	v_lshl_add_u64 v[4:5], v[4:5], 4, v[6:7]
	flat_store_dwordx4 v[4:5], v[0:3]
.LBB261_4:
	s_endpgm
	.section	.rodata,"a",@progbits
	.p2align	6, 0x0
	.amdhsa_kernel _ZN12_GLOBAL__N_125rocblas_gemm_scale_kernelILi32ELi32E19rocblas_complex_numIdEPKPS2_EEviiT1_T2_llli
		.amdhsa_group_segment_fixed_size 0
		.amdhsa_private_segment_fixed_size 0
		.amdhsa_kernarg_size 60
		.amdhsa_user_sgpr_count 2
		.amdhsa_user_sgpr_dispatch_ptr 0
		.amdhsa_user_sgpr_queue_ptr 0
		.amdhsa_user_sgpr_kernarg_segment_ptr 1
		.amdhsa_user_sgpr_dispatch_id 0
		.amdhsa_user_sgpr_kernarg_preload_length 0
		.amdhsa_user_sgpr_kernarg_preload_offset 0
		.amdhsa_user_sgpr_private_segment_size 0
		.amdhsa_uses_dynamic_stack 0
		.amdhsa_enable_private_segment 0
		.amdhsa_system_sgpr_workgroup_id_x 1
		.amdhsa_system_sgpr_workgroup_id_y 1
		.amdhsa_system_sgpr_workgroup_id_z 1
		.amdhsa_system_sgpr_workgroup_info 0
		.amdhsa_system_vgpr_workitem_id 1
		.amdhsa_next_free_vgpr 12
		.amdhsa_next_free_sgpr 16
		.amdhsa_accum_offset 12
		.amdhsa_reserve_vcc 1
		.amdhsa_float_round_mode_32 0
		.amdhsa_float_round_mode_16_64 0
		.amdhsa_float_denorm_mode_32 3
		.amdhsa_float_denorm_mode_16_64 3
		.amdhsa_dx10_clamp 1
		.amdhsa_ieee_mode 1
		.amdhsa_fp16_overflow 0
		.amdhsa_tg_split 0
		.amdhsa_exception_fp_ieee_invalid_op 0
		.amdhsa_exception_fp_denorm_src 0
		.amdhsa_exception_fp_ieee_div_zero 0
		.amdhsa_exception_fp_ieee_overflow 0
		.amdhsa_exception_fp_ieee_underflow 0
		.amdhsa_exception_fp_ieee_inexact 0
		.amdhsa_exception_int_div_zero 0
	.end_amdhsa_kernel
	.section	.text._ZN12_GLOBAL__N_125rocblas_gemm_scale_kernelILi32ELi32E19rocblas_complex_numIdEPKPS2_EEviiT1_T2_llli,"axG",@progbits,_ZN12_GLOBAL__N_125rocblas_gemm_scale_kernelILi32ELi32E19rocblas_complex_numIdEPKPS2_EEviiT1_T2_llli,comdat
.Lfunc_end261:
	.size	_ZN12_GLOBAL__N_125rocblas_gemm_scale_kernelILi32ELi32E19rocblas_complex_numIdEPKPS2_EEviiT1_T2_llli, .Lfunc_end261-_ZN12_GLOBAL__N_125rocblas_gemm_scale_kernelILi32ELi32E19rocblas_complex_numIdEPKPS2_EEviiT1_T2_llli
                                        ; -- End function
	.set _ZN12_GLOBAL__N_125rocblas_gemm_scale_kernelILi32ELi32E19rocblas_complex_numIdEPKPS2_EEviiT1_T2_llli.num_vgpr, 12
	.set _ZN12_GLOBAL__N_125rocblas_gemm_scale_kernelILi32ELi32E19rocblas_complex_numIdEPKPS2_EEviiT1_T2_llli.num_agpr, 0
	.set _ZN12_GLOBAL__N_125rocblas_gemm_scale_kernelILi32ELi32E19rocblas_complex_numIdEPKPS2_EEviiT1_T2_llli.numbered_sgpr, 16
	.set _ZN12_GLOBAL__N_125rocblas_gemm_scale_kernelILi32ELi32E19rocblas_complex_numIdEPKPS2_EEviiT1_T2_llli.num_named_barrier, 0
	.set _ZN12_GLOBAL__N_125rocblas_gemm_scale_kernelILi32ELi32E19rocblas_complex_numIdEPKPS2_EEviiT1_T2_llli.private_seg_size, 0
	.set _ZN12_GLOBAL__N_125rocblas_gemm_scale_kernelILi32ELi32E19rocblas_complex_numIdEPKPS2_EEviiT1_T2_llli.uses_vcc, 1
	.set _ZN12_GLOBAL__N_125rocblas_gemm_scale_kernelILi32ELi32E19rocblas_complex_numIdEPKPS2_EEviiT1_T2_llli.uses_flat_scratch, 0
	.set _ZN12_GLOBAL__N_125rocblas_gemm_scale_kernelILi32ELi32E19rocblas_complex_numIdEPKPS2_EEviiT1_T2_llli.has_dyn_sized_stack, 0
	.set _ZN12_GLOBAL__N_125rocblas_gemm_scale_kernelILi32ELi32E19rocblas_complex_numIdEPKPS2_EEviiT1_T2_llli.has_recursion, 0
	.set _ZN12_GLOBAL__N_125rocblas_gemm_scale_kernelILi32ELi32E19rocblas_complex_numIdEPKPS2_EEviiT1_T2_llli.has_indirect_call, 0
	.section	.AMDGPU.csdata,"",@progbits
; Kernel info:
; codeLenInByte = 268
; TotalNumSgprs: 22
; NumVgprs: 12
; NumAgprs: 0
; TotalNumVgprs: 12
; ScratchSize: 0
; MemoryBound: 0
; FloatMode: 240
; IeeeMode: 1
; LDSByteSize: 0 bytes/workgroup (compile time only)
; SGPRBlocks: 2
; VGPRBlocks: 1
; NumSGPRsForWavesPerEU: 22
; NumVGPRsForWavesPerEU: 12
; AccumOffset: 12
; Occupancy: 8
; WaveLimiterHint : 1
; COMPUTE_PGM_RSRC2:SCRATCH_EN: 0
; COMPUTE_PGM_RSRC2:USER_SGPR: 2
; COMPUTE_PGM_RSRC2:TRAP_HANDLER: 0
; COMPUTE_PGM_RSRC2:TGID_X_EN: 1
; COMPUTE_PGM_RSRC2:TGID_Y_EN: 1
; COMPUTE_PGM_RSRC2:TGID_Z_EN: 1
; COMPUTE_PGM_RSRC2:TIDIG_COMP_CNT: 1
; COMPUTE_PGM_RSRC3_GFX90A:ACCUM_OFFSET: 2
; COMPUTE_PGM_RSRC3_GFX90A:TG_SPLIT: 0
	.section	.text._ZN12_GLOBAL__N_120gemm_ex_scale_kernelILi32ELi32E19rocblas_complex_numIdEPKPKS2_PKPS2_EEviiT1_T2_lllT3_llli,"axG",@progbits,_ZN12_GLOBAL__N_120gemm_ex_scale_kernelILi32ELi32E19rocblas_complex_numIdEPKPKS2_PKPS2_EEviiT1_T2_lllT3_llli,comdat
	.globl	_ZN12_GLOBAL__N_120gemm_ex_scale_kernelILi32ELi32E19rocblas_complex_numIdEPKPKS2_PKPS2_EEviiT1_T2_lllT3_llli ; -- Begin function _ZN12_GLOBAL__N_120gemm_ex_scale_kernelILi32ELi32E19rocblas_complex_numIdEPKPKS2_PKPS2_EEviiT1_T2_lllT3_llli
	.p2align	8
	.type	_ZN12_GLOBAL__N_120gemm_ex_scale_kernelILi32ELi32E19rocblas_complex_numIdEPKPKS2_PKPS2_EEviiT1_T2_lllT3_llli,@function
_ZN12_GLOBAL__N_120gemm_ex_scale_kernelILi32ELi32E19rocblas_complex_numIdEPKPKS2_PKPS2_EEviiT1_T2_lllT3_llli: ; @_ZN12_GLOBAL__N_120gemm_ex_scale_kernelILi32ELi32E19rocblas_complex_numIdEPKPKS2_PKPS2_EEviiT1_T2_lllT3_llli
; %bb.0:
	s_load_dwordx8 s[8:15], s[0:1], 0x8
	s_load_dwordx2 s[6:7], s[0:1], 0x28
	s_mov_b64 s[16:17], 0
	s_mov_b32 s5, 0
	s_waitcnt lgkmcnt(0)
	v_cmp_eq_f64_e64 s[18:19], s[8:9], 0
	v_cmp_eq_f64_e64 s[20:21], s[10:11], 0
	s_and_b64 s[18:19], s[18:19], s[20:21]
	s_and_b64 vcc, exec, s[18:19]
	s_cbranch_vccnz .LBB262_2
; %bb.1:
	s_lshl_b64 s[16:17], s[4:5], 3
	s_add_u32 s12, s12, s16
	s_addc_u32 s13, s13, s17
	s_load_dwordx2 s[12:13], s[12:13], 0x0
	s_lshl_b64 s[14:15], s[14:15], 4
	s_waitcnt lgkmcnt(0)
	s_add_u32 s16, s12, s14
	s_addc_u32 s17, s13, s15
.LBB262_2:
	s_load_dwordx2 s[12:13], s[0:1], 0x0
	v_and_b32_e32 v1, 0x3ff, v0
	v_bfe_u32 v0, v0, 10, 10
	v_lshl_add_u32 v4, s2, 5, v1
	v_lshl_add_u32 v6, s3, 5, v0
	s_waitcnt lgkmcnt(0)
	v_cmp_gt_u32_e32 vcc, s12, v4
	v_cmp_gt_u32_e64 s[2:3], s13, v6
	s_and_b64 s[2:3], vcc, s[2:3]
	s_and_saveexec_b64 s[12:13], s[2:3]
	s_cbranch_execz .LBB262_8
; %bb.3:
	s_load_dwordx4 s[12:15], s[0:1], 0x38
	s_load_dwordx2 s[2:3], s[0:1], 0x48
	s_lshl_b64 s[0:1], s[4:5], 3
	v_mov_b32_e32 v5, 0
	s_waitcnt lgkmcnt(0)
	s_add_u32 s0, s12, s0
	s_addc_u32 s1, s13, s1
	s_load_dwordx2 s[0:1], s[0:1], 0x0
	s_andn2_b64 vcc, exec, s[18:19]
	s_cbranch_vccnz .LBB262_5
; %bb.4:
	v_mov_b64_e32 v[2:3], 0
	v_mov_b64_e32 v[0:1], 0
	s_cbranch_execz .LBB262_6
	s_branch .LBB262_7
.LBB262_5:
	v_mov_b64_e32 v[2:3], 0
	v_mov_b64_e32 v[0:1], 0
.LBB262_6:
	v_mad_u64_u32 v[0:1], s[4:5], s6, v6, 0
	v_mov_b32_e32 v2, v1
	v_mad_u64_u32 v[2:3], s[4:5], s7, v6, v[2:3]
	v_mov_b32_e32 v1, v2
	v_lshl_add_u64 v[0:1], v[0:1], 4, s[16:17]
	v_lshl_add_u64 v[0:1], v[4:5], 4, v[0:1]
	flat_load_dwordx4 v[8:11], v[0:1]
	s_waitcnt vmcnt(0) lgkmcnt(0)
	v_mul_f64 v[0:1], s[10:11], v[10:11]
	v_mul_f64 v[2:3], s[8:9], v[10:11]
	v_fma_f64 v[0:1], s[8:9], v[8:9], -v[0:1]
	v_fmac_f64_e32 v[2:3], s[10:11], v[8:9]
.LBB262_7:
	s_lshl_b64 s[4:5], s[14:15], 4
	s_waitcnt lgkmcnt(0)
	s_add_u32 s0, s0, s4
	s_addc_u32 s1, s1, s5
	v_mad_u64_u32 v[8:9], s[4:5], s2, v6, 0
	v_mov_b32_e32 v10, v9
	v_mad_u64_u32 v[6:7], s[2:3], s3, v6, v[10:11]
	v_mov_b32_e32 v9, v6
	v_lshl_add_u64 v[6:7], v[8:9], 4, s[0:1]
	v_lshl_add_u64 v[4:5], v[4:5], 4, v[6:7]
	flat_store_dwordx4 v[4:5], v[0:3]
.LBB262_8:
	s_endpgm
	.section	.rodata,"a",@progbits
	.p2align	6, 0x0
	.amdhsa_kernel _ZN12_GLOBAL__N_120gemm_ex_scale_kernelILi32ELi32E19rocblas_complex_numIdEPKPKS2_PKPS2_EEviiT1_T2_lllT3_llli
		.amdhsa_group_segment_fixed_size 0
		.amdhsa_private_segment_fixed_size 0
		.amdhsa_kernarg_size 92
		.amdhsa_user_sgpr_count 2
		.amdhsa_user_sgpr_dispatch_ptr 0
		.amdhsa_user_sgpr_queue_ptr 0
		.amdhsa_user_sgpr_kernarg_segment_ptr 1
		.amdhsa_user_sgpr_dispatch_id 0
		.amdhsa_user_sgpr_kernarg_preload_length 0
		.amdhsa_user_sgpr_kernarg_preload_offset 0
		.amdhsa_user_sgpr_private_segment_size 0
		.amdhsa_uses_dynamic_stack 0
		.amdhsa_enable_private_segment 0
		.amdhsa_system_sgpr_workgroup_id_x 1
		.amdhsa_system_sgpr_workgroup_id_y 1
		.amdhsa_system_sgpr_workgroup_id_z 1
		.amdhsa_system_sgpr_workgroup_info 0
		.amdhsa_system_vgpr_workitem_id 1
		.amdhsa_next_free_vgpr 12
		.amdhsa_next_free_sgpr 22
		.amdhsa_accum_offset 12
		.amdhsa_reserve_vcc 1
		.amdhsa_float_round_mode_32 0
		.amdhsa_float_round_mode_16_64 0
		.amdhsa_float_denorm_mode_32 3
		.amdhsa_float_denorm_mode_16_64 3
		.amdhsa_dx10_clamp 1
		.amdhsa_ieee_mode 1
		.amdhsa_fp16_overflow 0
		.amdhsa_tg_split 0
		.amdhsa_exception_fp_ieee_invalid_op 0
		.amdhsa_exception_fp_denorm_src 0
		.amdhsa_exception_fp_ieee_div_zero 0
		.amdhsa_exception_fp_ieee_overflow 0
		.amdhsa_exception_fp_ieee_underflow 0
		.amdhsa_exception_fp_ieee_inexact 0
		.amdhsa_exception_int_div_zero 0
	.end_amdhsa_kernel
	.section	.text._ZN12_GLOBAL__N_120gemm_ex_scale_kernelILi32ELi32E19rocblas_complex_numIdEPKPKS2_PKPS2_EEviiT1_T2_lllT3_llli,"axG",@progbits,_ZN12_GLOBAL__N_120gemm_ex_scale_kernelILi32ELi32E19rocblas_complex_numIdEPKPKS2_PKPS2_EEviiT1_T2_lllT3_llli,comdat
.Lfunc_end262:
	.size	_ZN12_GLOBAL__N_120gemm_ex_scale_kernelILi32ELi32E19rocblas_complex_numIdEPKPKS2_PKPS2_EEviiT1_T2_lllT3_llli, .Lfunc_end262-_ZN12_GLOBAL__N_120gemm_ex_scale_kernelILi32ELi32E19rocblas_complex_numIdEPKPKS2_PKPS2_EEviiT1_T2_lllT3_llli
                                        ; -- End function
	.set _ZN12_GLOBAL__N_120gemm_ex_scale_kernelILi32ELi32E19rocblas_complex_numIdEPKPKS2_PKPS2_EEviiT1_T2_lllT3_llli.num_vgpr, 12
	.set _ZN12_GLOBAL__N_120gemm_ex_scale_kernelILi32ELi32E19rocblas_complex_numIdEPKPKS2_PKPS2_EEviiT1_T2_lllT3_llli.num_agpr, 0
	.set _ZN12_GLOBAL__N_120gemm_ex_scale_kernelILi32ELi32E19rocblas_complex_numIdEPKPKS2_PKPS2_EEviiT1_T2_lllT3_llli.numbered_sgpr, 22
	.set _ZN12_GLOBAL__N_120gemm_ex_scale_kernelILi32ELi32E19rocblas_complex_numIdEPKPKS2_PKPS2_EEviiT1_T2_lllT3_llli.num_named_barrier, 0
	.set _ZN12_GLOBAL__N_120gemm_ex_scale_kernelILi32ELi32E19rocblas_complex_numIdEPKPKS2_PKPS2_EEviiT1_T2_lllT3_llli.private_seg_size, 0
	.set _ZN12_GLOBAL__N_120gemm_ex_scale_kernelILi32ELi32E19rocblas_complex_numIdEPKPKS2_PKPS2_EEviiT1_T2_lllT3_llli.uses_vcc, 1
	.set _ZN12_GLOBAL__N_120gemm_ex_scale_kernelILi32ELi32E19rocblas_complex_numIdEPKPKS2_PKPS2_EEviiT1_T2_lllT3_llli.uses_flat_scratch, 0
	.set _ZN12_GLOBAL__N_120gemm_ex_scale_kernelILi32ELi32E19rocblas_complex_numIdEPKPKS2_PKPS2_EEviiT1_T2_lllT3_llli.has_dyn_sized_stack, 0
	.set _ZN12_GLOBAL__N_120gemm_ex_scale_kernelILi32ELi32E19rocblas_complex_numIdEPKPKS2_PKPS2_EEviiT1_T2_lllT3_llli.has_recursion, 0
	.set _ZN12_GLOBAL__N_120gemm_ex_scale_kernelILi32ELi32E19rocblas_complex_numIdEPKPKS2_PKPS2_EEviiT1_T2_lllT3_llli.has_indirect_call, 0
	.section	.AMDGPU.csdata,"",@progbits
; Kernel info:
; codeLenInByte = 384
; TotalNumSgprs: 28
; NumVgprs: 12
; NumAgprs: 0
; TotalNumVgprs: 12
; ScratchSize: 0
; MemoryBound: 0
; FloatMode: 240
; IeeeMode: 1
; LDSByteSize: 0 bytes/workgroup (compile time only)
; SGPRBlocks: 3
; VGPRBlocks: 1
; NumSGPRsForWavesPerEU: 28
; NumVGPRsForWavesPerEU: 12
; AccumOffset: 12
; Occupancy: 8
; WaveLimiterHint : 1
; COMPUTE_PGM_RSRC2:SCRATCH_EN: 0
; COMPUTE_PGM_RSRC2:USER_SGPR: 2
; COMPUTE_PGM_RSRC2:TRAP_HANDLER: 0
; COMPUTE_PGM_RSRC2:TGID_X_EN: 1
; COMPUTE_PGM_RSRC2:TGID_Y_EN: 1
; COMPUTE_PGM_RSRC2:TGID_Z_EN: 1
; COMPUTE_PGM_RSRC2:TIDIG_COMP_CNT: 1
; COMPUTE_PGM_RSRC3_GFX90A:ACCUM_OFFSET: 2
; COMPUTE_PGM_RSRC3_GFX90A:TG_SPLIT: 0
	.section	.text._ZN12_GLOBAL__N_127rocblas_gemm_batched_kernelI19rocblas_complex_numIdELi16ELi16ELi64ELi64ELi4ELi64ELi4ELi4ELi64ELc78ELc78EKPKS2_S5_KPS2_EEvlllT_PT11_llSA_llS8_PT12_llPT13_lli,"axG",@progbits,_ZN12_GLOBAL__N_127rocblas_gemm_batched_kernelI19rocblas_complex_numIdELi16ELi16ELi64ELi64ELi4ELi64ELi4ELi4ELi64ELc78ELc78EKPKS2_S5_KPS2_EEvlllT_PT11_llSA_llS8_PT12_llPT13_lli,comdat
	.globl	_ZN12_GLOBAL__N_127rocblas_gemm_batched_kernelI19rocblas_complex_numIdELi16ELi16ELi64ELi64ELi4ELi64ELi4ELi4ELi64ELc78ELc78EKPKS2_S5_KPS2_EEvlllT_PT11_llSA_llS8_PT12_llPT13_lli ; -- Begin function _ZN12_GLOBAL__N_127rocblas_gemm_batched_kernelI19rocblas_complex_numIdELi16ELi16ELi64ELi64ELi4ELi64ELi4ELi4ELi64ELc78ELc78EKPKS2_S5_KPS2_EEvlllT_PT11_llSA_llS8_PT12_llPT13_lli
	.p2align	8
	.type	_ZN12_GLOBAL__N_127rocblas_gemm_batched_kernelI19rocblas_complex_numIdELi16ELi16ELi64ELi64ELi4ELi64ELi4ELi4ELi64ELc78ELc78EKPKS2_S5_KPS2_EEvlllT_PT11_llSA_llS8_PT12_llPT13_lli,@function
_ZN12_GLOBAL__N_127rocblas_gemm_batched_kernelI19rocblas_complex_numIdELi16ELi16ELi64ELi64ELi4ELi64ELi4ELi4ELi64ELc78ELc78EKPKS2_S5_KPS2_EEvlllT_PT11_llSA_llS8_PT12_llPT13_lli: ; @_ZN12_GLOBAL__N_127rocblas_gemm_batched_kernelI19rocblas_complex_numIdELi16ELi16ELi64ELi64ELi4ELi64ELi4ELi4ELi64ELc78ELc78EKPKS2_S5_KPS2_EEvlllT_PT11_llSA_llS8_PT12_llPT13_lli
; %bb.0:
	s_load_dwordx16 s[36:51], s[0:1], 0x10
	s_load_dwordx16 s[8:23], s[0:1], 0x50
	s_mov_b32 s5, 0
	s_lshl_b64 s[24:25], s[4:5], 3
	s_mov_b32 s26, s3
	v_mov_b32_e32 v27, 0
	s_waitcnt lgkmcnt(0)
	s_add_u32 s4, s14, s24
	s_addc_u32 s5, s15, s25
	s_add_u32 s6, s20, s24
	s_addc_u32 s7, s21, s25
	s_load_dwordx2 s[4:5], s[4:5], 0x0
	s_ashr_i32 s3, s2, 31
	s_load_dwordx2 s[6:7], s[6:7], 0x0
	s_ashr_i32 s27, s26, 31
	v_cmp_lt_i64_e64 s[20:21], s[36:37], 1
	v_bfe_u32 v26, v0, 10, 10
	v_and_b32_e32 v24, 0x3ff, v0
	v_mov_b32_e32 v25, v27
	s_lshl_b64 s[2:3], s[2:3], 6
	s_lshl_b64 s[14:15], s[26:27], 6
	s_and_b64 vcc, exec, s[20:21]
	s_cbranch_vccnz .LBB263_3
; %bb.1:
	v_lshl_add_u32 v6, v26, 4, v24
	v_lshrrev_b32_e32 v0, 2, v6
	v_mov_b32_e32 v1, v27
	v_and_b32_e32 v4, 63, v6
	v_lshl_add_u64 v[2:3], v[0:1], 0, s[14:15]
	v_and_b32_e32 v1, 3, v24
	v_lshrrev_b32_e32 v7, 6, v6
	v_lshlrev_b32_e32 v6, 4, v4
	s_add_u32 s20, s42, s24
	v_lshl_or_b32 v110, v7, 10, v6
	v_lshlrev_b32_e32 v6, 4, v1
	s_addc_u32 s21, s43, s25
	v_lshl_or_b32 v0, v0, 6, v6
	s_load_dwordx2 s[20:21], s[20:21], 0x0
	v_add_u32_e32 v111, 0x1000, v0
	v_mov_b32_e32 v0, 0x1000
	v_lshl_add_u32 v113, v26, 6, v0
	v_mov_b64_e32 v[0:1], s[2:3]
	v_mad_u64_u32 v[0:1], s[28:29], s44, v7, v[0:1]
	s_add_u32 s24, s48, s24
	v_mov_b32_e32 v8, v1
	s_addc_u32 s25, s49, s25
	s_lshl_b64 s[26:27], s[46:47], 4
	v_mad_u64_u32 v[8:9], s[28:29], s45, v7, v[8:9]
	v_mov_b32_e32 v5, v27
	v_mov_b32_e32 v1, v8
	s_waitcnt lgkmcnt(0)
	s_add_u32 s20, s20, s26
	s_load_dwordx2 s[24:25], s[24:25], 0x0
	v_lshl_add_u64 v[0:1], v[0:1], 0, v[4:5]
	s_addc_u32 s21, s21, s27
	v_lshl_add_u64 v[28:29], v[0:1], 4, s[20:21]
	v_mul_lo_u32 v4, s51, v2
	v_mul_lo_u32 v3, s50, v3
	v_mad_u64_u32 v[0:1], s[26:27], s50, v2, 0
	v_add3_u32 v1, v1, v3, v4
	s_lshl_b64 s[8:9], s[8:9], 4
	v_lshl_add_u64 v[0:1], v[0:1], 4, s[8:9]
	v_mov_b32_e32 v7, v27
	v_lshl_add_u64 v[0:1], v[0:1], 0, v[6:7]
	v_lshlrev_b32_e32 v112, 4, v24
	s_lshl_b64 s[20:21], s[44:45], 6
	s_waitcnt lgkmcnt(0)
	v_lshl_add_u64 v[30:31], s[24:25], 0, v[0:1]
	s_mov_b64 s[8:9], 0
	v_mov_b64_e32 v[10:11], 0
	v_mov_b64_e32 v[32:33], s[36:37]
	;; [unrolled: 1-line block ×33, first 2 shown]
.LBB263_2:                              ; =>This Inner Loop Header: Depth=1
	flat_load_dwordx4 v[0:3], v[28:29]
	s_add_u32 s8, s8, 4
	s_addc_u32 s9, s9, 0
	v_cmp_lt_i64_e32 vcc, s[8:9], v[32:33]
	v_lshl_add_u64 v[28:29], v[28:29], 0, s[20:21]
	s_and_b64 vcc, exec, vcc
	s_waitcnt vmcnt(0) lgkmcnt(0)
	ds_write2_b64 v110, v[0:1], v[2:3] offset1:1
	flat_load_dwordx4 v[0:3], v[30:31]
	v_lshl_add_u64 v[30:31], v[30:31], 0, 64
	s_waitcnt vmcnt(0) lgkmcnt(0)
	ds_write2_b64 v111, v[0:1], v[2:3] offset1:1
	s_waitcnt lgkmcnt(0)
	s_barrier
	ds_read_b128 v[82:85], v113
	ds_read_b128 v[114:117], v113 offset:16
	ds_read_b128 v[4:7], v113 offset:32
	;; [unrolled: 1-line block ×3, first 2 shown]
	ds_read_b128 v[118:121], v112
	s_waitcnt lgkmcnt(0)
	v_mul_f64 v[86:87], v[84:85], v[120:121]
	v_mul_f64 v[88:89], v[82:83], v[120:121]
	v_fma_f64 v[86:87], v[82:83], v[118:119], -v[86:87]
	v_fmac_f64_e32 v[88:89], v[84:85], v[118:119]
	v_add_f64 v[122:123], v[54:55], v[86:87]
	v_add_f64 v[124:125], v[88:89], v[56:57]
	ds_read_b128 v[54:57], v112 offset:256
	s_waitcnt lgkmcnt(0)
	v_mul_f64 v[86:87], v[84:85], v[56:57]
	v_mul_f64 v[88:89], v[82:83], v[56:57]
	v_fma_f64 v[86:87], v[82:83], v[54:55], -v[86:87]
	v_fmac_f64_e32 v[88:89], v[84:85], v[54:55]
	v_add_f64 v[126:127], v[38:39], v[86:87]
	v_add_f64 v[128:129], v[88:89], v[40:41]
	ds_read_b128 v[38:41], v112 offset:512
	;; [unrolled: 8-line block ×3, first 2 shown]
	s_waitcnt lgkmcnt(0)
	v_mul_f64 v[86:87], v[84:85], v[36:37]
	v_fma_f64 v[86:87], v[82:83], v[34:35], -v[86:87]
	v_mul_f64 v[82:83], v[82:83], v[36:37]
	v_fmac_f64_e32 v[82:83], v[84:85], v[34:35]
	v_add_f64 v[134:135], v[20:21], v[86:87]
	v_add_f64 v[136:137], v[82:83], v[22:23]
	ds_read_b128 v[20:23], v113 offset:1024
	s_waitcnt lgkmcnt(0)
	v_mul_f64 v[82:83], v[22:23], v[120:121]
	v_fma_f64 v[82:83], v[20:21], v[118:119], -v[82:83]
	v_add_f64 v[74:75], v[74:75], v[82:83]
	v_mul_f64 v[82:83], v[22:23], v[56:57]
	v_mul_f64 v[84:85], v[20:21], v[120:121]
	v_fma_f64 v[82:83], v[20:21], v[54:55], -v[82:83]
	v_fmac_f64_e32 v[84:85], v[22:23], v[118:119]
	v_add_f64 v[98:99], v[66:67], v[82:83]
	v_mul_f64 v[66:67], v[22:23], v[40:41]
	v_add_f64 v[76:77], v[84:85], v[76:77]
	v_mul_f64 v[84:85], v[20:21], v[56:57]
	v_fma_f64 v[66:67], v[20:21], v[38:39], -v[66:67]
	v_fmac_f64_e32 v[84:85], v[22:23], v[54:55]
	v_add_f64 v[102:103], v[58:59], v[66:67]
	v_mul_f64 v[58:59], v[22:23], v[36:37]
	v_add_f64 v[100:101], v[84:85], v[68:69]
	v_mul_f64 v[68:69], v[20:21], v[40:41]
	v_fma_f64 v[58:59], v[20:21], v[34:35], -v[58:59]
	v_mul_f64 v[20:21], v[20:21], v[36:37]
	v_fmac_f64_e32 v[20:21], v[22:23], v[34:35]
	v_fmac_f64_e32 v[68:69], v[22:23], v[38:39]
	v_add_f64 v[108:109], v[20:21], v[50:51]
	ds_read_b128 v[20:23], v113 offset:2048
	v_add_f64 v[106:107], v[46:47], v[58:59]
	v_add_f64 v[104:105], v[68:69], v[62:63]
	s_waitcnt lgkmcnt(0)
	v_mul_f64 v[46:47], v[22:23], v[120:121]
	v_fma_f64 v[46:47], v[20:21], v[118:119], -v[46:47]
	v_add_f64 v[82:83], v[70:71], v[46:47]
	v_mul_f64 v[46:47], v[22:23], v[56:57]
	v_mul_f64 v[50:51], v[20:21], v[120:121]
	v_fma_f64 v[46:47], v[20:21], v[54:55], -v[46:47]
	v_fmac_f64_e32 v[50:51], v[22:23], v[118:119]
	v_add_f64 v[86:87], v[60:61], v[46:47]
	v_mul_f64 v[46:47], v[22:23], v[40:41]
	v_add_f64 v[84:85], v[50:51], v[72:73]
	v_mul_f64 v[50:51], v[20:21], v[56:57]
	v_fma_f64 v[46:47], v[20:21], v[38:39], -v[46:47]
	v_fmac_f64_e32 v[50:51], v[22:23], v[54:55]
	v_add_f64 v[90:91], v[48:49], v[46:47]
	v_mul_f64 v[46:47], v[22:23], v[36:37]
	v_add_f64 v[88:89], v[50:51], v[64:65]
	v_mul_f64 v[50:51], v[20:21], v[40:41]
	v_fma_f64 v[46:47], v[20:21], v[34:35], -v[46:47]
	v_mul_f64 v[20:21], v[20:21], v[36:37]
	v_fmac_f64_e32 v[20:21], v[22:23], v[34:35]
	v_fmac_f64_e32 v[50:51], v[22:23], v[38:39]
	v_add_f64 v[96:97], v[20:21], v[44:45]
	ds_read_b128 v[20:23], v113 offset:3072
	v_add_f64 v[94:95], v[42:43], v[46:47]
	v_add_f64 v[92:93], v[50:51], v[52:53]
	s_waitcnt lgkmcnt(0)
	v_mul_f64 v[42:43], v[22:23], v[120:121]
	v_mul_f64 v[44:45], v[20:21], v[120:121]
	v_fma_f64 v[42:43], v[20:21], v[118:119], -v[42:43]
	v_fmac_f64_e32 v[44:45], v[22:23], v[118:119]
	v_add_f64 v[62:63], v[78:79], v[42:43]
	v_add_f64 v[64:65], v[44:45], v[80:81]
	v_mul_f64 v[42:43], v[22:23], v[56:57]
	v_mul_f64 v[44:45], v[20:21], v[56:57]
	v_fma_f64 v[42:43], v[20:21], v[54:55], -v[42:43]
	v_fmac_f64_e32 v[44:45], v[22:23], v[54:55]
	v_add_f64 v[58:59], v[16:17], v[42:43]
	v_add_f64 v[60:61], v[44:45], v[18:19]
	v_mul_f64 v[16:17], v[22:23], v[40:41]
	v_mul_f64 v[18:19], v[20:21], v[40:41]
	v_fma_f64 v[16:17], v[20:21], v[38:39], -v[16:17]
	v_fmac_f64_e32 v[18:19], v[22:23], v[38:39]
	v_add_f64 v[54:55], v[12:13], v[16:17]
	v_add_f64 v[56:57], v[18:19], v[14:15]
	v_mul_f64 v[12:13], v[22:23], v[36:37]
	v_mul_f64 v[14:15], v[20:21], v[36:37]
	v_fma_f64 v[12:13], v[20:21], v[34:35], -v[12:13]
	v_fmac_f64_e32 v[14:15], v[22:23], v[34:35]
	ds_read_b128 v[20:23], v112 offset:1024
	ds_read_b128 v[16:19], v112 offset:1280
	v_add_f64 v[50:51], v[8:9], v[12:13]
	v_add_f64 v[52:53], v[14:15], v[10:11]
	ds_read_b128 v[12:15], v112 offset:1536
	ds_read_b128 v[78:81], v113 offset:1040
	s_waitcnt lgkmcnt(3)
	v_mul_f64 v[8:9], v[116:117], v[22:23]
	v_mul_f64 v[10:11], v[114:115], v[22:23]
	v_fma_f64 v[8:9], v[114:115], v[20:21], -v[8:9]
	v_fmac_f64_e32 v[10:11], v[116:117], v[20:21]
	v_add_f64 v[46:47], v[122:123], v[8:9]
	v_add_f64 v[48:49], v[10:11], v[124:125]
	s_waitcnt lgkmcnt(2)
	v_mul_f64 v[8:9], v[116:117], v[18:19]
	v_mul_f64 v[10:11], v[114:115], v[18:19]
	v_fma_f64 v[8:9], v[114:115], v[16:17], -v[8:9]
	v_fmac_f64_e32 v[10:11], v[116:117], v[16:17]
	v_add_f64 v[42:43], v[126:127], v[8:9]
	v_add_f64 v[44:45], v[10:11], v[128:129]
	;; [unrolled: 7-line block ×3, first 2 shown]
	ds_read_b128 v[8:11], v112 offset:1792
	s_waitcnt lgkmcnt(1)
	v_mul_f64 v[70:71], v[80:81], v[18:19]
	v_mul_f64 v[72:73], v[78:79], v[18:19]
	;; [unrolled: 1-line block ×4, first 2 shown]
	v_fma_f64 v[70:71], v[78:79], v[16:17], -v[70:71]
	v_fmac_f64_e32 v[72:73], v[80:81], v[16:17]
	v_fma_f64 v[66:67], v[78:79], v[20:21], -v[66:67]
	v_fmac_f64_e32 v[68:69], v[80:81], v[20:21]
	v_add_f64 v[70:71], v[98:99], v[70:71]
	v_add_f64 v[72:73], v[72:73], v[100:101]
	s_waitcnt lgkmcnt(0)
	v_mul_f64 v[98:99], v[80:81], v[10:11]
	v_mul_f64 v[100:101], v[78:79], v[10:11]
	v_add_f64 v[66:67], v[74:75], v[66:67]
	v_add_f64 v[68:69], v[68:69], v[76:77]
	v_mul_f64 v[74:75], v[80:81], v[14:15]
	v_mul_f64 v[76:77], v[78:79], v[14:15]
	v_fma_f64 v[98:99], v[78:79], v[8:9], -v[98:99]
	v_fmac_f64_e32 v[100:101], v[80:81], v[8:9]
	v_fma_f64 v[74:75], v[78:79], v[12:13], -v[74:75]
	v_fmac_f64_e32 v[76:77], v[80:81], v[12:13]
	v_add_f64 v[78:79], v[106:107], v[98:99]
	v_add_f64 v[80:81], v[100:101], v[108:109]
	ds_read_b128 v[98:101], v113 offset:2064
	v_add_f64 v[74:75], v[102:103], v[74:75]
	v_add_f64 v[76:77], v[76:77], v[104:105]
	v_mul_f64 v[34:35], v[116:117], v[10:11]
	v_mul_f64 v[36:37], v[114:115], v[10:11]
	s_waitcnt lgkmcnt(0)
	v_mul_f64 v[102:103], v[100:101], v[22:23]
	v_mul_f64 v[104:105], v[98:99], v[22:23]
	v_fma_f64 v[102:103], v[98:99], v[20:21], -v[102:103]
	v_fmac_f64_e32 v[104:105], v[100:101], v[20:21]
	v_add_f64 v[82:83], v[82:83], v[102:103]
	v_add_f64 v[84:85], v[104:105], v[84:85]
	v_mul_f64 v[102:103], v[100:101], v[18:19]
	v_mul_f64 v[104:105], v[98:99], v[18:19]
	v_fma_f64 v[102:103], v[98:99], v[16:17], -v[102:103]
	v_fmac_f64_e32 v[104:105], v[100:101], v[16:17]
	v_add_f64 v[86:87], v[86:87], v[102:103]
	v_add_f64 v[88:89], v[104:105], v[88:89]
	;; [unrolled: 6-line block ×4, first 2 shown]
	ds_read_b128 v[94:97], v113 offset:3088
	v_fma_f64 v[34:35], v[114:115], v[8:9], -v[34:35]
	v_fmac_f64_e32 v[36:37], v[116:117], v[8:9]
	v_add_f64 v[36:37], v[36:37], v[136:137]
	v_add_f64 v[34:35], v[134:135], v[34:35]
	s_waitcnt lgkmcnt(0)
	v_mul_f64 v[102:103], v[96:97], v[22:23]
	v_mul_f64 v[22:23], v[94:95], v[22:23]
	v_fma_f64 v[102:103], v[94:95], v[20:21], -v[102:103]
	v_fmac_f64_e32 v[22:23], v[96:97], v[20:21]
	v_mul_f64 v[20:21], v[96:97], v[18:19]
	v_mul_f64 v[18:19], v[94:95], v[18:19]
	v_fma_f64 v[20:21], v[94:95], v[16:17], -v[20:21]
	v_fmac_f64_e32 v[18:19], v[96:97], v[16:17]
	;; [unrolled: 4-line block ×3, first 2 shown]
	v_mul_f64 v[12:13], v[96:97], v[10:11]
	v_mul_f64 v[10:11], v[94:95], v[10:11]
	v_fmac_f64_e32 v[10:11], v[96:97], v[8:9]
	v_fma_f64 v[12:13], v[94:95], v[8:9], -v[12:13]
	v_add_f64 v[116:117], v[10:11], v[52:53]
	ds_read_b128 v[8:11], v112 offset:2048
	v_add_f64 v[56:57], v[14:15], v[56:57]
	v_add_f64 v[114:115], v[50:51], v[12:13]
	;; [unrolled: 1-line block ×4, first 2 shown]
	s_waitcnt lgkmcnt(0)
	v_mul_f64 v[12:13], v[6:7], v[10:11]
	v_mul_f64 v[14:15], v[4:5], v[10:11]
	v_fma_f64 v[12:13], v[4:5], v[8:9], -v[12:13]
	v_fmac_f64_e32 v[14:15], v[6:7], v[8:9]
	v_add_f64 v[118:119], v[46:47], v[12:13]
	v_add_f64 v[120:121], v[14:15], v[48:49]
	ds_read_b128 v[12:15], v112 offset:2304
	v_add_f64 v[104:105], v[22:23], v[64:65]
	v_add_f64 v[106:107], v[58:59], v[20:21]
	;; [unrolled: 1-line block ×3, first 2 shown]
	s_waitcnt lgkmcnt(0)
	v_mul_f64 v[16:17], v[6:7], v[14:15]
	v_mul_f64 v[18:19], v[4:5], v[14:15]
	v_fma_f64 v[16:17], v[4:5], v[12:13], -v[16:17]
	v_fmac_f64_e32 v[18:19], v[6:7], v[12:13]
	v_add_f64 v[122:123], v[42:43], v[16:17]
	v_add_f64 v[124:125], v[18:19], v[44:45]
	ds_read_b128 v[16:19], v112 offset:2560
	s_waitcnt lgkmcnt(0)
	v_mul_f64 v[20:21], v[6:7], v[18:19]
	v_mul_f64 v[22:23], v[4:5], v[18:19]
	v_fma_f64 v[20:21], v[4:5], v[16:17], -v[20:21]
	v_fmac_f64_e32 v[22:23], v[6:7], v[16:17]
	v_add_f64 v[126:127], v[38:39], v[20:21]
	v_add_f64 v[128:129], v[22:23], v[40:41]
	ds_read_b128 v[20:23], v112 offset:2816
	s_waitcnt lgkmcnt(0)
	v_mul_f64 v[38:39], v[6:7], v[22:23]
	v_fma_f64 v[38:39], v[4:5], v[20:21], -v[38:39]
	v_mul_f64 v[4:5], v[4:5], v[22:23]
	v_fmac_f64_e32 v[4:5], v[6:7], v[20:21]
	v_add_f64 v[132:133], v[4:5], v[36:37]
	ds_read_b128 v[4:7], v113 offset:1056
	v_add_f64 v[130:131], v[34:35], v[38:39]
	s_waitcnt lgkmcnt(0)
	v_mul_f64 v[34:35], v[6:7], v[10:11]
	v_fma_f64 v[34:35], v[4:5], v[8:9], -v[34:35]
	v_add_f64 v[46:47], v[66:67], v[34:35]
	v_mul_f64 v[34:35], v[6:7], v[14:15]
	v_mul_f64 v[36:37], v[4:5], v[10:11]
	v_fma_f64 v[34:35], v[4:5], v[12:13], -v[34:35]
	v_fmac_f64_e32 v[36:37], v[6:7], v[8:9]
	v_add_f64 v[58:59], v[70:71], v[34:35]
	v_mul_f64 v[34:35], v[6:7], v[18:19]
	v_add_f64 v[50:51], v[36:37], v[68:69]
	v_mul_f64 v[36:37], v[4:5], v[14:15]
	v_fma_f64 v[34:35], v[4:5], v[16:17], -v[34:35]
	v_fmac_f64_e32 v[36:37], v[6:7], v[12:13]
	v_add_f64 v[62:63], v[74:75], v[34:35]
	v_mul_f64 v[34:35], v[6:7], v[22:23]
	v_add_f64 v[60:61], v[36:37], v[72:73]
	v_mul_f64 v[36:37], v[4:5], v[18:19]
	v_fma_f64 v[34:35], v[4:5], v[20:21], -v[34:35]
	v_mul_f64 v[4:5], v[4:5], v[22:23]
	v_fmac_f64_e32 v[4:5], v[6:7], v[20:21]
	v_fmac_f64_e32 v[36:37], v[6:7], v[16:17]
	v_add_f64 v[72:73], v[4:5], v[80:81]
	ds_read_b128 v[4:7], v113 offset:2080
	v_add_f64 v[70:71], v[78:79], v[34:35]
	v_add_f64 v[64:65], v[36:37], v[76:77]
	s_waitcnt lgkmcnt(0)
	v_mul_f64 v[34:35], v[6:7], v[10:11]
	v_fma_f64 v[34:35], v[4:5], v[8:9], -v[34:35]
	v_add_f64 v[42:43], v[82:83], v[34:35]
	v_mul_f64 v[34:35], v[6:7], v[14:15]
	v_mul_f64 v[36:37], v[4:5], v[10:11]
	v_fma_f64 v[34:35], v[4:5], v[12:13], -v[34:35]
	v_fmac_f64_e32 v[36:37], v[6:7], v[8:9]
	v_add_f64 v[48:49], v[86:87], v[34:35]
	v_mul_f64 v[34:35], v[6:7], v[18:19]
	v_add_f64 v[44:45], v[36:37], v[84:85]
	v_mul_f64 v[36:37], v[4:5], v[14:15]
	v_fma_f64 v[34:35], v[4:5], v[16:17], -v[34:35]
	v_fmac_f64_e32 v[36:37], v[6:7], v[12:13]
	v_add_f64 v[94:95], v[90:91], v[34:35]
	v_mul_f64 v[34:35], v[6:7], v[22:23]
	v_add_f64 v[52:53], v[36:37], v[88:89]
	v_mul_f64 v[36:37], v[4:5], v[18:19]
	v_fma_f64 v[34:35], v[4:5], v[20:21], -v[34:35]
	v_mul_f64 v[4:5], v[4:5], v[22:23]
	v_fmac_f64_e32 v[4:5], v[6:7], v[20:21]
	v_fmac_f64_e32 v[36:37], v[6:7], v[16:17]
	v_add_f64 v[100:101], v[4:5], v[100:101]
	ds_read_b128 v[4:7], v113 offset:3104
	v_add_f64 v[98:99], v[98:99], v[34:35]
	v_add_f64 v[96:97], v[36:37], v[92:93]
	s_waitcnt lgkmcnt(0)
	v_mul_f64 v[34:35], v[6:7], v[10:11]
	v_mul_f64 v[10:11], v[4:5], v[10:11]
	v_fmac_f64_e32 v[10:11], v[6:7], v[8:9]
	v_fma_f64 v[34:35], v[4:5], v[8:9], -v[34:35]
	v_add_f64 v[80:81], v[10:11], v[104:105]
	v_mul_f64 v[8:9], v[6:7], v[14:15]
	v_mul_f64 v[10:11], v[4:5], v[14:15]
	v_fma_f64 v[8:9], v[4:5], v[12:13], -v[8:9]
	v_fmac_f64_e32 v[10:11], v[6:7], v[12:13]
	v_add_f64 v[90:91], v[106:107], v[8:9]
	v_add_f64 v[92:93], v[10:11], v[108:109]
	v_mul_f64 v[8:9], v[6:7], v[18:19]
	v_mul_f64 v[10:11], v[4:5], v[18:19]
	v_fma_f64 v[8:9], v[4:5], v[16:17], -v[8:9]
	v_fmac_f64_e32 v[10:11], v[6:7], v[16:17]
	ds_read_b128 v[16:19], v112 offset:3072
	ds_read_b128 v[12:15], v112 offset:3328
	v_add_f64 v[86:87], v[54:55], v[8:9]
	v_mul_f64 v[8:9], v[6:7], v[22:23]
	v_fma_f64 v[8:9], v[4:5], v[20:21], -v[8:9]
	v_mul_f64 v[4:5], v[4:5], v[22:23]
	v_add_f64 v[88:89], v[10:11], v[56:57]
	v_fmac_f64_e32 v[4:5], v[6:7], v[20:21]
	v_add_f64 v[82:83], v[114:115], v[8:9]
	ds_read_b128 v[8:11], v112 offset:3584
	v_add_f64 v[84:85], v[4:5], v[116:117]
	s_waitcnt lgkmcnt(2)
	v_mul_f64 v[4:5], v[2:3], v[18:19]
	v_mul_f64 v[6:7], v[0:1], v[18:19]
	v_fma_f64 v[4:5], v[0:1], v[16:17], -v[4:5]
	v_fmac_f64_e32 v[6:7], v[2:3], v[16:17]
	v_add_f64 v[54:55], v[118:119], v[4:5]
	v_add_f64 v[56:57], v[6:7], v[120:121]
	s_waitcnt lgkmcnt(1)
	v_mul_f64 v[4:5], v[2:3], v[14:15]
	v_mul_f64 v[6:7], v[0:1], v[14:15]
	v_fma_f64 v[4:5], v[0:1], v[12:13], -v[4:5]
	v_fmac_f64_e32 v[6:7], v[2:3], v[12:13]
	v_add_f64 v[38:39], v[122:123], v[4:5]
	;; [unrolled: 7-line block ×3, first 2 shown]
	v_add_f64 v[34:35], v[126:127], v[4:5]
	v_add_f64 v[36:37], v[6:7], v[128:129]
	ds_read_b128 v[4:7], v112 offset:3840
	s_waitcnt lgkmcnt(0)
	v_mul_f64 v[20:21], v[2:3], v[6:7]
	v_fma_f64 v[20:21], v[0:1], v[4:5], -v[20:21]
	v_mul_f64 v[0:1], v[0:1], v[6:7]
	v_fmac_f64_e32 v[0:1], v[2:3], v[4:5]
	v_add_f64 v[22:23], v[0:1], v[132:133]
	ds_read_b128 v[0:3], v113 offset:1072
	v_add_f64 v[20:21], v[130:131], v[20:21]
	s_waitcnt lgkmcnt(0)
	v_mul_f64 v[66:67], v[2:3], v[18:19]
	v_fma_f64 v[66:67], v[0:1], v[16:17], -v[66:67]
	v_add_f64 v[74:75], v[46:47], v[66:67]
	v_mul_f64 v[46:47], v[2:3], v[14:15]
	v_mul_f64 v[68:69], v[0:1], v[18:19]
	v_fma_f64 v[46:47], v[0:1], v[12:13], -v[46:47]
	v_fmac_f64_e32 v[68:69], v[2:3], v[16:17]
	v_add_f64 v[66:67], v[58:59], v[46:47]
	v_mul_f64 v[46:47], v[2:3], v[10:11]
	v_add_f64 v[76:77], v[68:69], v[50:51]
	v_mul_f64 v[50:51], v[0:1], v[14:15]
	v_fma_f64 v[46:47], v[0:1], v[8:9], -v[46:47]
	v_fmac_f64_e32 v[50:51], v[2:3], v[12:13]
	v_add_f64 v[58:59], v[62:63], v[46:47]
	v_mul_f64 v[46:47], v[2:3], v[6:7]
	v_add_f64 v[68:69], v[50:51], v[60:61]
	v_mul_f64 v[50:51], v[0:1], v[10:11]
	v_fma_f64 v[46:47], v[0:1], v[4:5], -v[46:47]
	v_mul_f64 v[0:1], v[0:1], v[6:7]
	v_fmac_f64_e32 v[50:51], v[2:3], v[8:9]
	v_fmac_f64_e32 v[0:1], v[2:3], v[4:5]
	v_add_f64 v[62:63], v[50:51], v[64:65]
	v_add_f64 v[50:51], v[0:1], v[72:73]
	ds_read_b128 v[0:3], v113 offset:2096
	v_add_f64 v[46:47], v[70:71], v[46:47]
	s_waitcnt lgkmcnt(0)
	v_mul_f64 v[60:61], v[2:3], v[18:19]
	v_fma_f64 v[60:61], v[0:1], v[16:17], -v[60:61]
	v_add_f64 v[70:71], v[42:43], v[60:61]
	v_mul_f64 v[42:43], v[2:3], v[14:15]
	v_mul_f64 v[64:65], v[0:1], v[18:19]
	v_fma_f64 v[42:43], v[0:1], v[12:13], -v[42:43]
	v_fmac_f64_e32 v[64:65], v[2:3], v[16:17]
	v_add_f64 v[60:61], v[48:49], v[42:43]
	v_mul_f64 v[42:43], v[2:3], v[10:11]
	v_add_f64 v[72:73], v[64:65], v[44:45]
	v_mul_f64 v[44:45], v[0:1], v[14:15]
	v_fma_f64 v[42:43], v[0:1], v[8:9], -v[42:43]
	v_fmac_f64_e32 v[44:45], v[2:3], v[12:13]
	v_add_f64 v[48:49], v[94:95], v[42:43]
	v_mul_f64 v[42:43], v[2:3], v[6:7]
	v_add_f64 v[64:65], v[44:45], v[52:53]
	v_mul_f64 v[44:45], v[0:1], v[10:11]
	v_fma_f64 v[42:43], v[0:1], v[4:5], -v[42:43]
	v_mul_f64 v[0:1], v[0:1], v[6:7]
	v_fmac_f64_e32 v[44:45], v[2:3], v[8:9]
	v_fmac_f64_e32 v[0:1], v[2:3], v[4:5]
	v_add_f64 v[52:53], v[44:45], v[96:97]
	v_add_f64 v[44:45], v[0:1], v[100:101]
	ds_read_b128 v[0:3], v113 offset:3120
	v_add_f64 v[42:43], v[98:99], v[42:43]
	s_waitcnt lgkmcnt(0)
	s_barrier
	v_mul_f64 v[94:95], v[2:3], v[18:19]
	v_mul_f64 v[18:19], v[0:1], v[18:19]
	v_fma_f64 v[94:95], v[0:1], v[16:17], -v[94:95]
	v_fmac_f64_e32 v[18:19], v[2:3], v[16:17]
	v_mul_f64 v[16:17], v[2:3], v[14:15]
	v_mul_f64 v[14:15], v[0:1], v[14:15]
	v_fma_f64 v[16:17], v[0:1], v[12:13], -v[16:17]
	v_fmac_f64_e32 v[14:15], v[2:3], v[12:13]
	;; [unrolled: 4-line block ×3, first 2 shown]
	v_mul_f64 v[8:9], v[2:3], v[6:7]
	v_fma_f64 v[8:9], v[0:1], v[4:5], -v[8:9]
	v_mul_f64 v[0:1], v[0:1], v[6:7]
	v_fmac_f64_e32 v[0:1], v[2:3], v[4:5]
	v_add_f64 v[78:79], v[78:79], v[94:95]
	v_add_f64 v[80:81], v[18:19], v[80:81]
	v_add_f64 v[16:17], v[90:91], v[16:17]
	v_add_f64 v[18:19], v[14:15], v[92:93]
	v_add_f64 v[12:13], v[86:87], v[12:13]
	v_add_f64 v[14:15], v[10:11], v[88:89]
	v_add_f64 v[8:9], v[82:83], v[8:9]
	v_add_f64 v[10:11], v[0:1], v[84:85]
	s_cbranch_vccnz .LBB263_2
	s_branch .LBB263_4
.LBB263_3:
	v_mov_b64_e32 v[54:55], 0
	v_mov_b64_e32 v[56:57], 0
	;; [unrolled: 1-line block ×32, first 2 shown]
.LBB263_4:
	s_load_dwordx2 s[0:1], s[0:1], 0x90
	v_lshl_add_u64 v[2:3], s[14:15], 0, v[26:27]
	v_cmp_neq_f64_e64 s[14:15], s[10:11], 0
	v_cmp_neq_f64_e64 s[20:21], s[12:13], 0
	s_mov_b64 s[8:9], 0
	s_waitcnt lgkmcnt(0)
	s_lshl_b64 s[0:1], s[0:1], 4
	s_add_u32 s0, s6, s0
	s_addc_u32 s1, s7, s1
	s_or_b64 s[6:7], s[14:15], s[20:21]
	v_lshl_add_u64 v[0:1], s[2:3], 0, v[24:25]
	s_and_b64 vcc, exec, s[6:7]
	s_cbranch_vccnz .LBB263_6
; %bb.5:
	v_mul_lo_u32 v6, v3, s22
	v_mul_lo_u32 v7, v2, s23
	v_mad_u64_u32 v[4:5], s[2:3], v2, s22, 0
	v_add3_u32 v5, v5, v7, v6
	v_lshl_add_u64 v[24:25], v[4:5], 4, s[0:1]
	v_mul_f64 v[4:5], s[40:41], v[56:57]
	v_mul_f64 v[6:7], s[38:39], v[56:57]
	v_lshlrev_b64 v[26:27], 4, v[0:1]
	v_fma_f64 v[4:5], s[38:39], v[54:55], -v[4:5]
	v_fmac_f64_e32 v[6:7], s[40:41], v[54:55]
	v_lshl_add_u64 v[28:29], v[24:25], 0, v[26:27]
	flat_store_dwordx4 v[28:29], v[4:7]
	s_lshl_b64 s[2:3], s[22:23], 8
	v_lshl_add_u64 v[24:25], v[24:25], 0, s[2:3]
	v_mul_f64 v[4:5], s[40:41], v[40:41]
	v_mul_f64 v[6:7], s[38:39], v[40:41]
	v_fma_f64 v[4:5], s[38:39], v[38:39], -v[4:5]
	v_fmac_f64_e32 v[6:7], s[40:41], v[38:39]
	flat_store_dwordx4 v[28:29], v[4:7] offset:256
	s_nop 1
	v_mul_f64 v[4:5], s[40:41], v[36:37]
	v_mul_f64 v[6:7], s[38:39], v[36:37]
	v_fma_f64 v[4:5], s[38:39], v[34:35], -v[4:5]
	v_fmac_f64_e32 v[6:7], s[40:41], v[34:35]
	flat_store_dwordx4 v[28:29], v[4:7] offset:512
	s_nop 1
	v_mul_f64 v[4:5], s[40:41], v[22:23]
	v_mul_f64 v[6:7], s[38:39], v[22:23]
	v_fma_f64 v[4:5], s[38:39], v[20:21], -v[4:5]
	v_fmac_f64_e32 v[6:7], s[40:41], v[20:21]
	flat_store_dwordx4 v[28:29], v[4:7] offset:768
	v_lshl_add_u64 v[28:29], v[24:25], 0, v[26:27]
	v_lshl_add_u64 v[24:25], v[24:25], 0, s[2:3]
	v_mul_f64 v[4:5], s[40:41], v[76:77]
	v_mul_f64 v[6:7], s[38:39], v[76:77]
	v_fma_f64 v[4:5], s[38:39], v[74:75], -v[4:5]
	v_fmac_f64_e32 v[6:7], s[40:41], v[74:75]
	flat_store_dwordx4 v[28:29], v[4:7]
	s_nop 1
	v_mul_f64 v[4:5], s[40:41], v[68:69]
	v_mul_f64 v[6:7], s[38:39], v[68:69]
	v_fma_f64 v[4:5], s[38:39], v[66:67], -v[4:5]
	v_fmac_f64_e32 v[6:7], s[40:41], v[66:67]
	flat_store_dwordx4 v[28:29], v[4:7] offset:256
	s_nop 1
	v_mul_f64 v[4:5], s[40:41], v[62:63]
	v_mul_f64 v[6:7], s[38:39], v[62:63]
	v_fma_f64 v[4:5], s[38:39], v[58:59], -v[4:5]
	v_fmac_f64_e32 v[6:7], s[40:41], v[58:59]
	flat_store_dwordx4 v[28:29], v[4:7] offset:512
	;; [unrolled: 6-line block ×3, first 2 shown]
	v_lshl_add_u64 v[28:29], v[24:25], 0, v[26:27]
	v_lshl_add_u64 v[24:25], v[24:25], 0, s[2:3]
	v_mul_f64 v[4:5], s[40:41], v[72:73]
	v_mul_f64 v[6:7], s[38:39], v[72:73]
	v_fma_f64 v[4:5], s[38:39], v[70:71], -v[4:5]
	v_fmac_f64_e32 v[6:7], s[40:41], v[70:71]
	flat_store_dwordx4 v[28:29], v[4:7]
	v_lshl_add_u64 v[24:25], v[24:25], 0, v[26:27]
	s_mov_b64 s[2:3], 0x300
	v_mul_f64 v[4:5], s[40:41], v[64:65]
	v_mul_f64 v[6:7], s[38:39], v[64:65]
	v_fma_f64 v[4:5], s[38:39], v[60:61], -v[4:5]
	v_fmac_f64_e32 v[6:7], s[40:41], v[60:61]
	flat_store_dwordx4 v[28:29], v[4:7] offset:256
	s_nop 1
	v_mul_f64 v[4:5], s[40:41], v[52:53]
	v_mul_f64 v[6:7], s[38:39], v[52:53]
	v_fma_f64 v[4:5], s[38:39], v[48:49], -v[4:5]
	v_fmac_f64_e32 v[6:7], s[40:41], v[48:49]
	flat_store_dwordx4 v[28:29], v[4:7] offset:512
	s_nop 1
	;; [unrolled: 6-line block ×3, first 2 shown]
	v_mul_f64 v[4:5], s[40:41], v[80:81]
	v_mul_f64 v[6:7], s[38:39], v[80:81]
	v_fma_f64 v[4:5], s[38:39], v[78:79], -v[4:5]
	v_fmac_f64_e32 v[6:7], s[40:41], v[78:79]
	flat_store_dwordx4 v[24:25], v[4:7]
	s_nop 1
	v_mul_f64 v[4:5], s[40:41], v[18:19]
	v_mul_f64 v[6:7], s[38:39], v[18:19]
	v_fma_f64 v[4:5], s[38:39], v[16:17], -v[4:5]
	v_fmac_f64_e32 v[6:7], s[40:41], v[16:17]
	flat_store_dwordx4 v[24:25], v[4:7] offset:256
	s_nop 1
	v_mul_f64 v[4:5], s[40:41], v[14:15]
	v_mul_f64 v[6:7], s[38:39], v[14:15]
	v_fma_f64 v[4:5], s[38:39], v[12:13], -v[4:5]
	v_fmac_f64_e32 v[6:7], s[40:41], v[12:13]
	flat_store_dwordx4 v[24:25], v[4:7] offset:512
	s_nop 1
	v_mul_f64 v[4:5], s[40:41], v[10:11]
	v_fma_f64 v[26:27], s[38:39], v[8:9], -v[4:5]
	v_mul_f64 v[4:5], s[38:39], v[10:11]
	v_fmac_f64_e32 v[4:5], s[40:41], v[8:9]
	v_lshl_add_u64 v[6:7], v[24:25], 0, s[2:3]
	flat_store_dwordx2 v[24:25], v[26:27] offset:768
	s_andn2_b64 vcc, exec, s[8:9]
	s_cbranch_vccz .LBB263_7
	s_branch .LBB263_8
.LBB263_6:
                                        ; implicit-def: $vgpr4_vgpr5
                                        ; implicit-def: $vgpr6_vgpr7
.LBB263_7:
	s_lshl_b64 s[2:3], s[18:19], 4
	s_add_u32 s2, s4, s2
	s_addc_u32 s3, s5, s3
	v_mul_lo_u32 v6, v3, s16
	v_mul_lo_u32 v7, v2, s17
	v_mad_u64_u32 v[4:5], s[4:5], v2, s16, 0
	v_add3_u32 v5, v5, v7, v6
	v_lshl_add_u64 v[24:25], v[4:5], 4, s[2:3]
	v_lshlrev_b64 v[0:1], 4, v[0:1]
	v_lshl_add_u64 v[26:27], v[24:25], 0, v[0:1]
	flat_load_dwordx4 v[4:7], v[26:27]
	v_mul_lo_u32 v32, v3, s22
	v_mul_lo_u32 v33, v2, s23
	v_mad_u64_u32 v[2:3], s[2:3], v2, s22, 0
	v_add3_u32 v3, v3, v33, v32
	v_mul_f64 v[28:29], s[40:41], v[56:57]
	v_mul_f64 v[30:31], s[38:39], v[56:57]
	v_lshl_add_u64 v[32:33], v[2:3], 4, s[0:1]
	v_fma_f64 v[28:29], s[38:39], v[54:55], -v[28:29]
	v_fmac_f64_e32 v[30:31], s[40:41], v[54:55]
	v_lshl_add_u64 v[54:55], v[32:33], 0, v[0:1]
	s_lshl_b64 s[0:1], s[16:17], 8
	s_lshl_b64 s[2:3], s[22:23], 8
	s_waitcnt vmcnt(0) lgkmcnt(0)
	v_mul_f64 v[2:3], s[12:13], v[6:7]
	v_mul_f64 v[6:7], s[10:11], v[6:7]
	v_fma_f64 v[2:3], s[10:11], v[4:5], -v[2:3]
	v_fmac_f64_e32 v[6:7], s[12:13], v[4:5]
	v_add_f64 v[2:3], v[28:29], v[2:3]
	v_add_f64 v[4:5], v[30:31], v[6:7]
	flat_store_dwordx4 v[54:55], v[2:5]
	flat_load_dwordx4 v[2:5], v[26:27] offset:256
	v_mul_f64 v[6:7], s[40:41], v[40:41]
	v_mul_f64 v[28:29], s[38:39], v[40:41]
	v_fma_f64 v[6:7], s[38:39], v[38:39], -v[6:7]
	v_fmac_f64_e32 v[28:29], s[40:41], v[38:39]
	s_waitcnt vmcnt(0) lgkmcnt(0)
	v_mul_f64 v[30:31], s[12:13], v[4:5]
	v_mul_f64 v[4:5], s[10:11], v[4:5]
	v_fma_f64 v[30:31], s[10:11], v[2:3], -v[30:31]
	v_fmac_f64_e32 v[4:5], s[12:13], v[2:3]
	v_add_f64 v[2:3], v[6:7], v[30:31]
	v_add_f64 v[4:5], v[28:29], v[4:5]
	flat_store_dwordx4 v[54:55], v[2:5] offset:256
	flat_load_dwordx4 v[2:5], v[26:27] offset:512
	v_mul_f64 v[6:7], s[40:41], v[36:37]
	v_mul_f64 v[28:29], s[38:39], v[36:37]
	v_fma_f64 v[6:7], s[38:39], v[34:35], -v[6:7]
	v_fmac_f64_e32 v[28:29], s[40:41], v[34:35]
	s_waitcnt vmcnt(0) lgkmcnt(0)
	v_mul_f64 v[30:31], s[12:13], v[4:5]
	v_mul_f64 v[4:5], s[10:11], v[4:5]
	v_fma_f64 v[30:31], s[10:11], v[2:3], -v[30:31]
	v_fmac_f64_e32 v[4:5], s[12:13], v[2:3]
	v_add_f64 v[2:3], v[6:7], v[30:31]
	v_add_f64 v[4:5], v[28:29], v[4:5]
	flat_store_dwordx4 v[54:55], v[2:5] offset:512
	flat_load_dwordx4 v[2:5], v[26:27] offset:768
	v_mul_f64 v[6:7], s[40:41], v[22:23]
	v_mul_f64 v[22:23], s[38:39], v[22:23]
	v_fma_f64 v[6:7], s[38:39], v[20:21], -v[6:7]
	v_fmac_f64_e32 v[22:23], s[40:41], v[20:21]
	v_lshl_add_u64 v[20:21], v[24:25], 0, s[0:1]
	v_lshl_add_u64 v[24:25], v[20:21], 0, v[0:1]
	v_lshl_add_u64 v[20:21], v[20:21], 0, s[0:1]
	s_waitcnt vmcnt(0) lgkmcnt(0)
	v_mul_f64 v[26:27], s[12:13], v[4:5]
	v_mul_f64 v[4:5], s[10:11], v[4:5]
	v_fma_f64 v[26:27], s[10:11], v[2:3], -v[26:27]
	v_fmac_f64_e32 v[4:5], s[12:13], v[2:3]
	v_add_f64 v[2:3], v[6:7], v[26:27]
	v_add_f64 v[4:5], v[22:23], v[4:5]
	flat_store_dwordx4 v[54:55], v[2:5] offset:768
	flat_load_dwordx4 v[2:5], v[24:25]
	v_mul_f64 v[6:7], s[40:41], v[76:77]
	v_mul_f64 v[22:23], s[38:39], v[76:77]
	v_fma_f64 v[6:7], s[38:39], v[74:75], -v[6:7]
	v_fmac_f64_e32 v[22:23], s[40:41], v[74:75]
	v_lshl_add_u64 v[26:27], v[32:33], 0, s[2:3]
	v_lshl_add_u64 v[28:29], v[26:27], 0, v[0:1]
	;; [unrolled: 1-line block ×3, first 2 shown]
	s_waitcnt vmcnt(0) lgkmcnt(0)
	v_mul_f64 v[30:31], s[12:13], v[4:5]
	v_mul_f64 v[4:5], s[10:11], v[4:5]
	v_fma_f64 v[30:31], s[10:11], v[2:3], -v[30:31]
	v_fmac_f64_e32 v[4:5], s[12:13], v[2:3]
	v_add_f64 v[2:3], v[6:7], v[30:31]
	v_add_f64 v[4:5], v[22:23], v[4:5]
	flat_store_dwordx4 v[28:29], v[2:5]
	flat_load_dwordx4 v[2:5], v[24:25] offset:256
	v_mul_f64 v[6:7], s[40:41], v[68:69]
	v_mul_f64 v[22:23], s[38:39], v[68:69]
	v_fma_f64 v[6:7], s[38:39], v[66:67], -v[6:7]
	v_fmac_f64_e32 v[22:23], s[40:41], v[66:67]
	s_waitcnt vmcnt(0) lgkmcnt(0)
	v_mul_f64 v[30:31], s[12:13], v[4:5]
	v_mul_f64 v[4:5], s[10:11], v[4:5]
	v_fma_f64 v[30:31], s[10:11], v[2:3], -v[30:31]
	v_fmac_f64_e32 v[4:5], s[12:13], v[2:3]
	v_add_f64 v[2:3], v[6:7], v[30:31]
	v_add_f64 v[4:5], v[22:23], v[4:5]
	flat_store_dwordx4 v[28:29], v[2:5] offset:256
	flat_load_dwordx4 v[2:5], v[24:25] offset:512
	v_mul_f64 v[6:7], s[40:41], v[62:63]
	v_mul_f64 v[22:23], s[38:39], v[62:63]
	v_fma_f64 v[6:7], s[38:39], v[58:59], -v[6:7]
	v_fmac_f64_e32 v[22:23], s[40:41], v[58:59]
	s_waitcnt vmcnt(0) lgkmcnt(0)
	v_mul_f64 v[30:31], s[12:13], v[4:5]
	v_mul_f64 v[4:5], s[10:11], v[4:5]
	v_fma_f64 v[30:31], s[10:11], v[2:3], -v[30:31]
	v_fmac_f64_e32 v[4:5], s[12:13], v[2:3]
	v_add_f64 v[2:3], v[6:7], v[30:31]
	v_add_f64 v[4:5], v[22:23], v[4:5]
	flat_store_dwordx4 v[28:29], v[2:5] offset:512
	flat_load_dwordx4 v[2:5], v[24:25] offset:768
	v_mul_f64 v[6:7], s[40:41], v[50:51]
	v_mul_f64 v[22:23], s[38:39], v[50:51]
	v_fma_f64 v[6:7], s[38:39], v[46:47], -v[6:7]
	v_fmac_f64_e32 v[22:23], s[40:41], v[46:47]
	v_lshl_add_u64 v[24:25], v[20:21], 0, v[0:1]
	v_lshl_add_u64 v[20:21], v[20:21], 0, s[0:1]
	;; [unrolled: 1-line block ×3, first 2 shown]
	s_mov_b64 s[0:1], 0x300
	s_waitcnt vmcnt(0) lgkmcnt(0)
	v_mul_f64 v[30:31], s[12:13], v[4:5]
	v_mul_f64 v[4:5], s[10:11], v[4:5]
	v_fma_f64 v[30:31], s[10:11], v[2:3], -v[30:31]
	v_fmac_f64_e32 v[4:5], s[12:13], v[2:3]
	v_add_f64 v[2:3], v[6:7], v[30:31]
	v_add_f64 v[4:5], v[22:23], v[4:5]
	flat_store_dwordx4 v[28:29], v[2:5] offset:768
	flat_load_dwordx4 v[2:5], v[24:25]
	v_mul_f64 v[6:7], s[40:41], v[72:73]
	v_mul_f64 v[22:23], s[38:39], v[72:73]
	v_fma_f64 v[6:7], s[38:39], v[70:71], -v[6:7]
	v_fmac_f64_e32 v[22:23], s[40:41], v[70:71]
	v_lshl_add_u64 v[28:29], v[26:27], 0, v[0:1]
	s_waitcnt vmcnt(0) lgkmcnt(0)
	v_mul_f64 v[30:31], s[12:13], v[4:5]
	v_mul_f64 v[4:5], s[10:11], v[4:5]
	v_fma_f64 v[30:31], s[10:11], v[2:3], -v[30:31]
	v_fmac_f64_e32 v[4:5], s[12:13], v[2:3]
	v_add_f64 v[2:3], v[6:7], v[30:31]
	v_add_f64 v[4:5], v[22:23], v[4:5]
	flat_store_dwordx4 v[28:29], v[2:5]
	flat_load_dwordx4 v[2:5], v[24:25] offset:256
	v_mul_f64 v[6:7], s[40:41], v[64:65]
	v_mul_f64 v[22:23], s[38:39], v[64:65]
	v_fma_f64 v[6:7], s[38:39], v[60:61], -v[6:7]
	v_fmac_f64_e32 v[22:23], s[40:41], v[60:61]
	s_waitcnt vmcnt(0) lgkmcnt(0)
	v_mul_f64 v[30:31], s[12:13], v[4:5]
	v_mul_f64 v[4:5], s[10:11], v[4:5]
	v_fma_f64 v[30:31], s[10:11], v[2:3], -v[30:31]
	v_fmac_f64_e32 v[4:5], s[12:13], v[2:3]
	v_add_f64 v[2:3], v[6:7], v[30:31]
	v_add_f64 v[4:5], v[22:23], v[4:5]
	flat_store_dwordx4 v[28:29], v[2:5] offset:256
	flat_load_dwordx4 v[2:5], v[24:25] offset:512
	v_mul_f64 v[6:7], s[40:41], v[52:53]
	v_mul_f64 v[22:23], s[38:39], v[52:53]
	v_fma_f64 v[6:7], s[38:39], v[48:49], -v[6:7]
	v_fmac_f64_e32 v[22:23], s[40:41], v[48:49]
	s_waitcnt vmcnt(0) lgkmcnt(0)
	v_mul_f64 v[30:31], s[12:13], v[4:5]
	v_mul_f64 v[4:5], s[10:11], v[4:5]
	v_fma_f64 v[30:31], s[10:11], v[2:3], -v[30:31]
	v_fmac_f64_e32 v[4:5], s[12:13], v[2:3]
	v_add_f64 v[2:3], v[6:7], v[30:31]
	v_add_f64 v[4:5], v[22:23], v[4:5]
	flat_store_dwordx4 v[28:29], v[2:5] offset:512
	;; [unrolled: 13-line block ×3, first 2 shown]
	flat_load_dwordx4 v[2:5], v[20:21]
	v_lshl_add_u64 v[24:25], v[26:27], 0, s[2:3]
	v_mul_f64 v[6:7], s[40:41], v[80:81]
	v_mul_f64 v[22:23], s[38:39], v[80:81]
	v_lshl_add_u64 v[24:25], v[24:25], 0, v[0:1]
	v_fma_f64 v[6:7], s[38:39], v[78:79], -v[6:7]
	v_fmac_f64_e32 v[22:23], s[40:41], v[78:79]
	s_waitcnt vmcnt(0) lgkmcnt(0)
	v_mul_f64 v[0:1], s[12:13], v[4:5]
	v_mul_f64 v[4:5], s[10:11], v[4:5]
	v_fma_f64 v[0:1], s[10:11], v[2:3], -v[0:1]
	v_fmac_f64_e32 v[4:5], s[12:13], v[2:3]
	v_add_f64 v[0:1], v[6:7], v[0:1]
	v_add_f64 v[2:3], v[22:23], v[4:5]
	flat_store_dwordx4 v[24:25], v[0:3]
	flat_load_dwordx4 v[0:3], v[20:21] offset:256
	v_mul_f64 v[4:5], s[40:41], v[18:19]
	v_mul_f64 v[6:7], s[38:39], v[18:19]
	v_fma_f64 v[4:5], s[38:39], v[16:17], -v[4:5]
	v_fmac_f64_e32 v[6:7], s[40:41], v[16:17]
	s_waitcnt vmcnt(0) lgkmcnt(0)
	v_mul_f64 v[16:17], s[12:13], v[2:3]
	v_mul_f64 v[2:3], s[10:11], v[2:3]
	v_fma_f64 v[16:17], s[10:11], v[0:1], -v[16:17]
	v_fmac_f64_e32 v[2:3], s[12:13], v[0:1]
	v_add_f64 v[0:1], v[4:5], v[16:17]
	v_add_f64 v[2:3], v[6:7], v[2:3]
	flat_store_dwordx4 v[24:25], v[0:3] offset:256
	flat_load_dwordx4 v[0:3], v[20:21] offset:512
	v_mul_f64 v[4:5], s[40:41], v[14:15]
	v_mul_f64 v[6:7], s[38:39], v[14:15]
	v_fma_f64 v[4:5], s[38:39], v[12:13], -v[4:5]
	v_fmac_f64_e32 v[6:7], s[40:41], v[12:13]
	s_waitcnt vmcnt(0) lgkmcnt(0)
	v_mul_f64 v[12:13], s[12:13], v[2:3]
	v_mul_f64 v[2:3], s[10:11], v[2:3]
	v_fma_f64 v[12:13], s[10:11], v[0:1], -v[12:13]
	v_fmac_f64_e32 v[2:3], s[12:13], v[0:1]
	v_add_f64 v[0:1], v[4:5], v[12:13]
	v_add_f64 v[2:3], v[6:7], v[2:3]
	flat_store_dwordx4 v[24:25], v[0:3] offset:512
	flat_load_dwordx4 v[0:3], v[20:21] offset:768
	v_mul_f64 v[4:5], s[40:41], v[10:11]
	v_mul_f64 v[6:7], s[38:39], v[10:11]
	v_fma_f64 v[4:5], s[38:39], v[8:9], -v[4:5]
	v_fmac_f64_e32 v[6:7], s[40:41], v[8:9]
	s_waitcnt vmcnt(0) lgkmcnt(0)
	v_mul_f64 v[8:9], s[12:13], v[2:3]
	v_mul_f64 v[2:3], s[10:11], v[2:3]
	v_fma_f64 v[8:9], s[10:11], v[0:1], -v[8:9]
	v_fmac_f64_e32 v[2:3], s[12:13], v[0:1]
	v_add_f64 v[0:1], v[4:5], v[8:9]
	v_add_f64 v[4:5], v[6:7], v[2:3]
	v_lshl_add_u64 v[6:7], v[24:25], 0, s[0:1]
	flat_store_dwordx2 v[24:25], v[0:1] offset:768
.LBB263_8:
	flat_store_dwordx2 v[6:7], v[4:5] offset:8
	s_endpgm
	.section	.rodata,"a",@progbits
	.p2align	6, 0x0
	.amdhsa_kernel _ZN12_GLOBAL__N_127rocblas_gemm_batched_kernelI19rocblas_complex_numIdELi16ELi16ELi64ELi64ELi4ELi64ELi4ELi4ELi64ELc78ELc78EKPKS2_S5_KPS2_EEvlllT_PT11_llSA_llS8_PT12_llPT13_lli
		.amdhsa_group_segment_fixed_size 8192
		.amdhsa_private_segment_fixed_size 0
		.amdhsa_kernarg_size 156
		.amdhsa_user_sgpr_count 2
		.amdhsa_user_sgpr_dispatch_ptr 0
		.amdhsa_user_sgpr_queue_ptr 0
		.amdhsa_user_sgpr_kernarg_segment_ptr 1
		.amdhsa_user_sgpr_dispatch_id 0
		.amdhsa_user_sgpr_kernarg_preload_length 0
		.amdhsa_user_sgpr_kernarg_preload_offset 0
		.amdhsa_user_sgpr_private_segment_size 0
		.amdhsa_uses_dynamic_stack 0
		.amdhsa_enable_private_segment 0
		.amdhsa_system_sgpr_workgroup_id_x 1
		.amdhsa_system_sgpr_workgroup_id_y 1
		.amdhsa_system_sgpr_workgroup_id_z 1
		.amdhsa_system_sgpr_workgroup_info 0
		.amdhsa_system_vgpr_workitem_id 1
		.amdhsa_next_free_vgpr 138
		.amdhsa_next_free_sgpr 52
		.amdhsa_accum_offset 140
		.amdhsa_reserve_vcc 1
		.amdhsa_float_round_mode_32 0
		.amdhsa_float_round_mode_16_64 0
		.amdhsa_float_denorm_mode_32 3
		.amdhsa_float_denorm_mode_16_64 3
		.amdhsa_dx10_clamp 1
		.amdhsa_ieee_mode 1
		.amdhsa_fp16_overflow 0
		.amdhsa_tg_split 0
		.amdhsa_exception_fp_ieee_invalid_op 0
		.amdhsa_exception_fp_denorm_src 0
		.amdhsa_exception_fp_ieee_div_zero 0
		.amdhsa_exception_fp_ieee_overflow 0
		.amdhsa_exception_fp_ieee_underflow 0
		.amdhsa_exception_fp_ieee_inexact 0
		.amdhsa_exception_int_div_zero 0
	.end_amdhsa_kernel
	.section	.text._ZN12_GLOBAL__N_127rocblas_gemm_batched_kernelI19rocblas_complex_numIdELi16ELi16ELi64ELi64ELi4ELi64ELi4ELi4ELi64ELc78ELc78EKPKS2_S5_KPS2_EEvlllT_PT11_llSA_llS8_PT12_llPT13_lli,"axG",@progbits,_ZN12_GLOBAL__N_127rocblas_gemm_batched_kernelI19rocblas_complex_numIdELi16ELi16ELi64ELi64ELi4ELi64ELi4ELi4ELi64ELc78ELc78EKPKS2_S5_KPS2_EEvlllT_PT11_llSA_llS8_PT12_llPT13_lli,comdat
.Lfunc_end263:
	.size	_ZN12_GLOBAL__N_127rocblas_gemm_batched_kernelI19rocblas_complex_numIdELi16ELi16ELi64ELi64ELi4ELi64ELi4ELi4ELi64ELc78ELc78EKPKS2_S5_KPS2_EEvlllT_PT11_llSA_llS8_PT12_llPT13_lli, .Lfunc_end263-_ZN12_GLOBAL__N_127rocblas_gemm_batched_kernelI19rocblas_complex_numIdELi16ELi16ELi64ELi64ELi4ELi64ELi4ELi4ELi64ELc78ELc78EKPKS2_S5_KPS2_EEvlllT_PT11_llSA_llS8_PT12_llPT13_lli
                                        ; -- End function
	.set _ZN12_GLOBAL__N_127rocblas_gemm_batched_kernelI19rocblas_complex_numIdELi16ELi16ELi64ELi64ELi4ELi64ELi4ELi4ELi64ELc78ELc78EKPKS2_S5_KPS2_EEvlllT_PT11_llSA_llS8_PT12_llPT13_lli.num_vgpr, 138
	.set _ZN12_GLOBAL__N_127rocblas_gemm_batched_kernelI19rocblas_complex_numIdELi16ELi16ELi64ELi64ELi4ELi64ELi4ELi4ELi64ELc78ELc78EKPKS2_S5_KPS2_EEvlllT_PT11_llSA_llS8_PT12_llPT13_lli.num_agpr, 0
	.set _ZN12_GLOBAL__N_127rocblas_gemm_batched_kernelI19rocblas_complex_numIdELi16ELi16ELi64ELi64ELi4ELi64ELi4ELi4ELi64ELc78ELc78EKPKS2_S5_KPS2_EEvlllT_PT11_llSA_llS8_PT12_llPT13_lli.numbered_sgpr, 52
	.set _ZN12_GLOBAL__N_127rocblas_gemm_batched_kernelI19rocblas_complex_numIdELi16ELi16ELi64ELi64ELi4ELi64ELi4ELi4ELi64ELc78ELc78EKPKS2_S5_KPS2_EEvlllT_PT11_llSA_llS8_PT12_llPT13_lli.num_named_barrier, 0
	.set _ZN12_GLOBAL__N_127rocblas_gemm_batched_kernelI19rocblas_complex_numIdELi16ELi16ELi64ELi64ELi4ELi64ELi4ELi4ELi64ELc78ELc78EKPKS2_S5_KPS2_EEvlllT_PT11_llSA_llS8_PT12_llPT13_lli.private_seg_size, 0
	.set _ZN12_GLOBAL__N_127rocblas_gemm_batched_kernelI19rocblas_complex_numIdELi16ELi16ELi64ELi64ELi4ELi64ELi4ELi4ELi64ELc78ELc78EKPKS2_S5_KPS2_EEvlllT_PT11_llSA_llS8_PT12_llPT13_lli.uses_vcc, 1
	.set _ZN12_GLOBAL__N_127rocblas_gemm_batched_kernelI19rocblas_complex_numIdELi16ELi16ELi64ELi64ELi4ELi64ELi4ELi4ELi64ELc78ELc78EKPKS2_S5_KPS2_EEvlllT_PT11_llSA_llS8_PT12_llPT13_lli.uses_flat_scratch, 0
	.set _ZN12_GLOBAL__N_127rocblas_gemm_batched_kernelI19rocblas_complex_numIdELi16ELi16ELi64ELi64ELi4ELi64ELi4ELi4ELi64ELc78ELc78EKPKS2_S5_KPS2_EEvlllT_PT11_llSA_llS8_PT12_llPT13_lli.has_dyn_sized_stack, 0
	.set _ZN12_GLOBAL__N_127rocblas_gemm_batched_kernelI19rocblas_complex_numIdELi16ELi16ELi64ELi64ELi4ELi64ELi4ELi4ELi64ELc78ELc78EKPKS2_S5_KPS2_EEvlllT_PT11_llSA_llS8_PT12_llPT13_lli.has_recursion, 0
	.set _ZN12_GLOBAL__N_127rocblas_gemm_batched_kernelI19rocblas_complex_numIdELi16ELi16ELi64ELi64ELi4ELi64ELi4ELi4ELi64ELc78ELc78EKPKS2_S5_KPS2_EEvlllT_PT11_llSA_llS8_PT12_llPT13_lli.has_indirect_call, 0
	.section	.AMDGPU.csdata,"",@progbits
; Kernel info:
; codeLenInByte = 6464
; TotalNumSgprs: 58
; NumVgprs: 138
; NumAgprs: 0
; TotalNumVgprs: 138
; ScratchSize: 0
; MemoryBound: 0
; FloatMode: 240
; IeeeMode: 1
; LDSByteSize: 8192 bytes/workgroup (compile time only)
; SGPRBlocks: 7
; VGPRBlocks: 17
; NumSGPRsForWavesPerEU: 58
; NumVGPRsForWavesPerEU: 138
; AccumOffset: 140
; Occupancy: 3
; WaveLimiterHint : 1
; COMPUTE_PGM_RSRC2:SCRATCH_EN: 0
; COMPUTE_PGM_RSRC2:USER_SGPR: 2
; COMPUTE_PGM_RSRC2:TRAP_HANDLER: 0
; COMPUTE_PGM_RSRC2:TGID_X_EN: 1
; COMPUTE_PGM_RSRC2:TGID_Y_EN: 1
; COMPUTE_PGM_RSRC2:TGID_Z_EN: 1
; COMPUTE_PGM_RSRC2:TIDIG_COMP_CNT: 1
; COMPUTE_PGM_RSRC3_GFX90A:ACCUM_OFFSET: 34
; COMPUTE_PGM_RSRC3_GFX90A:TG_SPLIT: 0
	.section	.text._ZN12_GLOBAL__N_127rocblas_gemm_batched_kernelI19rocblas_complex_numIdELi16ELi16ELi64ELi64ELi4ELi64ELi4ELi4ELi64ELc84ELc78EKPKS2_S5_KPS2_EEvlllT_PT11_llSA_llS8_PT12_llPT13_lli,"axG",@progbits,_ZN12_GLOBAL__N_127rocblas_gemm_batched_kernelI19rocblas_complex_numIdELi16ELi16ELi64ELi64ELi4ELi64ELi4ELi4ELi64ELc84ELc78EKPKS2_S5_KPS2_EEvlllT_PT11_llSA_llS8_PT12_llPT13_lli,comdat
	.globl	_ZN12_GLOBAL__N_127rocblas_gemm_batched_kernelI19rocblas_complex_numIdELi16ELi16ELi64ELi64ELi4ELi64ELi4ELi4ELi64ELc84ELc78EKPKS2_S5_KPS2_EEvlllT_PT11_llSA_llS8_PT12_llPT13_lli ; -- Begin function _ZN12_GLOBAL__N_127rocblas_gemm_batched_kernelI19rocblas_complex_numIdELi16ELi16ELi64ELi64ELi4ELi64ELi4ELi4ELi64ELc84ELc78EKPKS2_S5_KPS2_EEvlllT_PT11_llSA_llS8_PT12_llPT13_lli
	.p2align	8
	.type	_ZN12_GLOBAL__N_127rocblas_gemm_batched_kernelI19rocblas_complex_numIdELi16ELi16ELi64ELi64ELi4ELi64ELi4ELi4ELi64ELc84ELc78EKPKS2_S5_KPS2_EEvlllT_PT11_llSA_llS8_PT12_llPT13_lli,@function
_ZN12_GLOBAL__N_127rocblas_gemm_batched_kernelI19rocblas_complex_numIdELi16ELi16ELi64ELi64ELi4ELi64ELi4ELi4ELi64ELc84ELc78EKPKS2_S5_KPS2_EEvlllT_PT11_llSA_llS8_PT12_llPT13_lli: ; @_ZN12_GLOBAL__N_127rocblas_gemm_batched_kernelI19rocblas_complex_numIdELi16ELi16ELi64ELi64ELi4ELi64ELi4ELi4ELi64ELc84ELc78EKPKS2_S5_KPS2_EEvlllT_PT11_llSA_llS8_PT12_llPT13_lli
; %bb.0:
	s_load_dwordx16 s[36:51], s[0:1], 0x10
	s_load_dwordx16 s[8:23], s[0:1], 0x50
	s_mov_b32 s5, 0
	s_lshl_b64 s[24:25], s[4:5], 3
	s_mov_b32 s26, s3
	v_mov_b32_e32 v27, 0
	s_waitcnt lgkmcnt(0)
	s_add_u32 s4, s14, s24
	s_addc_u32 s5, s15, s25
	s_add_u32 s6, s20, s24
	s_addc_u32 s7, s21, s25
	s_load_dwordx2 s[4:5], s[4:5], 0x0
	s_ashr_i32 s3, s2, 31
	s_load_dwordx2 s[6:7], s[6:7], 0x0
	s_ashr_i32 s27, s26, 31
	v_cmp_lt_i64_e64 s[20:21], s[36:37], 1
	v_bfe_u32 v26, v0, 10, 10
	v_and_b32_e32 v24, 0x3ff, v0
	v_mov_b32_e32 v25, v27
	s_lshl_b64 s[2:3], s[2:3], 6
	s_lshl_b64 s[14:15], s[26:27], 6
	s_and_b64 vcc, exec, s[20:21]
	s_cbranch_vccnz .LBB264_3
; %bb.1:
	v_lshl_add_u32 v6, v26, 4, v24
	v_lshrrev_b32_e32 v0, 2, v6
	v_mov_b32_e32 v1, v27
	v_and_b32_e32 v4, 63, v6
	v_lshl_add_u64 v[2:3], v[0:1], 0, s[14:15]
	v_and_b32_e32 v1, 3, v24
	v_lshrrev_b32_e32 v7, 6, v6
	v_lshlrev_b32_e32 v6, 4, v4
	v_lshl_or_b32 v110, v7, 10, v6
	v_lshlrev_b32_e32 v6, 4, v1
	s_add_u32 s20, s42, s24
	v_lshl_or_b32 v0, v0, 6, v6
	s_addc_u32 s21, s43, s25
	v_mov_b32_e32 v5, v27
	v_add_u32_e32 v111, 0x1000, v0
	v_mov_b32_e32 v0, 0x1000
	s_load_dwordx2 s[20:21], s[20:21], 0x0
	v_lshl_add_u32 v113, v26, 6, v0
	v_lshl_add_u64 v[0:1], s[2:3], 0, v[4:5]
	s_add_u32 s24, s48, s24
	v_mul_lo_u32 v4, s45, v0
	v_mul_lo_u32 v5, s44, v1
	v_mad_u64_u32 v[0:1], s[26:27], s44, v0, 0
	s_addc_u32 s25, s49, s25
	v_add3_u32 v1, v1, v5, v4
	s_lshl_b64 s[26:27], s[46:47], 4
	v_lshl_add_u64 v[0:1], v[0:1], 4, s[26:27]
	v_lshlrev_b32_e32 v4, 4, v7
	v_mov_b32_e32 v5, v27
	s_load_dwordx2 s[24:25], s[24:25], 0x0
	v_lshl_add_u64 v[0:1], v[0:1], 0, v[4:5]
	s_waitcnt lgkmcnt(0)
	v_lshl_add_u64 v[28:29], s[20:21], 0, v[0:1]
	v_mul_lo_u32 v4, s51, v2
	v_mul_lo_u32 v3, s50, v3
	v_mad_u64_u32 v[0:1], s[20:21], s50, v2, 0
	v_add3_u32 v1, v1, v3, v4
	s_lshl_b64 s[8:9], s[8:9], 4
	v_lshl_add_u64 v[0:1], v[0:1], 4, s[8:9]
	v_mov_b32_e32 v7, v27
	v_lshl_add_u64 v[0:1], v[0:1], 0, v[6:7]
	v_lshlrev_b32_e32 v112, 4, v24
	v_lshl_add_u64 v[30:31], s[24:25], 0, v[0:1]
	s_mov_b64 s[8:9], 0
	v_mov_b64_e32 v[10:11], 0
	v_mov_b64_e32 v[32:33], s[36:37]
	;; [unrolled: 1-line block ×33, first 2 shown]
.LBB264_2:                              ; =>This Inner Loop Header: Depth=1
	flat_load_dwordx4 v[0:3], v[28:29]
	s_add_u32 s8, s8, 4
	s_addc_u32 s9, s9, 0
	v_cmp_lt_i64_e32 vcc, s[8:9], v[32:33]
	v_lshl_add_u64 v[28:29], v[28:29], 0, 64
	s_and_b64 vcc, exec, vcc
	s_waitcnt vmcnt(0) lgkmcnt(0)
	ds_write2_b64 v110, v[0:1], v[2:3] offset1:1
	flat_load_dwordx4 v[0:3], v[30:31]
	v_lshl_add_u64 v[30:31], v[30:31], 0, 64
	s_waitcnt vmcnt(0) lgkmcnt(0)
	ds_write2_b64 v111, v[0:1], v[2:3] offset1:1
	s_waitcnt lgkmcnt(0)
	s_barrier
	ds_read_b128 v[82:85], v113
	ds_read_b128 v[114:117], v113 offset:16
	ds_read_b128 v[4:7], v113 offset:32
	;; [unrolled: 1-line block ×3, first 2 shown]
	ds_read_b128 v[118:121], v112
	s_waitcnt lgkmcnt(0)
	v_mul_f64 v[86:87], v[84:85], v[120:121]
	v_mul_f64 v[88:89], v[82:83], v[120:121]
	v_fma_f64 v[86:87], v[82:83], v[118:119], -v[86:87]
	v_fmac_f64_e32 v[88:89], v[84:85], v[118:119]
	v_add_f64 v[122:123], v[54:55], v[86:87]
	v_add_f64 v[124:125], v[88:89], v[56:57]
	ds_read_b128 v[54:57], v112 offset:256
	s_waitcnt lgkmcnt(0)
	v_mul_f64 v[86:87], v[84:85], v[56:57]
	v_mul_f64 v[88:89], v[82:83], v[56:57]
	v_fma_f64 v[86:87], v[82:83], v[54:55], -v[86:87]
	v_fmac_f64_e32 v[88:89], v[84:85], v[54:55]
	v_add_f64 v[126:127], v[38:39], v[86:87]
	v_add_f64 v[128:129], v[88:89], v[40:41]
	ds_read_b128 v[38:41], v112 offset:512
	;; [unrolled: 8-line block ×3, first 2 shown]
	s_waitcnt lgkmcnt(0)
	v_mul_f64 v[86:87], v[84:85], v[36:37]
	v_fma_f64 v[86:87], v[82:83], v[34:35], -v[86:87]
	v_mul_f64 v[82:83], v[82:83], v[36:37]
	v_fmac_f64_e32 v[82:83], v[84:85], v[34:35]
	v_add_f64 v[134:135], v[20:21], v[86:87]
	v_add_f64 v[136:137], v[82:83], v[22:23]
	ds_read_b128 v[20:23], v113 offset:1024
	s_waitcnt lgkmcnt(0)
	v_mul_f64 v[82:83], v[22:23], v[120:121]
	v_fma_f64 v[82:83], v[20:21], v[118:119], -v[82:83]
	v_add_f64 v[74:75], v[74:75], v[82:83]
	v_mul_f64 v[82:83], v[22:23], v[56:57]
	v_mul_f64 v[84:85], v[20:21], v[120:121]
	v_fma_f64 v[82:83], v[20:21], v[54:55], -v[82:83]
	v_fmac_f64_e32 v[84:85], v[22:23], v[118:119]
	v_add_f64 v[98:99], v[66:67], v[82:83]
	v_mul_f64 v[66:67], v[22:23], v[40:41]
	v_add_f64 v[76:77], v[84:85], v[76:77]
	v_mul_f64 v[84:85], v[20:21], v[56:57]
	v_fma_f64 v[66:67], v[20:21], v[38:39], -v[66:67]
	v_fmac_f64_e32 v[84:85], v[22:23], v[54:55]
	v_add_f64 v[102:103], v[58:59], v[66:67]
	v_mul_f64 v[58:59], v[22:23], v[36:37]
	v_add_f64 v[100:101], v[84:85], v[68:69]
	v_mul_f64 v[68:69], v[20:21], v[40:41]
	v_fma_f64 v[58:59], v[20:21], v[34:35], -v[58:59]
	v_mul_f64 v[20:21], v[20:21], v[36:37]
	v_fmac_f64_e32 v[20:21], v[22:23], v[34:35]
	v_fmac_f64_e32 v[68:69], v[22:23], v[38:39]
	v_add_f64 v[108:109], v[20:21], v[50:51]
	ds_read_b128 v[20:23], v113 offset:2048
	v_add_f64 v[106:107], v[46:47], v[58:59]
	v_add_f64 v[104:105], v[68:69], v[62:63]
	s_waitcnt lgkmcnt(0)
	v_mul_f64 v[46:47], v[22:23], v[120:121]
	v_fma_f64 v[46:47], v[20:21], v[118:119], -v[46:47]
	v_add_f64 v[82:83], v[70:71], v[46:47]
	v_mul_f64 v[46:47], v[22:23], v[56:57]
	v_mul_f64 v[50:51], v[20:21], v[120:121]
	v_fma_f64 v[46:47], v[20:21], v[54:55], -v[46:47]
	v_fmac_f64_e32 v[50:51], v[22:23], v[118:119]
	v_add_f64 v[86:87], v[60:61], v[46:47]
	v_mul_f64 v[46:47], v[22:23], v[40:41]
	v_add_f64 v[84:85], v[50:51], v[72:73]
	v_mul_f64 v[50:51], v[20:21], v[56:57]
	v_fma_f64 v[46:47], v[20:21], v[38:39], -v[46:47]
	v_fmac_f64_e32 v[50:51], v[22:23], v[54:55]
	v_add_f64 v[90:91], v[48:49], v[46:47]
	v_mul_f64 v[46:47], v[22:23], v[36:37]
	v_add_f64 v[88:89], v[50:51], v[64:65]
	v_mul_f64 v[50:51], v[20:21], v[40:41]
	v_fma_f64 v[46:47], v[20:21], v[34:35], -v[46:47]
	v_mul_f64 v[20:21], v[20:21], v[36:37]
	v_fmac_f64_e32 v[20:21], v[22:23], v[34:35]
	v_fmac_f64_e32 v[50:51], v[22:23], v[38:39]
	v_add_f64 v[96:97], v[20:21], v[44:45]
	ds_read_b128 v[20:23], v113 offset:3072
	v_add_f64 v[94:95], v[42:43], v[46:47]
	v_add_f64 v[92:93], v[50:51], v[52:53]
	s_waitcnt lgkmcnt(0)
	v_mul_f64 v[42:43], v[22:23], v[120:121]
	v_mul_f64 v[44:45], v[20:21], v[120:121]
	v_fma_f64 v[42:43], v[20:21], v[118:119], -v[42:43]
	v_fmac_f64_e32 v[44:45], v[22:23], v[118:119]
	v_add_f64 v[62:63], v[78:79], v[42:43]
	v_add_f64 v[64:65], v[44:45], v[80:81]
	v_mul_f64 v[42:43], v[22:23], v[56:57]
	v_mul_f64 v[44:45], v[20:21], v[56:57]
	v_fma_f64 v[42:43], v[20:21], v[54:55], -v[42:43]
	v_fmac_f64_e32 v[44:45], v[22:23], v[54:55]
	v_add_f64 v[58:59], v[16:17], v[42:43]
	v_add_f64 v[60:61], v[44:45], v[18:19]
	;; [unrolled: 6-line block ×3, first 2 shown]
	v_mul_f64 v[12:13], v[22:23], v[36:37]
	v_mul_f64 v[14:15], v[20:21], v[36:37]
	v_fma_f64 v[12:13], v[20:21], v[34:35], -v[12:13]
	v_fmac_f64_e32 v[14:15], v[22:23], v[34:35]
	ds_read_b128 v[20:23], v112 offset:1024
	ds_read_b128 v[16:19], v112 offset:1280
	v_add_f64 v[50:51], v[8:9], v[12:13]
	v_add_f64 v[52:53], v[14:15], v[10:11]
	ds_read_b128 v[12:15], v112 offset:1536
	ds_read_b128 v[78:81], v113 offset:1040
	s_waitcnt lgkmcnt(3)
	v_mul_f64 v[8:9], v[116:117], v[22:23]
	v_mul_f64 v[10:11], v[114:115], v[22:23]
	v_fma_f64 v[8:9], v[114:115], v[20:21], -v[8:9]
	v_fmac_f64_e32 v[10:11], v[116:117], v[20:21]
	v_add_f64 v[46:47], v[122:123], v[8:9]
	v_add_f64 v[48:49], v[10:11], v[124:125]
	s_waitcnt lgkmcnt(2)
	v_mul_f64 v[8:9], v[116:117], v[18:19]
	v_mul_f64 v[10:11], v[114:115], v[18:19]
	v_fma_f64 v[8:9], v[114:115], v[16:17], -v[8:9]
	v_fmac_f64_e32 v[10:11], v[116:117], v[16:17]
	v_add_f64 v[42:43], v[126:127], v[8:9]
	v_add_f64 v[44:45], v[10:11], v[128:129]
	;; [unrolled: 7-line block ×3, first 2 shown]
	ds_read_b128 v[8:11], v112 offset:1792
	s_waitcnt lgkmcnt(1)
	v_mul_f64 v[70:71], v[80:81], v[18:19]
	v_mul_f64 v[72:73], v[78:79], v[18:19]
	;; [unrolled: 1-line block ×4, first 2 shown]
	v_fma_f64 v[70:71], v[78:79], v[16:17], -v[70:71]
	v_fmac_f64_e32 v[72:73], v[80:81], v[16:17]
	v_fma_f64 v[66:67], v[78:79], v[20:21], -v[66:67]
	v_fmac_f64_e32 v[68:69], v[80:81], v[20:21]
	v_add_f64 v[70:71], v[98:99], v[70:71]
	v_add_f64 v[72:73], v[72:73], v[100:101]
	s_waitcnt lgkmcnt(0)
	v_mul_f64 v[98:99], v[80:81], v[10:11]
	v_mul_f64 v[100:101], v[78:79], v[10:11]
	v_add_f64 v[66:67], v[74:75], v[66:67]
	v_add_f64 v[68:69], v[68:69], v[76:77]
	v_mul_f64 v[74:75], v[80:81], v[14:15]
	v_mul_f64 v[76:77], v[78:79], v[14:15]
	v_fma_f64 v[98:99], v[78:79], v[8:9], -v[98:99]
	v_fmac_f64_e32 v[100:101], v[80:81], v[8:9]
	v_fma_f64 v[74:75], v[78:79], v[12:13], -v[74:75]
	v_fmac_f64_e32 v[76:77], v[80:81], v[12:13]
	v_add_f64 v[78:79], v[106:107], v[98:99]
	v_add_f64 v[80:81], v[100:101], v[108:109]
	ds_read_b128 v[98:101], v113 offset:2064
	v_add_f64 v[74:75], v[102:103], v[74:75]
	v_add_f64 v[76:77], v[76:77], v[104:105]
	v_mul_f64 v[34:35], v[116:117], v[10:11]
	v_mul_f64 v[36:37], v[114:115], v[10:11]
	s_waitcnt lgkmcnt(0)
	v_mul_f64 v[102:103], v[100:101], v[22:23]
	v_mul_f64 v[104:105], v[98:99], v[22:23]
	v_fma_f64 v[102:103], v[98:99], v[20:21], -v[102:103]
	v_fmac_f64_e32 v[104:105], v[100:101], v[20:21]
	v_add_f64 v[82:83], v[82:83], v[102:103]
	v_add_f64 v[84:85], v[104:105], v[84:85]
	v_mul_f64 v[102:103], v[100:101], v[18:19]
	v_mul_f64 v[104:105], v[98:99], v[18:19]
	v_fma_f64 v[102:103], v[98:99], v[16:17], -v[102:103]
	v_fmac_f64_e32 v[104:105], v[100:101], v[16:17]
	v_add_f64 v[86:87], v[86:87], v[102:103]
	v_add_f64 v[88:89], v[104:105], v[88:89]
	;; [unrolled: 6-line block ×4, first 2 shown]
	ds_read_b128 v[94:97], v113 offset:3088
	v_fma_f64 v[34:35], v[114:115], v[8:9], -v[34:35]
	v_fmac_f64_e32 v[36:37], v[116:117], v[8:9]
	v_add_f64 v[36:37], v[36:37], v[136:137]
	v_add_f64 v[34:35], v[134:135], v[34:35]
	s_waitcnt lgkmcnt(0)
	v_mul_f64 v[102:103], v[96:97], v[22:23]
	v_mul_f64 v[22:23], v[94:95], v[22:23]
	v_fma_f64 v[102:103], v[94:95], v[20:21], -v[102:103]
	v_fmac_f64_e32 v[22:23], v[96:97], v[20:21]
	v_mul_f64 v[20:21], v[96:97], v[18:19]
	v_mul_f64 v[18:19], v[94:95], v[18:19]
	v_fma_f64 v[20:21], v[94:95], v[16:17], -v[20:21]
	v_fmac_f64_e32 v[18:19], v[96:97], v[16:17]
	;; [unrolled: 4-line block ×3, first 2 shown]
	v_mul_f64 v[12:13], v[96:97], v[10:11]
	v_mul_f64 v[10:11], v[94:95], v[10:11]
	v_fmac_f64_e32 v[10:11], v[96:97], v[8:9]
	v_fma_f64 v[12:13], v[94:95], v[8:9], -v[12:13]
	v_add_f64 v[116:117], v[10:11], v[52:53]
	ds_read_b128 v[8:11], v112 offset:2048
	v_add_f64 v[56:57], v[14:15], v[56:57]
	v_add_f64 v[114:115], v[50:51], v[12:13]
	;; [unrolled: 1-line block ×4, first 2 shown]
	s_waitcnt lgkmcnt(0)
	v_mul_f64 v[12:13], v[6:7], v[10:11]
	v_mul_f64 v[14:15], v[4:5], v[10:11]
	v_fma_f64 v[12:13], v[4:5], v[8:9], -v[12:13]
	v_fmac_f64_e32 v[14:15], v[6:7], v[8:9]
	v_add_f64 v[118:119], v[46:47], v[12:13]
	v_add_f64 v[120:121], v[14:15], v[48:49]
	ds_read_b128 v[12:15], v112 offset:2304
	v_add_f64 v[104:105], v[22:23], v[64:65]
	v_add_f64 v[106:107], v[58:59], v[20:21]
	;; [unrolled: 1-line block ×3, first 2 shown]
	s_waitcnt lgkmcnt(0)
	v_mul_f64 v[16:17], v[6:7], v[14:15]
	v_mul_f64 v[18:19], v[4:5], v[14:15]
	v_fma_f64 v[16:17], v[4:5], v[12:13], -v[16:17]
	v_fmac_f64_e32 v[18:19], v[6:7], v[12:13]
	v_add_f64 v[122:123], v[42:43], v[16:17]
	v_add_f64 v[124:125], v[18:19], v[44:45]
	ds_read_b128 v[16:19], v112 offset:2560
	s_waitcnt lgkmcnt(0)
	v_mul_f64 v[20:21], v[6:7], v[18:19]
	v_mul_f64 v[22:23], v[4:5], v[18:19]
	v_fma_f64 v[20:21], v[4:5], v[16:17], -v[20:21]
	v_fmac_f64_e32 v[22:23], v[6:7], v[16:17]
	v_add_f64 v[126:127], v[38:39], v[20:21]
	v_add_f64 v[128:129], v[22:23], v[40:41]
	ds_read_b128 v[20:23], v112 offset:2816
	s_waitcnt lgkmcnt(0)
	v_mul_f64 v[38:39], v[6:7], v[22:23]
	v_fma_f64 v[38:39], v[4:5], v[20:21], -v[38:39]
	v_mul_f64 v[4:5], v[4:5], v[22:23]
	v_fmac_f64_e32 v[4:5], v[6:7], v[20:21]
	v_add_f64 v[132:133], v[4:5], v[36:37]
	ds_read_b128 v[4:7], v113 offset:1056
	v_add_f64 v[130:131], v[34:35], v[38:39]
	s_waitcnt lgkmcnt(0)
	v_mul_f64 v[34:35], v[6:7], v[10:11]
	v_fma_f64 v[34:35], v[4:5], v[8:9], -v[34:35]
	v_add_f64 v[46:47], v[66:67], v[34:35]
	v_mul_f64 v[34:35], v[6:7], v[14:15]
	v_mul_f64 v[36:37], v[4:5], v[10:11]
	v_fma_f64 v[34:35], v[4:5], v[12:13], -v[34:35]
	v_fmac_f64_e32 v[36:37], v[6:7], v[8:9]
	v_add_f64 v[58:59], v[70:71], v[34:35]
	v_mul_f64 v[34:35], v[6:7], v[18:19]
	v_add_f64 v[50:51], v[36:37], v[68:69]
	v_mul_f64 v[36:37], v[4:5], v[14:15]
	v_fma_f64 v[34:35], v[4:5], v[16:17], -v[34:35]
	v_fmac_f64_e32 v[36:37], v[6:7], v[12:13]
	v_add_f64 v[62:63], v[74:75], v[34:35]
	v_mul_f64 v[34:35], v[6:7], v[22:23]
	v_add_f64 v[60:61], v[36:37], v[72:73]
	v_mul_f64 v[36:37], v[4:5], v[18:19]
	v_fma_f64 v[34:35], v[4:5], v[20:21], -v[34:35]
	v_mul_f64 v[4:5], v[4:5], v[22:23]
	v_fmac_f64_e32 v[4:5], v[6:7], v[20:21]
	v_fmac_f64_e32 v[36:37], v[6:7], v[16:17]
	v_add_f64 v[72:73], v[4:5], v[80:81]
	ds_read_b128 v[4:7], v113 offset:2080
	v_add_f64 v[70:71], v[78:79], v[34:35]
	v_add_f64 v[64:65], v[36:37], v[76:77]
	s_waitcnt lgkmcnt(0)
	v_mul_f64 v[34:35], v[6:7], v[10:11]
	v_fma_f64 v[34:35], v[4:5], v[8:9], -v[34:35]
	v_add_f64 v[42:43], v[82:83], v[34:35]
	v_mul_f64 v[34:35], v[6:7], v[14:15]
	v_mul_f64 v[36:37], v[4:5], v[10:11]
	v_fma_f64 v[34:35], v[4:5], v[12:13], -v[34:35]
	v_fmac_f64_e32 v[36:37], v[6:7], v[8:9]
	v_add_f64 v[48:49], v[86:87], v[34:35]
	v_mul_f64 v[34:35], v[6:7], v[18:19]
	v_add_f64 v[44:45], v[36:37], v[84:85]
	v_mul_f64 v[36:37], v[4:5], v[14:15]
	v_fma_f64 v[34:35], v[4:5], v[16:17], -v[34:35]
	v_fmac_f64_e32 v[36:37], v[6:7], v[12:13]
	v_add_f64 v[94:95], v[90:91], v[34:35]
	v_mul_f64 v[34:35], v[6:7], v[22:23]
	v_add_f64 v[52:53], v[36:37], v[88:89]
	v_mul_f64 v[36:37], v[4:5], v[18:19]
	v_fma_f64 v[34:35], v[4:5], v[20:21], -v[34:35]
	v_mul_f64 v[4:5], v[4:5], v[22:23]
	v_fmac_f64_e32 v[4:5], v[6:7], v[20:21]
	v_fmac_f64_e32 v[36:37], v[6:7], v[16:17]
	v_add_f64 v[100:101], v[4:5], v[100:101]
	ds_read_b128 v[4:7], v113 offset:3104
	v_add_f64 v[98:99], v[98:99], v[34:35]
	v_add_f64 v[96:97], v[36:37], v[92:93]
	s_waitcnt lgkmcnt(0)
	v_mul_f64 v[34:35], v[6:7], v[10:11]
	v_mul_f64 v[10:11], v[4:5], v[10:11]
	v_fmac_f64_e32 v[10:11], v[6:7], v[8:9]
	v_fma_f64 v[34:35], v[4:5], v[8:9], -v[34:35]
	v_add_f64 v[80:81], v[10:11], v[104:105]
	v_mul_f64 v[8:9], v[6:7], v[14:15]
	v_mul_f64 v[10:11], v[4:5], v[14:15]
	v_fma_f64 v[8:9], v[4:5], v[12:13], -v[8:9]
	v_fmac_f64_e32 v[10:11], v[6:7], v[12:13]
	v_add_f64 v[90:91], v[106:107], v[8:9]
	v_add_f64 v[92:93], v[10:11], v[108:109]
	v_mul_f64 v[8:9], v[6:7], v[18:19]
	v_mul_f64 v[10:11], v[4:5], v[18:19]
	v_fma_f64 v[8:9], v[4:5], v[16:17], -v[8:9]
	v_fmac_f64_e32 v[10:11], v[6:7], v[16:17]
	ds_read_b128 v[16:19], v112 offset:3072
	ds_read_b128 v[12:15], v112 offset:3328
	v_add_f64 v[86:87], v[54:55], v[8:9]
	v_mul_f64 v[8:9], v[6:7], v[22:23]
	v_fma_f64 v[8:9], v[4:5], v[20:21], -v[8:9]
	v_mul_f64 v[4:5], v[4:5], v[22:23]
	v_add_f64 v[88:89], v[10:11], v[56:57]
	v_fmac_f64_e32 v[4:5], v[6:7], v[20:21]
	v_add_f64 v[82:83], v[114:115], v[8:9]
	ds_read_b128 v[8:11], v112 offset:3584
	v_add_f64 v[84:85], v[4:5], v[116:117]
	s_waitcnt lgkmcnt(2)
	v_mul_f64 v[4:5], v[2:3], v[18:19]
	v_mul_f64 v[6:7], v[0:1], v[18:19]
	v_fma_f64 v[4:5], v[0:1], v[16:17], -v[4:5]
	v_fmac_f64_e32 v[6:7], v[2:3], v[16:17]
	v_add_f64 v[54:55], v[118:119], v[4:5]
	v_add_f64 v[56:57], v[6:7], v[120:121]
	s_waitcnt lgkmcnt(1)
	v_mul_f64 v[4:5], v[2:3], v[14:15]
	v_mul_f64 v[6:7], v[0:1], v[14:15]
	v_fma_f64 v[4:5], v[0:1], v[12:13], -v[4:5]
	v_fmac_f64_e32 v[6:7], v[2:3], v[12:13]
	v_add_f64 v[38:39], v[122:123], v[4:5]
	;; [unrolled: 7-line block ×3, first 2 shown]
	v_add_f64 v[34:35], v[126:127], v[4:5]
	v_add_f64 v[36:37], v[6:7], v[128:129]
	ds_read_b128 v[4:7], v112 offset:3840
	s_waitcnt lgkmcnt(0)
	v_mul_f64 v[20:21], v[2:3], v[6:7]
	v_fma_f64 v[20:21], v[0:1], v[4:5], -v[20:21]
	v_mul_f64 v[0:1], v[0:1], v[6:7]
	v_fmac_f64_e32 v[0:1], v[2:3], v[4:5]
	v_add_f64 v[22:23], v[0:1], v[132:133]
	ds_read_b128 v[0:3], v113 offset:1072
	v_add_f64 v[20:21], v[130:131], v[20:21]
	s_waitcnt lgkmcnt(0)
	v_mul_f64 v[66:67], v[2:3], v[18:19]
	v_fma_f64 v[66:67], v[0:1], v[16:17], -v[66:67]
	v_add_f64 v[74:75], v[46:47], v[66:67]
	v_mul_f64 v[46:47], v[2:3], v[14:15]
	v_mul_f64 v[68:69], v[0:1], v[18:19]
	v_fma_f64 v[46:47], v[0:1], v[12:13], -v[46:47]
	v_fmac_f64_e32 v[68:69], v[2:3], v[16:17]
	v_add_f64 v[66:67], v[58:59], v[46:47]
	v_mul_f64 v[46:47], v[2:3], v[10:11]
	v_add_f64 v[76:77], v[68:69], v[50:51]
	v_mul_f64 v[50:51], v[0:1], v[14:15]
	v_fma_f64 v[46:47], v[0:1], v[8:9], -v[46:47]
	v_fmac_f64_e32 v[50:51], v[2:3], v[12:13]
	v_add_f64 v[58:59], v[62:63], v[46:47]
	v_mul_f64 v[46:47], v[2:3], v[6:7]
	v_add_f64 v[68:69], v[50:51], v[60:61]
	v_mul_f64 v[50:51], v[0:1], v[10:11]
	v_fma_f64 v[46:47], v[0:1], v[4:5], -v[46:47]
	v_mul_f64 v[0:1], v[0:1], v[6:7]
	v_fmac_f64_e32 v[50:51], v[2:3], v[8:9]
	v_fmac_f64_e32 v[0:1], v[2:3], v[4:5]
	v_add_f64 v[62:63], v[50:51], v[64:65]
	v_add_f64 v[50:51], v[0:1], v[72:73]
	ds_read_b128 v[0:3], v113 offset:2096
	v_add_f64 v[46:47], v[70:71], v[46:47]
	s_waitcnt lgkmcnt(0)
	v_mul_f64 v[60:61], v[2:3], v[18:19]
	v_fma_f64 v[60:61], v[0:1], v[16:17], -v[60:61]
	v_add_f64 v[70:71], v[42:43], v[60:61]
	v_mul_f64 v[42:43], v[2:3], v[14:15]
	v_mul_f64 v[64:65], v[0:1], v[18:19]
	v_fma_f64 v[42:43], v[0:1], v[12:13], -v[42:43]
	v_fmac_f64_e32 v[64:65], v[2:3], v[16:17]
	v_add_f64 v[60:61], v[48:49], v[42:43]
	v_mul_f64 v[42:43], v[2:3], v[10:11]
	v_add_f64 v[72:73], v[64:65], v[44:45]
	v_mul_f64 v[44:45], v[0:1], v[14:15]
	v_fma_f64 v[42:43], v[0:1], v[8:9], -v[42:43]
	v_fmac_f64_e32 v[44:45], v[2:3], v[12:13]
	v_add_f64 v[48:49], v[94:95], v[42:43]
	v_mul_f64 v[42:43], v[2:3], v[6:7]
	v_add_f64 v[64:65], v[44:45], v[52:53]
	v_mul_f64 v[44:45], v[0:1], v[10:11]
	v_fma_f64 v[42:43], v[0:1], v[4:5], -v[42:43]
	v_mul_f64 v[0:1], v[0:1], v[6:7]
	v_fmac_f64_e32 v[44:45], v[2:3], v[8:9]
	v_fmac_f64_e32 v[0:1], v[2:3], v[4:5]
	v_add_f64 v[52:53], v[44:45], v[96:97]
	v_add_f64 v[44:45], v[0:1], v[100:101]
	ds_read_b128 v[0:3], v113 offset:3120
	v_add_f64 v[42:43], v[98:99], v[42:43]
	s_waitcnt lgkmcnt(0)
	s_barrier
	v_mul_f64 v[94:95], v[2:3], v[18:19]
	v_mul_f64 v[18:19], v[0:1], v[18:19]
	v_fma_f64 v[94:95], v[0:1], v[16:17], -v[94:95]
	v_fmac_f64_e32 v[18:19], v[2:3], v[16:17]
	v_mul_f64 v[16:17], v[2:3], v[14:15]
	v_mul_f64 v[14:15], v[0:1], v[14:15]
	v_fma_f64 v[16:17], v[0:1], v[12:13], -v[16:17]
	v_fmac_f64_e32 v[14:15], v[2:3], v[12:13]
	;; [unrolled: 4-line block ×3, first 2 shown]
	v_mul_f64 v[8:9], v[2:3], v[6:7]
	v_fma_f64 v[8:9], v[0:1], v[4:5], -v[8:9]
	v_mul_f64 v[0:1], v[0:1], v[6:7]
	v_fmac_f64_e32 v[0:1], v[2:3], v[4:5]
	v_add_f64 v[78:79], v[78:79], v[94:95]
	v_add_f64 v[80:81], v[18:19], v[80:81]
	;; [unrolled: 1-line block ×8, first 2 shown]
	s_cbranch_vccnz .LBB264_2
	s_branch .LBB264_4
.LBB264_3:
	v_mov_b64_e32 v[54:55], 0
	v_mov_b64_e32 v[56:57], 0
	;; [unrolled: 1-line block ×32, first 2 shown]
.LBB264_4:
	s_load_dwordx2 s[0:1], s[0:1], 0x90
	v_lshl_add_u64 v[2:3], s[14:15], 0, v[26:27]
	v_cmp_neq_f64_e64 s[14:15], s[10:11], 0
	v_cmp_neq_f64_e64 s[20:21], s[12:13], 0
	s_mov_b64 s[8:9], 0
	s_waitcnt lgkmcnt(0)
	s_lshl_b64 s[0:1], s[0:1], 4
	s_add_u32 s0, s6, s0
	s_addc_u32 s1, s7, s1
	s_or_b64 s[6:7], s[14:15], s[20:21]
	v_lshl_add_u64 v[0:1], s[2:3], 0, v[24:25]
	s_and_b64 vcc, exec, s[6:7]
	s_cbranch_vccnz .LBB264_6
; %bb.5:
	v_mul_lo_u32 v6, v3, s22
	v_mul_lo_u32 v7, v2, s23
	v_mad_u64_u32 v[4:5], s[2:3], v2, s22, 0
	v_add3_u32 v5, v5, v7, v6
	v_lshl_add_u64 v[24:25], v[4:5], 4, s[0:1]
	v_mul_f64 v[4:5], s[40:41], v[56:57]
	v_mul_f64 v[6:7], s[38:39], v[56:57]
	v_lshlrev_b64 v[26:27], 4, v[0:1]
	v_fma_f64 v[4:5], s[38:39], v[54:55], -v[4:5]
	v_fmac_f64_e32 v[6:7], s[40:41], v[54:55]
	v_lshl_add_u64 v[28:29], v[24:25], 0, v[26:27]
	flat_store_dwordx4 v[28:29], v[4:7]
	s_lshl_b64 s[2:3], s[22:23], 8
	v_lshl_add_u64 v[24:25], v[24:25], 0, s[2:3]
	v_mul_f64 v[4:5], s[40:41], v[40:41]
	v_mul_f64 v[6:7], s[38:39], v[40:41]
	v_fma_f64 v[4:5], s[38:39], v[38:39], -v[4:5]
	v_fmac_f64_e32 v[6:7], s[40:41], v[38:39]
	flat_store_dwordx4 v[28:29], v[4:7] offset:256
	s_nop 1
	v_mul_f64 v[4:5], s[40:41], v[36:37]
	v_mul_f64 v[6:7], s[38:39], v[36:37]
	v_fma_f64 v[4:5], s[38:39], v[34:35], -v[4:5]
	v_fmac_f64_e32 v[6:7], s[40:41], v[34:35]
	flat_store_dwordx4 v[28:29], v[4:7] offset:512
	s_nop 1
	v_mul_f64 v[4:5], s[40:41], v[22:23]
	v_mul_f64 v[6:7], s[38:39], v[22:23]
	v_fma_f64 v[4:5], s[38:39], v[20:21], -v[4:5]
	v_fmac_f64_e32 v[6:7], s[40:41], v[20:21]
	flat_store_dwordx4 v[28:29], v[4:7] offset:768
	v_lshl_add_u64 v[28:29], v[24:25], 0, v[26:27]
	v_lshl_add_u64 v[24:25], v[24:25], 0, s[2:3]
	v_mul_f64 v[4:5], s[40:41], v[76:77]
	v_mul_f64 v[6:7], s[38:39], v[76:77]
	v_fma_f64 v[4:5], s[38:39], v[74:75], -v[4:5]
	v_fmac_f64_e32 v[6:7], s[40:41], v[74:75]
	flat_store_dwordx4 v[28:29], v[4:7]
	s_nop 1
	v_mul_f64 v[4:5], s[40:41], v[68:69]
	v_mul_f64 v[6:7], s[38:39], v[68:69]
	v_fma_f64 v[4:5], s[38:39], v[66:67], -v[4:5]
	v_fmac_f64_e32 v[6:7], s[40:41], v[66:67]
	flat_store_dwordx4 v[28:29], v[4:7] offset:256
	s_nop 1
	v_mul_f64 v[4:5], s[40:41], v[62:63]
	v_mul_f64 v[6:7], s[38:39], v[62:63]
	v_fma_f64 v[4:5], s[38:39], v[58:59], -v[4:5]
	v_fmac_f64_e32 v[6:7], s[40:41], v[58:59]
	flat_store_dwordx4 v[28:29], v[4:7] offset:512
	;; [unrolled: 6-line block ×3, first 2 shown]
	v_lshl_add_u64 v[28:29], v[24:25], 0, v[26:27]
	v_lshl_add_u64 v[24:25], v[24:25], 0, s[2:3]
	v_mul_f64 v[4:5], s[40:41], v[72:73]
	v_mul_f64 v[6:7], s[38:39], v[72:73]
	v_fma_f64 v[4:5], s[38:39], v[70:71], -v[4:5]
	v_fmac_f64_e32 v[6:7], s[40:41], v[70:71]
	flat_store_dwordx4 v[28:29], v[4:7]
	v_lshl_add_u64 v[24:25], v[24:25], 0, v[26:27]
	s_mov_b64 s[2:3], 0x300
	v_mul_f64 v[4:5], s[40:41], v[64:65]
	v_mul_f64 v[6:7], s[38:39], v[64:65]
	v_fma_f64 v[4:5], s[38:39], v[60:61], -v[4:5]
	v_fmac_f64_e32 v[6:7], s[40:41], v[60:61]
	flat_store_dwordx4 v[28:29], v[4:7] offset:256
	s_nop 1
	v_mul_f64 v[4:5], s[40:41], v[52:53]
	v_mul_f64 v[6:7], s[38:39], v[52:53]
	v_fma_f64 v[4:5], s[38:39], v[48:49], -v[4:5]
	v_fmac_f64_e32 v[6:7], s[40:41], v[48:49]
	flat_store_dwordx4 v[28:29], v[4:7] offset:512
	s_nop 1
	;; [unrolled: 6-line block ×3, first 2 shown]
	v_mul_f64 v[4:5], s[40:41], v[80:81]
	v_mul_f64 v[6:7], s[38:39], v[80:81]
	v_fma_f64 v[4:5], s[38:39], v[78:79], -v[4:5]
	v_fmac_f64_e32 v[6:7], s[40:41], v[78:79]
	flat_store_dwordx4 v[24:25], v[4:7]
	s_nop 1
	v_mul_f64 v[4:5], s[40:41], v[18:19]
	v_mul_f64 v[6:7], s[38:39], v[18:19]
	v_fma_f64 v[4:5], s[38:39], v[16:17], -v[4:5]
	v_fmac_f64_e32 v[6:7], s[40:41], v[16:17]
	flat_store_dwordx4 v[24:25], v[4:7] offset:256
	s_nop 1
	v_mul_f64 v[4:5], s[40:41], v[14:15]
	v_mul_f64 v[6:7], s[38:39], v[14:15]
	v_fma_f64 v[4:5], s[38:39], v[12:13], -v[4:5]
	v_fmac_f64_e32 v[6:7], s[40:41], v[12:13]
	flat_store_dwordx4 v[24:25], v[4:7] offset:512
	s_nop 1
	v_mul_f64 v[4:5], s[40:41], v[10:11]
	v_fma_f64 v[26:27], s[38:39], v[8:9], -v[4:5]
	v_mul_f64 v[4:5], s[38:39], v[10:11]
	v_fmac_f64_e32 v[4:5], s[40:41], v[8:9]
	v_lshl_add_u64 v[6:7], v[24:25], 0, s[2:3]
	flat_store_dwordx2 v[24:25], v[26:27] offset:768
	s_andn2_b64 vcc, exec, s[8:9]
	s_cbranch_vccz .LBB264_7
	s_branch .LBB264_8
.LBB264_6:
                                        ; implicit-def: $vgpr4_vgpr5
                                        ; implicit-def: $vgpr6_vgpr7
.LBB264_7:
	s_lshl_b64 s[2:3], s[18:19], 4
	s_add_u32 s2, s4, s2
	s_addc_u32 s3, s5, s3
	v_mul_lo_u32 v6, v3, s16
	v_mul_lo_u32 v7, v2, s17
	v_mad_u64_u32 v[4:5], s[4:5], v2, s16, 0
	v_add3_u32 v5, v5, v7, v6
	v_lshl_add_u64 v[24:25], v[4:5], 4, s[2:3]
	v_lshlrev_b64 v[0:1], 4, v[0:1]
	v_lshl_add_u64 v[26:27], v[24:25], 0, v[0:1]
	flat_load_dwordx4 v[4:7], v[26:27]
	v_mul_lo_u32 v32, v3, s22
	v_mul_lo_u32 v33, v2, s23
	v_mad_u64_u32 v[2:3], s[2:3], v2, s22, 0
	v_add3_u32 v3, v3, v33, v32
	v_mul_f64 v[28:29], s[40:41], v[56:57]
	v_mul_f64 v[30:31], s[38:39], v[56:57]
	v_lshl_add_u64 v[32:33], v[2:3], 4, s[0:1]
	v_fma_f64 v[28:29], s[38:39], v[54:55], -v[28:29]
	v_fmac_f64_e32 v[30:31], s[40:41], v[54:55]
	v_lshl_add_u64 v[54:55], v[32:33], 0, v[0:1]
	s_lshl_b64 s[0:1], s[16:17], 8
	s_lshl_b64 s[2:3], s[22:23], 8
	s_waitcnt vmcnt(0) lgkmcnt(0)
	v_mul_f64 v[2:3], s[12:13], v[6:7]
	v_mul_f64 v[6:7], s[10:11], v[6:7]
	v_fma_f64 v[2:3], s[10:11], v[4:5], -v[2:3]
	v_fmac_f64_e32 v[6:7], s[12:13], v[4:5]
	v_add_f64 v[2:3], v[28:29], v[2:3]
	v_add_f64 v[4:5], v[30:31], v[6:7]
	flat_store_dwordx4 v[54:55], v[2:5]
	flat_load_dwordx4 v[2:5], v[26:27] offset:256
	v_mul_f64 v[6:7], s[40:41], v[40:41]
	v_mul_f64 v[28:29], s[38:39], v[40:41]
	v_fma_f64 v[6:7], s[38:39], v[38:39], -v[6:7]
	v_fmac_f64_e32 v[28:29], s[40:41], v[38:39]
	s_waitcnt vmcnt(0) lgkmcnt(0)
	v_mul_f64 v[30:31], s[12:13], v[4:5]
	v_mul_f64 v[4:5], s[10:11], v[4:5]
	v_fma_f64 v[30:31], s[10:11], v[2:3], -v[30:31]
	v_fmac_f64_e32 v[4:5], s[12:13], v[2:3]
	v_add_f64 v[2:3], v[6:7], v[30:31]
	v_add_f64 v[4:5], v[28:29], v[4:5]
	flat_store_dwordx4 v[54:55], v[2:5] offset:256
	flat_load_dwordx4 v[2:5], v[26:27] offset:512
	v_mul_f64 v[6:7], s[40:41], v[36:37]
	v_mul_f64 v[28:29], s[38:39], v[36:37]
	v_fma_f64 v[6:7], s[38:39], v[34:35], -v[6:7]
	v_fmac_f64_e32 v[28:29], s[40:41], v[34:35]
	s_waitcnt vmcnt(0) lgkmcnt(0)
	v_mul_f64 v[30:31], s[12:13], v[4:5]
	v_mul_f64 v[4:5], s[10:11], v[4:5]
	v_fma_f64 v[30:31], s[10:11], v[2:3], -v[30:31]
	v_fmac_f64_e32 v[4:5], s[12:13], v[2:3]
	v_add_f64 v[2:3], v[6:7], v[30:31]
	v_add_f64 v[4:5], v[28:29], v[4:5]
	flat_store_dwordx4 v[54:55], v[2:5] offset:512
	flat_load_dwordx4 v[2:5], v[26:27] offset:768
	v_mul_f64 v[6:7], s[40:41], v[22:23]
	v_mul_f64 v[22:23], s[38:39], v[22:23]
	v_fma_f64 v[6:7], s[38:39], v[20:21], -v[6:7]
	v_fmac_f64_e32 v[22:23], s[40:41], v[20:21]
	v_lshl_add_u64 v[20:21], v[24:25], 0, s[0:1]
	v_lshl_add_u64 v[24:25], v[20:21], 0, v[0:1]
	;; [unrolled: 1-line block ×3, first 2 shown]
	s_waitcnt vmcnt(0) lgkmcnt(0)
	v_mul_f64 v[26:27], s[12:13], v[4:5]
	v_mul_f64 v[4:5], s[10:11], v[4:5]
	v_fma_f64 v[26:27], s[10:11], v[2:3], -v[26:27]
	v_fmac_f64_e32 v[4:5], s[12:13], v[2:3]
	v_add_f64 v[2:3], v[6:7], v[26:27]
	v_add_f64 v[4:5], v[22:23], v[4:5]
	flat_store_dwordx4 v[54:55], v[2:5] offset:768
	flat_load_dwordx4 v[2:5], v[24:25]
	v_mul_f64 v[6:7], s[40:41], v[76:77]
	v_mul_f64 v[22:23], s[38:39], v[76:77]
	v_fma_f64 v[6:7], s[38:39], v[74:75], -v[6:7]
	v_fmac_f64_e32 v[22:23], s[40:41], v[74:75]
	v_lshl_add_u64 v[26:27], v[32:33], 0, s[2:3]
	v_lshl_add_u64 v[28:29], v[26:27], 0, v[0:1]
	;; [unrolled: 1-line block ×3, first 2 shown]
	s_waitcnt vmcnt(0) lgkmcnt(0)
	v_mul_f64 v[30:31], s[12:13], v[4:5]
	v_mul_f64 v[4:5], s[10:11], v[4:5]
	v_fma_f64 v[30:31], s[10:11], v[2:3], -v[30:31]
	v_fmac_f64_e32 v[4:5], s[12:13], v[2:3]
	v_add_f64 v[2:3], v[6:7], v[30:31]
	v_add_f64 v[4:5], v[22:23], v[4:5]
	flat_store_dwordx4 v[28:29], v[2:5]
	flat_load_dwordx4 v[2:5], v[24:25] offset:256
	v_mul_f64 v[6:7], s[40:41], v[68:69]
	v_mul_f64 v[22:23], s[38:39], v[68:69]
	v_fma_f64 v[6:7], s[38:39], v[66:67], -v[6:7]
	v_fmac_f64_e32 v[22:23], s[40:41], v[66:67]
	s_waitcnt vmcnt(0) lgkmcnt(0)
	v_mul_f64 v[30:31], s[12:13], v[4:5]
	v_mul_f64 v[4:5], s[10:11], v[4:5]
	v_fma_f64 v[30:31], s[10:11], v[2:3], -v[30:31]
	v_fmac_f64_e32 v[4:5], s[12:13], v[2:3]
	v_add_f64 v[2:3], v[6:7], v[30:31]
	v_add_f64 v[4:5], v[22:23], v[4:5]
	flat_store_dwordx4 v[28:29], v[2:5] offset:256
	flat_load_dwordx4 v[2:5], v[24:25] offset:512
	v_mul_f64 v[6:7], s[40:41], v[62:63]
	v_mul_f64 v[22:23], s[38:39], v[62:63]
	v_fma_f64 v[6:7], s[38:39], v[58:59], -v[6:7]
	v_fmac_f64_e32 v[22:23], s[40:41], v[58:59]
	s_waitcnt vmcnt(0) lgkmcnt(0)
	v_mul_f64 v[30:31], s[12:13], v[4:5]
	v_mul_f64 v[4:5], s[10:11], v[4:5]
	v_fma_f64 v[30:31], s[10:11], v[2:3], -v[30:31]
	v_fmac_f64_e32 v[4:5], s[12:13], v[2:3]
	v_add_f64 v[2:3], v[6:7], v[30:31]
	v_add_f64 v[4:5], v[22:23], v[4:5]
	flat_store_dwordx4 v[28:29], v[2:5] offset:512
	flat_load_dwordx4 v[2:5], v[24:25] offset:768
	v_mul_f64 v[6:7], s[40:41], v[50:51]
	v_mul_f64 v[22:23], s[38:39], v[50:51]
	v_fma_f64 v[6:7], s[38:39], v[46:47], -v[6:7]
	v_fmac_f64_e32 v[22:23], s[40:41], v[46:47]
	v_lshl_add_u64 v[24:25], v[20:21], 0, v[0:1]
	v_lshl_add_u64 v[20:21], v[20:21], 0, s[0:1]
	;; [unrolled: 1-line block ×3, first 2 shown]
	s_mov_b64 s[0:1], 0x300
	s_waitcnt vmcnt(0) lgkmcnt(0)
	v_mul_f64 v[30:31], s[12:13], v[4:5]
	v_mul_f64 v[4:5], s[10:11], v[4:5]
	v_fma_f64 v[30:31], s[10:11], v[2:3], -v[30:31]
	v_fmac_f64_e32 v[4:5], s[12:13], v[2:3]
	v_add_f64 v[2:3], v[6:7], v[30:31]
	v_add_f64 v[4:5], v[22:23], v[4:5]
	flat_store_dwordx4 v[28:29], v[2:5] offset:768
	flat_load_dwordx4 v[2:5], v[24:25]
	v_mul_f64 v[6:7], s[40:41], v[72:73]
	v_mul_f64 v[22:23], s[38:39], v[72:73]
	v_fma_f64 v[6:7], s[38:39], v[70:71], -v[6:7]
	v_fmac_f64_e32 v[22:23], s[40:41], v[70:71]
	v_lshl_add_u64 v[28:29], v[26:27], 0, v[0:1]
	s_waitcnt vmcnt(0) lgkmcnt(0)
	v_mul_f64 v[30:31], s[12:13], v[4:5]
	v_mul_f64 v[4:5], s[10:11], v[4:5]
	v_fma_f64 v[30:31], s[10:11], v[2:3], -v[30:31]
	v_fmac_f64_e32 v[4:5], s[12:13], v[2:3]
	v_add_f64 v[2:3], v[6:7], v[30:31]
	v_add_f64 v[4:5], v[22:23], v[4:5]
	flat_store_dwordx4 v[28:29], v[2:5]
	flat_load_dwordx4 v[2:5], v[24:25] offset:256
	v_mul_f64 v[6:7], s[40:41], v[64:65]
	v_mul_f64 v[22:23], s[38:39], v[64:65]
	v_fma_f64 v[6:7], s[38:39], v[60:61], -v[6:7]
	v_fmac_f64_e32 v[22:23], s[40:41], v[60:61]
	s_waitcnt vmcnt(0) lgkmcnt(0)
	v_mul_f64 v[30:31], s[12:13], v[4:5]
	v_mul_f64 v[4:5], s[10:11], v[4:5]
	v_fma_f64 v[30:31], s[10:11], v[2:3], -v[30:31]
	v_fmac_f64_e32 v[4:5], s[12:13], v[2:3]
	v_add_f64 v[2:3], v[6:7], v[30:31]
	v_add_f64 v[4:5], v[22:23], v[4:5]
	flat_store_dwordx4 v[28:29], v[2:5] offset:256
	flat_load_dwordx4 v[2:5], v[24:25] offset:512
	v_mul_f64 v[6:7], s[40:41], v[52:53]
	v_mul_f64 v[22:23], s[38:39], v[52:53]
	v_fma_f64 v[6:7], s[38:39], v[48:49], -v[6:7]
	v_fmac_f64_e32 v[22:23], s[40:41], v[48:49]
	s_waitcnt vmcnt(0) lgkmcnt(0)
	v_mul_f64 v[30:31], s[12:13], v[4:5]
	v_mul_f64 v[4:5], s[10:11], v[4:5]
	v_fma_f64 v[30:31], s[10:11], v[2:3], -v[30:31]
	v_fmac_f64_e32 v[4:5], s[12:13], v[2:3]
	v_add_f64 v[2:3], v[6:7], v[30:31]
	v_add_f64 v[4:5], v[22:23], v[4:5]
	flat_store_dwordx4 v[28:29], v[2:5] offset:512
	;; [unrolled: 13-line block ×3, first 2 shown]
	flat_load_dwordx4 v[2:5], v[20:21]
	v_lshl_add_u64 v[24:25], v[26:27], 0, s[2:3]
	v_mul_f64 v[6:7], s[40:41], v[80:81]
	v_mul_f64 v[22:23], s[38:39], v[80:81]
	v_lshl_add_u64 v[24:25], v[24:25], 0, v[0:1]
	v_fma_f64 v[6:7], s[38:39], v[78:79], -v[6:7]
	v_fmac_f64_e32 v[22:23], s[40:41], v[78:79]
	s_waitcnt vmcnt(0) lgkmcnt(0)
	v_mul_f64 v[0:1], s[12:13], v[4:5]
	v_mul_f64 v[4:5], s[10:11], v[4:5]
	v_fma_f64 v[0:1], s[10:11], v[2:3], -v[0:1]
	v_fmac_f64_e32 v[4:5], s[12:13], v[2:3]
	v_add_f64 v[0:1], v[6:7], v[0:1]
	v_add_f64 v[2:3], v[22:23], v[4:5]
	flat_store_dwordx4 v[24:25], v[0:3]
	flat_load_dwordx4 v[0:3], v[20:21] offset:256
	v_mul_f64 v[4:5], s[40:41], v[18:19]
	v_mul_f64 v[6:7], s[38:39], v[18:19]
	v_fma_f64 v[4:5], s[38:39], v[16:17], -v[4:5]
	v_fmac_f64_e32 v[6:7], s[40:41], v[16:17]
	s_waitcnt vmcnt(0) lgkmcnt(0)
	v_mul_f64 v[16:17], s[12:13], v[2:3]
	v_mul_f64 v[2:3], s[10:11], v[2:3]
	v_fma_f64 v[16:17], s[10:11], v[0:1], -v[16:17]
	v_fmac_f64_e32 v[2:3], s[12:13], v[0:1]
	v_add_f64 v[0:1], v[4:5], v[16:17]
	v_add_f64 v[2:3], v[6:7], v[2:3]
	flat_store_dwordx4 v[24:25], v[0:3] offset:256
	flat_load_dwordx4 v[0:3], v[20:21] offset:512
	v_mul_f64 v[4:5], s[40:41], v[14:15]
	v_mul_f64 v[6:7], s[38:39], v[14:15]
	v_fma_f64 v[4:5], s[38:39], v[12:13], -v[4:5]
	v_fmac_f64_e32 v[6:7], s[40:41], v[12:13]
	s_waitcnt vmcnt(0) lgkmcnt(0)
	v_mul_f64 v[12:13], s[12:13], v[2:3]
	v_mul_f64 v[2:3], s[10:11], v[2:3]
	v_fma_f64 v[12:13], s[10:11], v[0:1], -v[12:13]
	v_fmac_f64_e32 v[2:3], s[12:13], v[0:1]
	v_add_f64 v[0:1], v[4:5], v[12:13]
	v_add_f64 v[2:3], v[6:7], v[2:3]
	flat_store_dwordx4 v[24:25], v[0:3] offset:512
	flat_load_dwordx4 v[0:3], v[20:21] offset:768
	v_mul_f64 v[4:5], s[40:41], v[10:11]
	v_mul_f64 v[6:7], s[38:39], v[10:11]
	v_fma_f64 v[4:5], s[38:39], v[8:9], -v[4:5]
	v_fmac_f64_e32 v[6:7], s[40:41], v[8:9]
	s_waitcnt vmcnt(0) lgkmcnt(0)
	v_mul_f64 v[8:9], s[12:13], v[2:3]
	v_mul_f64 v[2:3], s[10:11], v[2:3]
	v_fma_f64 v[8:9], s[10:11], v[0:1], -v[8:9]
	v_fmac_f64_e32 v[2:3], s[12:13], v[0:1]
	v_add_f64 v[0:1], v[4:5], v[8:9]
	v_add_f64 v[4:5], v[6:7], v[2:3]
	v_lshl_add_u64 v[6:7], v[24:25], 0, s[0:1]
	flat_store_dwordx2 v[24:25], v[0:1] offset:768
.LBB264_8:
	flat_store_dwordx2 v[6:7], v[4:5] offset:8
	s_endpgm
	.section	.rodata,"a",@progbits
	.p2align	6, 0x0
	.amdhsa_kernel _ZN12_GLOBAL__N_127rocblas_gemm_batched_kernelI19rocblas_complex_numIdELi16ELi16ELi64ELi64ELi4ELi64ELi4ELi4ELi64ELc84ELc78EKPKS2_S5_KPS2_EEvlllT_PT11_llSA_llS8_PT12_llPT13_lli
		.amdhsa_group_segment_fixed_size 8192
		.amdhsa_private_segment_fixed_size 0
		.amdhsa_kernarg_size 156
		.amdhsa_user_sgpr_count 2
		.amdhsa_user_sgpr_dispatch_ptr 0
		.amdhsa_user_sgpr_queue_ptr 0
		.amdhsa_user_sgpr_kernarg_segment_ptr 1
		.amdhsa_user_sgpr_dispatch_id 0
		.amdhsa_user_sgpr_kernarg_preload_length 0
		.amdhsa_user_sgpr_kernarg_preload_offset 0
		.amdhsa_user_sgpr_private_segment_size 0
		.amdhsa_uses_dynamic_stack 0
		.amdhsa_enable_private_segment 0
		.amdhsa_system_sgpr_workgroup_id_x 1
		.amdhsa_system_sgpr_workgroup_id_y 1
		.amdhsa_system_sgpr_workgroup_id_z 1
		.amdhsa_system_sgpr_workgroup_info 0
		.amdhsa_system_vgpr_workitem_id 1
		.amdhsa_next_free_vgpr 138
		.amdhsa_next_free_sgpr 52
		.amdhsa_accum_offset 140
		.amdhsa_reserve_vcc 1
		.amdhsa_float_round_mode_32 0
		.amdhsa_float_round_mode_16_64 0
		.amdhsa_float_denorm_mode_32 3
		.amdhsa_float_denorm_mode_16_64 3
		.amdhsa_dx10_clamp 1
		.amdhsa_ieee_mode 1
		.amdhsa_fp16_overflow 0
		.amdhsa_tg_split 0
		.amdhsa_exception_fp_ieee_invalid_op 0
		.amdhsa_exception_fp_denorm_src 0
		.amdhsa_exception_fp_ieee_div_zero 0
		.amdhsa_exception_fp_ieee_overflow 0
		.amdhsa_exception_fp_ieee_underflow 0
		.amdhsa_exception_fp_ieee_inexact 0
		.amdhsa_exception_int_div_zero 0
	.end_amdhsa_kernel
	.section	.text._ZN12_GLOBAL__N_127rocblas_gemm_batched_kernelI19rocblas_complex_numIdELi16ELi16ELi64ELi64ELi4ELi64ELi4ELi4ELi64ELc84ELc78EKPKS2_S5_KPS2_EEvlllT_PT11_llSA_llS8_PT12_llPT13_lli,"axG",@progbits,_ZN12_GLOBAL__N_127rocblas_gemm_batched_kernelI19rocblas_complex_numIdELi16ELi16ELi64ELi64ELi4ELi64ELi4ELi4ELi64ELc84ELc78EKPKS2_S5_KPS2_EEvlllT_PT11_llSA_llS8_PT12_llPT13_lli,comdat
.Lfunc_end264:
	.size	_ZN12_GLOBAL__N_127rocblas_gemm_batched_kernelI19rocblas_complex_numIdELi16ELi16ELi64ELi64ELi4ELi64ELi4ELi4ELi64ELc84ELc78EKPKS2_S5_KPS2_EEvlllT_PT11_llSA_llS8_PT12_llPT13_lli, .Lfunc_end264-_ZN12_GLOBAL__N_127rocblas_gemm_batched_kernelI19rocblas_complex_numIdELi16ELi16ELi64ELi64ELi4ELi64ELi4ELi4ELi64ELc84ELc78EKPKS2_S5_KPS2_EEvlllT_PT11_llSA_llS8_PT12_llPT13_lli
                                        ; -- End function
	.set _ZN12_GLOBAL__N_127rocblas_gemm_batched_kernelI19rocblas_complex_numIdELi16ELi16ELi64ELi64ELi4ELi64ELi4ELi4ELi64ELc84ELc78EKPKS2_S5_KPS2_EEvlllT_PT11_llSA_llS8_PT12_llPT13_lli.num_vgpr, 138
	.set _ZN12_GLOBAL__N_127rocblas_gemm_batched_kernelI19rocblas_complex_numIdELi16ELi16ELi64ELi64ELi4ELi64ELi4ELi4ELi64ELc84ELc78EKPKS2_S5_KPS2_EEvlllT_PT11_llSA_llS8_PT12_llPT13_lli.num_agpr, 0
	.set _ZN12_GLOBAL__N_127rocblas_gemm_batched_kernelI19rocblas_complex_numIdELi16ELi16ELi64ELi64ELi4ELi64ELi4ELi4ELi64ELc84ELc78EKPKS2_S5_KPS2_EEvlllT_PT11_llSA_llS8_PT12_llPT13_lli.numbered_sgpr, 52
	.set _ZN12_GLOBAL__N_127rocblas_gemm_batched_kernelI19rocblas_complex_numIdELi16ELi16ELi64ELi64ELi4ELi64ELi4ELi4ELi64ELc84ELc78EKPKS2_S5_KPS2_EEvlllT_PT11_llSA_llS8_PT12_llPT13_lli.num_named_barrier, 0
	.set _ZN12_GLOBAL__N_127rocblas_gemm_batched_kernelI19rocblas_complex_numIdELi16ELi16ELi64ELi64ELi4ELi64ELi4ELi4ELi64ELc84ELc78EKPKS2_S5_KPS2_EEvlllT_PT11_llSA_llS8_PT12_llPT13_lli.private_seg_size, 0
	.set _ZN12_GLOBAL__N_127rocblas_gemm_batched_kernelI19rocblas_complex_numIdELi16ELi16ELi64ELi64ELi4ELi64ELi4ELi4ELi64ELc84ELc78EKPKS2_S5_KPS2_EEvlllT_PT11_llSA_llS8_PT12_llPT13_lli.uses_vcc, 1
	.set _ZN12_GLOBAL__N_127rocblas_gemm_batched_kernelI19rocblas_complex_numIdELi16ELi16ELi64ELi64ELi4ELi64ELi4ELi4ELi64ELc84ELc78EKPKS2_S5_KPS2_EEvlllT_PT11_llSA_llS8_PT12_llPT13_lli.uses_flat_scratch, 0
	.set _ZN12_GLOBAL__N_127rocblas_gemm_batched_kernelI19rocblas_complex_numIdELi16ELi16ELi64ELi64ELi4ELi64ELi4ELi4ELi64ELc84ELc78EKPKS2_S5_KPS2_EEvlllT_PT11_llSA_llS8_PT12_llPT13_lli.has_dyn_sized_stack, 0
	.set _ZN12_GLOBAL__N_127rocblas_gemm_batched_kernelI19rocblas_complex_numIdELi16ELi16ELi64ELi64ELi4ELi64ELi4ELi4ELi64ELc84ELc78EKPKS2_S5_KPS2_EEvlllT_PT11_llSA_llS8_PT12_llPT13_lli.has_recursion, 0
	.set _ZN12_GLOBAL__N_127rocblas_gemm_batched_kernelI19rocblas_complex_numIdELi16ELi16ELi64ELi64ELi4ELi64ELi4ELi4ELi64ELc84ELc78EKPKS2_S5_KPS2_EEvlllT_PT11_llSA_llS8_PT12_llPT13_lli.has_indirect_call, 0
	.section	.AMDGPU.csdata,"",@progbits
; Kernel info:
; codeLenInByte = 6476
; TotalNumSgprs: 58
; NumVgprs: 138
; NumAgprs: 0
; TotalNumVgprs: 138
; ScratchSize: 0
; MemoryBound: 0
; FloatMode: 240
; IeeeMode: 1
; LDSByteSize: 8192 bytes/workgroup (compile time only)
; SGPRBlocks: 7
; VGPRBlocks: 17
; NumSGPRsForWavesPerEU: 58
; NumVGPRsForWavesPerEU: 138
; AccumOffset: 140
; Occupancy: 3
; WaveLimiterHint : 1
; COMPUTE_PGM_RSRC2:SCRATCH_EN: 0
; COMPUTE_PGM_RSRC2:USER_SGPR: 2
; COMPUTE_PGM_RSRC2:TRAP_HANDLER: 0
; COMPUTE_PGM_RSRC2:TGID_X_EN: 1
; COMPUTE_PGM_RSRC2:TGID_Y_EN: 1
; COMPUTE_PGM_RSRC2:TGID_Z_EN: 1
; COMPUTE_PGM_RSRC2:TIDIG_COMP_CNT: 1
; COMPUTE_PGM_RSRC3_GFX90A:ACCUM_OFFSET: 34
; COMPUTE_PGM_RSRC3_GFX90A:TG_SPLIT: 0
	.section	.text._ZN12_GLOBAL__N_127rocblas_gemm_batched_kernelI19rocblas_complex_numIdELi16ELi16ELi64ELi64ELi4ELi64ELi4ELi4ELi64ELc78ELc84EKPKS2_S5_KPS2_EEvlllT_PT11_llSA_llS8_PT12_llPT13_lli,"axG",@progbits,_ZN12_GLOBAL__N_127rocblas_gemm_batched_kernelI19rocblas_complex_numIdELi16ELi16ELi64ELi64ELi4ELi64ELi4ELi4ELi64ELc78ELc84EKPKS2_S5_KPS2_EEvlllT_PT11_llSA_llS8_PT12_llPT13_lli,comdat
	.globl	_ZN12_GLOBAL__N_127rocblas_gemm_batched_kernelI19rocblas_complex_numIdELi16ELi16ELi64ELi64ELi4ELi64ELi4ELi4ELi64ELc78ELc84EKPKS2_S5_KPS2_EEvlllT_PT11_llSA_llS8_PT12_llPT13_lli ; -- Begin function _ZN12_GLOBAL__N_127rocblas_gemm_batched_kernelI19rocblas_complex_numIdELi16ELi16ELi64ELi64ELi4ELi64ELi4ELi4ELi64ELc78ELc84EKPKS2_S5_KPS2_EEvlllT_PT11_llSA_llS8_PT12_llPT13_lli
	.p2align	8
	.type	_ZN12_GLOBAL__N_127rocblas_gemm_batched_kernelI19rocblas_complex_numIdELi16ELi16ELi64ELi64ELi4ELi64ELi4ELi4ELi64ELc78ELc84EKPKS2_S5_KPS2_EEvlllT_PT11_llSA_llS8_PT12_llPT13_lli,@function
_ZN12_GLOBAL__N_127rocblas_gemm_batched_kernelI19rocblas_complex_numIdELi16ELi16ELi64ELi64ELi4ELi64ELi4ELi4ELi64ELc78ELc84EKPKS2_S5_KPS2_EEvlllT_PT11_llSA_llS8_PT12_llPT13_lli: ; @_ZN12_GLOBAL__N_127rocblas_gemm_batched_kernelI19rocblas_complex_numIdELi16ELi16ELi64ELi64ELi4ELi64ELi4ELi4ELi64ELc78ELc84EKPKS2_S5_KPS2_EEvlllT_PT11_llSA_llS8_PT12_llPT13_lli
; %bb.0:
	s_load_dwordx16 s[36:51], s[0:1], 0x10
	s_load_dwordx16 s[8:23], s[0:1], 0x50
	s_mov_b32 s5, 0
	s_lshl_b64 s[24:25], s[4:5], 3
	s_mov_b32 s26, s3
	v_mov_b32_e32 v27, 0
	s_waitcnt lgkmcnt(0)
	s_add_u32 s4, s14, s24
	s_addc_u32 s5, s15, s25
	s_add_u32 s6, s20, s24
	s_addc_u32 s7, s21, s25
	s_load_dwordx2 s[4:5], s[4:5], 0x0
	s_ashr_i32 s3, s2, 31
	s_load_dwordx2 s[6:7], s[6:7], 0x0
	s_ashr_i32 s27, s26, 31
	v_cmp_lt_i64_e64 s[20:21], s[36:37], 1
	v_bfe_u32 v26, v0, 10, 10
	v_and_b32_e32 v24, 0x3ff, v0
	v_mov_b32_e32 v25, v27
	s_lshl_b64 s[2:3], s[2:3], 6
	s_lshl_b64 s[14:15], s[26:27], 6
	s_and_b64 vcc, exec, s[20:21]
	s_cbranch_vccnz .LBB265_3
; %bb.1:
	v_lshl_add_u32 v6, v26, 4, v24
	v_lshrrev_b32_e32 v0, 2, v6
	v_mov_b32_e32 v1, v27
	v_lshl_add_u64 v[2:3], v[0:1], 0, s[14:15]
	v_and_b32_e32 v1, 3, v24
	v_mad_u64_u32 v[2:3], s[26:27], s50, v1, v[2:3]
	v_mov_b32_e32 v4, v3
	s_add_u32 s20, s42, s24
	v_mad_u64_u32 v[4:5], s[26:27], s51, v1, v[4:5]
	v_lshlrev_b32_e32 v1, 4, v1
	s_addc_u32 s21, s43, s25
	v_lshl_or_b32 v0, v0, 6, v1
	s_load_dwordx2 s[20:21], s[20:21], 0x0
	v_add_u32_e32 v111, 0x1000, v0
	v_mov_b32_e32 v0, 0x1000
	s_add_u32 s24, s48, s24
	v_mov_b32_e32 v3, v4
	v_and_b32_e32 v4, 63, v6
	v_lshrrev_b32_e32 v7, 6, v6
	v_lshl_add_u32 v113, v26, 6, v0
	v_mov_b64_e32 v[0:1], s[2:3]
	s_addc_u32 s25, s49, s25
	v_lshlrev_b32_e32 v6, 4, v4
	v_mad_u64_u32 v[0:1], s[28:29], s44, v7, v[0:1]
	s_load_dwordx2 s[24:25], s[24:25], 0x0
	v_lshl_or_b32 v110, v7, 10, v6
	v_mov_b32_e32 v6, v1
	s_lshl_b64 s[26:27], s[46:47], 4
	v_mad_u64_u32 v[6:7], s[28:29], s45, v7, v[6:7]
	v_mov_b32_e32 v5, v27
	v_mov_b32_e32 v1, v6
	s_waitcnt lgkmcnt(0)
	s_add_u32 s20, s20, s26
	v_lshl_add_u64 v[0:1], v[0:1], 0, v[4:5]
	s_addc_u32 s21, s21, s27
	v_lshl_add_u64 v[28:29], v[0:1], 4, s[20:21]
	s_lshl_b64 s[20:21], s[44:45], 6
	s_lshl_b64 s[8:9], s[8:9], 4
	s_add_u32 s8, s24, s8
	s_addc_u32 s9, s25, s9
	v_lshlrev_b32_e32 v112, 4, v24
	v_lshl_add_u64 v[30:31], v[2:3], 4, s[8:9]
	s_lshl_b64 s[8:9], s[50:51], 6
	s_mov_b64 s[24:25], 0
	v_mov_b64_e32 v[10:11], 0
	v_mov_b64_e32 v[32:33], s[36:37]
	;; [unrolled: 1-line block ×33, first 2 shown]
.LBB265_2:                              ; =>This Inner Loop Header: Depth=1
	flat_load_dwordx4 v[0:3], v[28:29]
	s_add_u32 s24, s24, 4
	s_addc_u32 s25, s25, 0
	v_cmp_lt_i64_e32 vcc, s[24:25], v[32:33]
	v_lshl_add_u64 v[28:29], v[28:29], 0, s[20:21]
	s_and_b64 vcc, exec, vcc
	s_waitcnt vmcnt(0) lgkmcnt(0)
	ds_write2_b64 v110, v[0:1], v[2:3] offset1:1
	flat_load_dwordx4 v[0:3], v[30:31]
	v_lshl_add_u64 v[30:31], v[30:31], 0, s[8:9]
	s_waitcnt vmcnt(0) lgkmcnt(0)
	ds_write2_b64 v111, v[0:1], v[2:3] offset1:1
	s_waitcnt lgkmcnt(0)
	s_barrier
	ds_read_b128 v[82:85], v113
	ds_read_b128 v[114:117], v113 offset:16
	ds_read_b128 v[4:7], v113 offset:32
	;; [unrolled: 1-line block ×3, first 2 shown]
	ds_read_b128 v[118:121], v112
	s_waitcnt lgkmcnt(0)
	v_mul_f64 v[86:87], v[84:85], v[120:121]
	v_mul_f64 v[88:89], v[82:83], v[120:121]
	v_fma_f64 v[86:87], v[82:83], v[118:119], -v[86:87]
	v_fmac_f64_e32 v[88:89], v[84:85], v[118:119]
	v_add_f64 v[122:123], v[54:55], v[86:87]
	v_add_f64 v[124:125], v[88:89], v[56:57]
	ds_read_b128 v[54:57], v112 offset:256
	s_waitcnt lgkmcnt(0)
	v_mul_f64 v[86:87], v[84:85], v[56:57]
	v_mul_f64 v[88:89], v[82:83], v[56:57]
	v_fma_f64 v[86:87], v[82:83], v[54:55], -v[86:87]
	v_fmac_f64_e32 v[88:89], v[84:85], v[54:55]
	v_add_f64 v[126:127], v[38:39], v[86:87]
	v_add_f64 v[128:129], v[88:89], v[40:41]
	ds_read_b128 v[38:41], v112 offset:512
	;; [unrolled: 8-line block ×3, first 2 shown]
	s_waitcnt lgkmcnt(0)
	v_mul_f64 v[86:87], v[84:85], v[36:37]
	v_fma_f64 v[86:87], v[82:83], v[34:35], -v[86:87]
	v_mul_f64 v[82:83], v[82:83], v[36:37]
	v_fmac_f64_e32 v[82:83], v[84:85], v[34:35]
	v_add_f64 v[134:135], v[20:21], v[86:87]
	v_add_f64 v[136:137], v[82:83], v[22:23]
	ds_read_b128 v[20:23], v113 offset:1024
	s_waitcnt lgkmcnt(0)
	v_mul_f64 v[82:83], v[22:23], v[120:121]
	v_fma_f64 v[82:83], v[20:21], v[118:119], -v[82:83]
	v_add_f64 v[74:75], v[74:75], v[82:83]
	v_mul_f64 v[82:83], v[22:23], v[56:57]
	v_mul_f64 v[84:85], v[20:21], v[120:121]
	v_fma_f64 v[82:83], v[20:21], v[54:55], -v[82:83]
	v_fmac_f64_e32 v[84:85], v[22:23], v[118:119]
	v_add_f64 v[98:99], v[66:67], v[82:83]
	v_mul_f64 v[66:67], v[22:23], v[40:41]
	v_add_f64 v[76:77], v[84:85], v[76:77]
	v_mul_f64 v[84:85], v[20:21], v[56:57]
	v_fma_f64 v[66:67], v[20:21], v[38:39], -v[66:67]
	v_fmac_f64_e32 v[84:85], v[22:23], v[54:55]
	v_add_f64 v[102:103], v[58:59], v[66:67]
	v_mul_f64 v[58:59], v[22:23], v[36:37]
	v_add_f64 v[100:101], v[84:85], v[68:69]
	v_mul_f64 v[68:69], v[20:21], v[40:41]
	v_fma_f64 v[58:59], v[20:21], v[34:35], -v[58:59]
	v_mul_f64 v[20:21], v[20:21], v[36:37]
	v_fmac_f64_e32 v[20:21], v[22:23], v[34:35]
	v_fmac_f64_e32 v[68:69], v[22:23], v[38:39]
	v_add_f64 v[108:109], v[20:21], v[50:51]
	ds_read_b128 v[20:23], v113 offset:2048
	v_add_f64 v[106:107], v[46:47], v[58:59]
	v_add_f64 v[104:105], v[68:69], v[62:63]
	s_waitcnt lgkmcnt(0)
	v_mul_f64 v[46:47], v[22:23], v[120:121]
	v_fma_f64 v[46:47], v[20:21], v[118:119], -v[46:47]
	v_add_f64 v[82:83], v[70:71], v[46:47]
	v_mul_f64 v[46:47], v[22:23], v[56:57]
	v_mul_f64 v[50:51], v[20:21], v[120:121]
	v_fma_f64 v[46:47], v[20:21], v[54:55], -v[46:47]
	v_fmac_f64_e32 v[50:51], v[22:23], v[118:119]
	v_add_f64 v[86:87], v[60:61], v[46:47]
	v_mul_f64 v[46:47], v[22:23], v[40:41]
	v_add_f64 v[84:85], v[50:51], v[72:73]
	v_mul_f64 v[50:51], v[20:21], v[56:57]
	v_fma_f64 v[46:47], v[20:21], v[38:39], -v[46:47]
	v_fmac_f64_e32 v[50:51], v[22:23], v[54:55]
	v_add_f64 v[90:91], v[48:49], v[46:47]
	v_mul_f64 v[46:47], v[22:23], v[36:37]
	v_add_f64 v[88:89], v[50:51], v[64:65]
	v_mul_f64 v[50:51], v[20:21], v[40:41]
	v_fma_f64 v[46:47], v[20:21], v[34:35], -v[46:47]
	v_mul_f64 v[20:21], v[20:21], v[36:37]
	v_fmac_f64_e32 v[20:21], v[22:23], v[34:35]
	v_fmac_f64_e32 v[50:51], v[22:23], v[38:39]
	v_add_f64 v[96:97], v[20:21], v[44:45]
	ds_read_b128 v[20:23], v113 offset:3072
	v_add_f64 v[94:95], v[42:43], v[46:47]
	v_add_f64 v[92:93], v[50:51], v[52:53]
	s_waitcnt lgkmcnt(0)
	v_mul_f64 v[42:43], v[22:23], v[120:121]
	v_mul_f64 v[44:45], v[20:21], v[120:121]
	v_fma_f64 v[42:43], v[20:21], v[118:119], -v[42:43]
	v_fmac_f64_e32 v[44:45], v[22:23], v[118:119]
	v_add_f64 v[62:63], v[78:79], v[42:43]
	v_add_f64 v[64:65], v[44:45], v[80:81]
	v_mul_f64 v[42:43], v[22:23], v[56:57]
	v_mul_f64 v[44:45], v[20:21], v[56:57]
	v_fma_f64 v[42:43], v[20:21], v[54:55], -v[42:43]
	v_fmac_f64_e32 v[44:45], v[22:23], v[54:55]
	v_add_f64 v[58:59], v[16:17], v[42:43]
	v_add_f64 v[60:61], v[44:45], v[18:19]
	;; [unrolled: 6-line block ×3, first 2 shown]
	v_mul_f64 v[12:13], v[22:23], v[36:37]
	v_mul_f64 v[14:15], v[20:21], v[36:37]
	v_fma_f64 v[12:13], v[20:21], v[34:35], -v[12:13]
	v_fmac_f64_e32 v[14:15], v[22:23], v[34:35]
	ds_read_b128 v[20:23], v112 offset:1024
	ds_read_b128 v[16:19], v112 offset:1280
	v_add_f64 v[50:51], v[8:9], v[12:13]
	v_add_f64 v[52:53], v[14:15], v[10:11]
	ds_read_b128 v[12:15], v112 offset:1536
	ds_read_b128 v[78:81], v113 offset:1040
	s_waitcnt lgkmcnt(3)
	v_mul_f64 v[8:9], v[116:117], v[22:23]
	v_mul_f64 v[10:11], v[114:115], v[22:23]
	v_fma_f64 v[8:9], v[114:115], v[20:21], -v[8:9]
	v_fmac_f64_e32 v[10:11], v[116:117], v[20:21]
	v_add_f64 v[46:47], v[122:123], v[8:9]
	v_add_f64 v[48:49], v[10:11], v[124:125]
	s_waitcnt lgkmcnt(2)
	v_mul_f64 v[8:9], v[116:117], v[18:19]
	v_mul_f64 v[10:11], v[114:115], v[18:19]
	v_fma_f64 v[8:9], v[114:115], v[16:17], -v[8:9]
	v_fmac_f64_e32 v[10:11], v[116:117], v[16:17]
	v_add_f64 v[42:43], v[126:127], v[8:9]
	v_add_f64 v[44:45], v[10:11], v[128:129]
	;; [unrolled: 7-line block ×3, first 2 shown]
	ds_read_b128 v[8:11], v112 offset:1792
	s_waitcnt lgkmcnt(1)
	v_mul_f64 v[70:71], v[80:81], v[18:19]
	v_mul_f64 v[72:73], v[78:79], v[18:19]
	;; [unrolled: 1-line block ×4, first 2 shown]
	v_fma_f64 v[70:71], v[78:79], v[16:17], -v[70:71]
	v_fmac_f64_e32 v[72:73], v[80:81], v[16:17]
	v_fma_f64 v[66:67], v[78:79], v[20:21], -v[66:67]
	v_fmac_f64_e32 v[68:69], v[80:81], v[20:21]
	v_add_f64 v[70:71], v[98:99], v[70:71]
	v_add_f64 v[72:73], v[72:73], v[100:101]
	s_waitcnt lgkmcnt(0)
	v_mul_f64 v[98:99], v[80:81], v[10:11]
	v_mul_f64 v[100:101], v[78:79], v[10:11]
	v_add_f64 v[66:67], v[74:75], v[66:67]
	v_add_f64 v[68:69], v[68:69], v[76:77]
	v_mul_f64 v[74:75], v[80:81], v[14:15]
	v_mul_f64 v[76:77], v[78:79], v[14:15]
	v_fma_f64 v[98:99], v[78:79], v[8:9], -v[98:99]
	v_fmac_f64_e32 v[100:101], v[80:81], v[8:9]
	v_fma_f64 v[74:75], v[78:79], v[12:13], -v[74:75]
	v_fmac_f64_e32 v[76:77], v[80:81], v[12:13]
	v_add_f64 v[78:79], v[106:107], v[98:99]
	v_add_f64 v[80:81], v[100:101], v[108:109]
	ds_read_b128 v[98:101], v113 offset:2064
	v_add_f64 v[74:75], v[102:103], v[74:75]
	v_add_f64 v[76:77], v[76:77], v[104:105]
	v_mul_f64 v[34:35], v[116:117], v[10:11]
	v_mul_f64 v[36:37], v[114:115], v[10:11]
	s_waitcnt lgkmcnt(0)
	v_mul_f64 v[102:103], v[100:101], v[22:23]
	v_mul_f64 v[104:105], v[98:99], v[22:23]
	v_fma_f64 v[102:103], v[98:99], v[20:21], -v[102:103]
	v_fmac_f64_e32 v[104:105], v[100:101], v[20:21]
	v_add_f64 v[82:83], v[82:83], v[102:103]
	v_add_f64 v[84:85], v[104:105], v[84:85]
	v_mul_f64 v[102:103], v[100:101], v[18:19]
	v_mul_f64 v[104:105], v[98:99], v[18:19]
	v_fma_f64 v[102:103], v[98:99], v[16:17], -v[102:103]
	v_fmac_f64_e32 v[104:105], v[100:101], v[16:17]
	v_add_f64 v[86:87], v[86:87], v[102:103]
	v_add_f64 v[88:89], v[104:105], v[88:89]
	v_mul_f64 v[102:103], v[100:101], v[14:15]
	v_mul_f64 v[104:105], v[98:99], v[14:15]
	v_fma_f64 v[102:103], v[98:99], v[12:13], -v[102:103]
	v_fmac_f64_e32 v[104:105], v[100:101], v[12:13]
	v_add_f64 v[90:91], v[90:91], v[102:103]
	v_add_f64 v[92:93], v[104:105], v[92:93]
	v_mul_f64 v[102:103], v[100:101], v[10:11]
	v_mul_f64 v[104:105], v[98:99], v[10:11]
	v_fma_f64 v[102:103], v[98:99], v[8:9], -v[102:103]
	v_fmac_f64_e32 v[104:105], v[100:101], v[8:9]
	v_add_f64 v[98:99], v[94:95], v[102:103]
	v_add_f64 v[100:101], v[104:105], v[96:97]
	ds_read_b128 v[94:97], v113 offset:3088
	v_fma_f64 v[34:35], v[114:115], v[8:9], -v[34:35]
	v_fmac_f64_e32 v[36:37], v[116:117], v[8:9]
	v_add_f64 v[36:37], v[36:37], v[136:137]
	v_add_f64 v[34:35], v[134:135], v[34:35]
	s_waitcnt lgkmcnt(0)
	v_mul_f64 v[102:103], v[96:97], v[22:23]
	v_mul_f64 v[22:23], v[94:95], v[22:23]
	v_fma_f64 v[102:103], v[94:95], v[20:21], -v[102:103]
	v_fmac_f64_e32 v[22:23], v[96:97], v[20:21]
	v_mul_f64 v[20:21], v[96:97], v[18:19]
	v_mul_f64 v[18:19], v[94:95], v[18:19]
	v_fma_f64 v[20:21], v[94:95], v[16:17], -v[20:21]
	v_fmac_f64_e32 v[18:19], v[96:97], v[16:17]
	;; [unrolled: 4-line block ×3, first 2 shown]
	v_mul_f64 v[12:13], v[96:97], v[10:11]
	v_mul_f64 v[10:11], v[94:95], v[10:11]
	v_fmac_f64_e32 v[10:11], v[96:97], v[8:9]
	v_fma_f64 v[12:13], v[94:95], v[8:9], -v[12:13]
	v_add_f64 v[116:117], v[10:11], v[52:53]
	ds_read_b128 v[8:11], v112 offset:2048
	v_add_f64 v[56:57], v[14:15], v[56:57]
	v_add_f64 v[114:115], v[50:51], v[12:13]
	;; [unrolled: 1-line block ×4, first 2 shown]
	s_waitcnt lgkmcnt(0)
	v_mul_f64 v[12:13], v[6:7], v[10:11]
	v_mul_f64 v[14:15], v[4:5], v[10:11]
	v_fma_f64 v[12:13], v[4:5], v[8:9], -v[12:13]
	v_fmac_f64_e32 v[14:15], v[6:7], v[8:9]
	v_add_f64 v[118:119], v[46:47], v[12:13]
	v_add_f64 v[120:121], v[14:15], v[48:49]
	ds_read_b128 v[12:15], v112 offset:2304
	v_add_f64 v[104:105], v[22:23], v[64:65]
	v_add_f64 v[106:107], v[58:59], v[20:21]
	;; [unrolled: 1-line block ×3, first 2 shown]
	s_waitcnt lgkmcnt(0)
	v_mul_f64 v[16:17], v[6:7], v[14:15]
	v_mul_f64 v[18:19], v[4:5], v[14:15]
	v_fma_f64 v[16:17], v[4:5], v[12:13], -v[16:17]
	v_fmac_f64_e32 v[18:19], v[6:7], v[12:13]
	v_add_f64 v[122:123], v[42:43], v[16:17]
	v_add_f64 v[124:125], v[18:19], v[44:45]
	ds_read_b128 v[16:19], v112 offset:2560
	s_waitcnt lgkmcnt(0)
	v_mul_f64 v[20:21], v[6:7], v[18:19]
	v_mul_f64 v[22:23], v[4:5], v[18:19]
	v_fma_f64 v[20:21], v[4:5], v[16:17], -v[20:21]
	v_fmac_f64_e32 v[22:23], v[6:7], v[16:17]
	v_add_f64 v[126:127], v[38:39], v[20:21]
	v_add_f64 v[128:129], v[22:23], v[40:41]
	ds_read_b128 v[20:23], v112 offset:2816
	s_waitcnt lgkmcnt(0)
	v_mul_f64 v[38:39], v[6:7], v[22:23]
	v_fma_f64 v[38:39], v[4:5], v[20:21], -v[38:39]
	v_mul_f64 v[4:5], v[4:5], v[22:23]
	v_fmac_f64_e32 v[4:5], v[6:7], v[20:21]
	v_add_f64 v[132:133], v[4:5], v[36:37]
	ds_read_b128 v[4:7], v113 offset:1056
	v_add_f64 v[130:131], v[34:35], v[38:39]
	s_waitcnt lgkmcnt(0)
	v_mul_f64 v[34:35], v[6:7], v[10:11]
	v_fma_f64 v[34:35], v[4:5], v[8:9], -v[34:35]
	v_add_f64 v[46:47], v[66:67], v[34:35]
	v_mul_f64 v[34:35], v[6:7], v[14:15]
	v_mul_f64 v[36:37], v[4:5], v[10:11]
	v_fma_f64 v[34:35], v[4:5], v[12:13], -v[34:35]
	v_fmac_f64_e32 v[36:37], v[6:7], v[8:9]
	v_add_f64 v[58:59], v[70:71], v[34:35]
	v_mul_f64 v[34:35], v[6:7], v[18:19]
	v_add_f64 v[50:51], v[36:37], v[68:69]
	v_mul_f64 v[36:37], v[4:5], v[14:15]
	v_fma_f64 v[34:35], v[4:5], v[16:17], -v[34:35]
	v_fmac_f64_e32 v[36:37], v[6:7], v[12:13]
	v_add_f64 v[62:63], v[74:75], v[34:35]
	v_mul_f64 v[34:35], v[6:7], v[22:23]
	v_add_f64 v[60:61], v[36:37], v[72:73]
	v_mul_f64 v[36:37], v[4:5], v[18:19]
	v_fma_f64 v[34:35], v[4:5], v[20:21], -v[34:35]
	v_mul_f64 v[4:5], v[4:5], v[22:23]
	v_fmac_f64_e32 v[4:5], v[6:7], v[20:21]
	v_fmac_f64_e32 v[36:37], v[6:7], v[16:17]
	v_add_f64 v[72:73], v[4:5], v[80:81]
	ds_read_b128 v[4:7], v113 offset:2080
	v_add_f64 v[70:71], v[78:79], v[34:35]
	v_add_f64 v[64:65], v[36:37], v[76:77]
	s_waitcnt lgkmcnt(0)
	v_mul_f64 v[34:35], v[6:7], v[10:11]
	v_fma_f64 v[34:35], v[4:5], v[8:9], -v[34:35]
	v_add_f64 v[42:43], v[82:83], v[34:35]
	v_mul_f64 v[34:35], v[6:7], v[14:15]
	v_mul_f64 v[36:37], v[4:5], v[10:11]
	v_fma_f64 v[34:35], v[4:5], v[12:13], -v[34:35]
	v_fmac_f64_e32 v[36:37], v[6:7], v[8:9]
	v_add_f64 v[48:49], v[86:87], v[34:35]
	v_mul_f64 v[34:35], v[6:7], v[18:19]
	v_add_f64 v[44:45], v[36:37], v[84:85]
	v_mul_f64 v[36:37], v[4:5], v[14:15]
	v_fma_f64 v[34:35], v[4:5], v[16:17], -v[34:35]
	v_fmac_f64_e32 v[36:37], v[6:7], v[12:13]
	v_add_f64 v[94:95], v[90:91], v[34:35]
	v_mul_f64 v[34:35], v[6:7], v[22:23]
	v_add_f64 v[52:53], v[36:37], v[88:89]
	v_mul_f64 v[36:37], v[4:5], v[18:19]
	v_fma_f64 v[34:35], v[4:5], v[20:21], -v[34:35]
	v_mul_f64 v[4:5], v[4:5], v[22:23]
	v_fmac_f64_e32 v[4:5], v[6:7], v[20:21]
	v_fmac_f64_e32 v[36:37], v[6:7], v[16:17]
	v_add_f64 v[100:101], v[4:5], v[100:101]
	ds_read_b128 v[4:7], v113 offset:3104
	v_add_f64 v[98:99], v[98:99], v[34:35]
	v_add_f64 v[96:97], v[36:37], v[92:93]
	s_waitcnt lgkmcnt(0)
	v_mul_f64 v[34:35], v[6:7], v[10:11]
	v_mul_f64 v[10:11], v[4:5], v[10:11]
	v_fmac_f64_e32 v[10:11], v[6:7], v[8:9]
	v_fma_f64 v[34:35], v[4:5], v[8:9], -v[34:35]
	v_add_f64 v[80:81], v[10:11], v[104:105]
	v_mul_f64 v[8:9], v[6:7], v[14:15]
	v_mul_f64 v[10:11], v[4:5], v[14:15]
	v_fma_f64 v[8:9], v[4:5], v[12:13], -v[8:9]
	v_fmac_f64_e32 v[10:11], v[6:7], v[12:13]
	v_add_f64 v[90:91], v[106:107], v[8:9]
	v_add_f64 v[92:93], v[10:11], v[108:109]
	v_mul_f64 v[8:9], v[6:7], v[18:19]
	v_mul_f64 v[10:11], v[4:5], v[18:19]
	v_fma_f64 v[8:9], v[4:5], v[16:17], -v[8:9]
	v_fmac_f64_e32 v[10:11], v[6:7], v[16:17]
	ds_read_b128 v[16:19], v112 offset:3072
	ds_read_b128 v[12:15], v112 offset:3328
	v_add_f64 v[86:87], v[54:55], v[8:9]
	v_mul_f64 v[8:9], v[6:7], v[22:23]
	v_fma_f64 v[8:9], v[4:5], v[20:21], -v[8:9]
	v_mul_f64 v[4:5], v[4:5], v[22:23]
	v_add_f64 v[88:89], v[10:11], v[56:57]
	v_fmac_f64_e32 v[4:5], v[6:7], v[20:21]
	v_add_f64 v[82:83], v[114:115], v[8:9]
	ds_read_b128 v[8:11], v112 offset:3584
	v_add_f64 v[84:85], v[4:5], v[116:117]
	s_waitcnt lgkmcnt(2)
	v_mul_f64 v[4:5], v[2:3], v[18:19]
	v_mul_f64 v[6:7], v[0:1], v[18:19]
	v_fma_f64 v[4:5], v[0:1], v[16:17], -v[4:5]
	v_fmac_f64_e32 v[6:7], v[2:3], v[16:17]
	v_add_f64 v[54:55], v[118:119], v[4:5]
	v_add_f64 v[56:57], v[6:7], v[120:121]
	s_waitcnt lgkmcnt(1)
	v_mul_f64 v[4:5], v[2:3], v[14:15]
	v_mul_f64 v[6:7], v[0:1], v[14:15]
	v_fma_f64 v[4:5], v[0:1], v[12:13], -v[4:5]
	v_fmac_f64_e32 v[6:7], v[2:3], v[12:13]
	v_add_f64 v[38:39], v[122:123], v[4:5]
	;; [unrolled: 7-line block ×3, first 2 shown]
	v_add_f64 v[34:35], v[126:127], v[4:5]
	v_add_f64 v[36:37], v[6:7], v[128:129]
	ds_read_b128 v[4:7], v112 offset:3840
	s_waitcnt lgkmcnt(0)
	v_mul_f64 v[20:21], v[2:3], v[6:7]
	v_fma_f64 v[20:21], v[0:1], v[4:5], -v[20:21]
	v_mul_f64 v[0:1], v[0:1], v[6:7]
	v_fmac_f64_e32 v[0:1], v[2:3], v[4:5]
	v_add_f64 v[22:23], v[0:1], v[132:133]
	ds_read_b128 v[0:3], v113 offset:1072
	v_add_f64 v[20:21], v[130:131], v[20:21]
	s_waitcnt lgkmcnt(0)
	v_mul_f64 v[66:67], v[2:3], v[18:19]
	v_fma_f64 v[66:67], v[0:1], v[16:17], -v[66:67]
	v_add_f64 v[74:75], v[46:47], v[66:67]
	v_mul_f64 v[46:47], v[2:3], v[14:15]
	v_mul_f64 v[68:69], v[0:1], v[18:19]
	v_fma_f64 v[46:47], v[0:1], v[12:13], -v[46:47]
	v_fmac_f64_e32 v[68:69], v[2:3], v[16:17]
	v_add_f64 v[66:67], v[58:59], v[46:47]
	v_mul_f64 v[46:47], v[2:3], v[10:11]
	v_add_f64 v[76:77], v[68:69], v[50:51]
	v_mul_f64 v[50:51], v[0:1], v[14:15]
	v_fma_f64 v[46:47], v[0:1], v[8:9], -v[46:47]
	v_fmac_f64_e32 v[50:51], v[2:3], v[12:13]
	v_add_f64 v[58:59], v[62:63], v[46:47]
	v_mul_f64 v[46:47], v[2:3], v[6:7]
	v_add_f64 v[68:69], v[50:51], v[60:61]
	v_mul_f64 v[50:51], v[0:1], v[10:11]
	v_fma_f64 v[46:47], v[0:1], v[4:5], -v[46:47]
	v_mul_f64 v[0:1], v[0:1], v[6:7]
	v_fmac_f64_e32 v[50:51], v[2:3], v[8:9]
	v_fmac_f64_e32 v[0:1], v[2:3], v[4:5]
	v_add_f64 v[62:63], v[50:51], v[64:65]
	v_add_f64 v[50:51], v[0:1], v[72:73]
	ds_read_b128 v[0:3], v113 offset:2096
	v_add_f64 v[46:47], v[70:71], v[46:47]
	s_waitcnt lgkmcnt(0)
	v_mul_f64 v[60:61], v[2:3], v[18:19]
	v_fma_f64 v[60:61], v[0:1], v[16:17], -v[60:61]
	v_add_f64 v[70:71], v[42:43], v[60:61]
	v_mul_f64 v[42:43], v[2:3], v[14:15]
	v_mul_f64 v[64:65], v[0:1], v[18:19]
	v_fma_f64 v[42:43], v[0:1], v[12:13], -v[42:43]
	v_fmac_f64_e32 v[64:65], v[2:3], v[16:17]
	v_add_f64 v[60:61], v[48:49], v[42:43]
	v_mul_f64 v[42:43], v[2:3], v[10:11]
	v_add_f64 v[72:73], v[64:65], v[44:45]
	v_mul_f64 v[44:45], v[0:1], v[14:15]
	v_fma_f64 v[42:43], v[0:1], v[8:9], -v[42:43]
	v_fmac_f64_e32 v[44:45], v[2:3], v[12:13]
	v_add_f64 v[48:49], v[94:95], v[42:43]
	v_mul_f64 v[42:43], v[2:3], v[6:7]
	v_add_f64 v[64:65], v[44:45], v[52:53]
	v_mul_f64 v[44:45], v[0:1], v[10:11]
	v_fma_f64 v[42:43], v[0:1], v[4:5], -v[42:43]
	v_mul_f64 v[0:1], v[0:1], v[6:7]
	v_fmac_f64_e32 v[44:45], v[2:3], v[8:9]
	v_fmac_f64_e32 v[0:1], v[2:3], v[4:5]
	v_add_f64 v[52:53], v[44:45], v[96:97]
	v_add_f64 v[44:45], v[0:1], v[100:101]
	ds_read_b128 v[0:3], v113 offset:3120
	v_add_f64 v[42:43], v[98:99], v[42:43]
	s_waitcnt lgkmcnt(0)
	s_barrier
	v_mul_f64 v[94:95], v[2:3], v[18:19]
	v_mul_f64 v[18:19], v[0:1], v[18:19]
	v_fma_f64 v[94:95], v[0:1], v[16:17], -v[94:95]
	v_fmac_f64_e32 v[18:19], v[2:3], v[16:17]
	v_mul_f64 v[16:17], v[2:3], v[14:15]
	v_mul_f64 v[14:15], v[0:1], v[14:15]
	v_fma_f64 v[16:17], v[0:1], v[12:13], -v[16:17]
	v_fmac_f64_e32 v[14:15], v[2:3], v[12:13]
	;; [unrolled: 4-line block ×3, first 2 shown]
	v_mul_f64 v[8:9], v[2:3], v[6:7]
	v_fma_f64 v[8:9], v[0:1], v[4:5], -v[8:9]
	v_mul_f64 v[0:1], v[0:1], v[6:7]
	v_fmac_f64_e32 v[0:1], v[2:3], v[4:5]
	v_add_f64 v[78:79], v[78:79], v[94:95]
	v_add_f64 v[80:81], v[18:19], v[80:81]
	;; [unrolled: 1-line block ×8, first 2 shown]
	s_cbranch_vccnz .LBB265_2
	s_branch .LBB265_4
.LBB265_3:
	v_mov_b64_e32 v[54:55], 0
	v_mov_b64_e32 v[56:57], 0
	;; [unrolled: 1-line block ×32, first 2 shown]
.LBB265_4:
	s_load_dwordx2 s[0:1], s[0:1], 0x90
	v_lshl_add_u64 v[2:3], s[14:15], 0, v[26:27]
	v_cmp_neq_f64_e64 s[14:15], s[10:11], 0
	v_cmp_neq_f64_e64 s[20:21], s[12:13], 0
	s_mov_b64 s[8:9], 0
	s_waitcnt lgkmcnt(0)
	s_lshl_b64 s[0:1], s[0:1], 4
	s_add_u32 s0, s6, s0
	s_addc_u32 s1, s7, s1
	s_or_b64 s[6:7], s[14:15], s[20:21]
	v_lshl_add_u64 v[0:1], s[2:3], 0, v[24:25]
	s_and_b64 vcc, exec, s[6:7]
	s_cbranch_vccnz .LBB265_6
; %bb.5:
	v_mul_lo_u32 v6, v3, s22
	v_mul_lo_u32 v7, v2, s23
	v_mad_u64_u32 v[4:5], s[2:3], v2, s22, 0
	v_add3_u32 v5, v5, v7, v6
	v_lshl_add_u64 v[24:25], v[4:5], 4, s[0:1]
	v_mul_f64 v[4:5], s[40:41], v[56:57]
	v_mul_f64 v[6:7], s[38:39], v[56:57]
	v_lshlrev_b64 v[26:27], 4, v[0:1]
	v_fma_f64 v[4:5], s[38:39], v[54:55], -v[4:5]
	v_fmac_f64_e32 v[6:7], s[40:41], v[54:55]
	v_lshl_add_u64 v[28:29], v[24:25], 0, v[26:27]
	flat_store_dwordx4 v[28:29], v[4:7]
	s_lshl_b64 s[2:3], s[22:23], 8
	v_lshl_add_u64 v[24:25], v[24:25], 0, s[2:3]
	v_mul_f64 v[4:5], s[40:41], v[40:41]
	v_mul_f64 v[6:7], s[38:39], v[40:41]
	v_fma_f64 v[4:5], s[38:39], v[38:39], -v[4:5]
	v_fmac_f64_e32 v[6:7], s[40:41], v[38:39]
	flat_store_dwordx4 v[28:29], v[4:7] offset:256
	s_nop 1
	v_mul_f64 v[4:5], s[40:41], v[36:37]
	v_mul_f64 v[6:7], s[38:39], v[36:37]
	v_fma_f64 v[4:5], s[38:39], v[34:35], -v[4:5]
	v_fmac_f64_e32 v[6:7], s[40:41], v[34:35]
	flat_store_dwordx4 v[28:29], v[4:7] offset:512
	s_nop 1
	v_mul_f64 v[4:5], s[40:41], v[22:23]
	v_mul_f64 v[6:7], s[38:39], v[22:23]
	v_fma_f64 v[4:5], s[38:39], v[20:21], -v[4:5]
	v_fmac_f64_e32 v[6:7], s[40:41], v[20:21]
	flat_store_dwordx4 v[28:29], v[4:7] offset:768
	v_lshl_add_u64 v[28:29], v[24:25], 0, v[26:27]
	v_lshl_add_u64 v[24:25], v[24:25], 0, s[2:3]
	v_mul_f64 v[4:5], s[40:41], v[76:77]
	v_mul_f64 v[6:7], s[38:39], v[76:77]
	v_fma_f64 v[4:5], s[38:39], v[74:75], -v[4:5]
	v_fmac_f64_e32 v[6:7], s[40:41], v[74:75]
	flat_store_dwordx4 v[28:29], v[4:7]
	s_nop 1
	v_mul_f64 v[4:5], s[40:41], v[68:69]
	v_mul_f64 v[6:7], s[38:39], v[68:69]
	v_fma_f64 v[4:5], s[38:39], v[66:67], -v[4:5]
	v_fmac_f64_e32 v[6:7], s[40:41], v[66:67]
	flat_store_dwordx4 v[28:29], v[4:7] offset:256
	s_nop 1
	v_mul_f64 v[4:5], s[40:41], v[62:63]
	v_mul_f64 v[6:7], s[38:39], v[62:63]
	v_fma_f64 v[4:5], s[38:39], v[58:59], -v[4:5]
	v_fmac_f64_e32 v[6:7], s[40:41], v[58:59]
	flat_store_dwordx4 v[28:29], v[4:7] offset:512
	;; [unrolled: 6-line block ×3, first 2 shown]
	v_lshl_add_u64 v[28:29], v[24:25], 0, v[26:27]
	v_lshl_add_u64 v[24:25], v[24:25], 0, s[2:3]
	v_mul_f64 v[4:5], s[40:41], v[72:73]
	v_mul_f64 v[6:7], s[38:39], v[72:73]
	v_fma_f64 v[4:5], s[38:39], v[70:71], -v[4:5]
	v_fmac_f64_e32 v[6:7], s[40:41], v[70:71]
	flat_store_dwordx4 v[28:29], v[4:7]
	v_lshl_add_u64 v[24:25], v[24:25], 0, v[26:27]
	s_mov_b64 s[2:3], 0x300
	v_mul_f64 v[4:5], s[40:41], v[64:65]
	v_mul_f64 v[6:7], s[38:39], v[64:65]
	v_fma_f64 v[4:5], s[38:39], v[60:61], -v[4:5]
	v_fmac_f64_e32 v[6:7], s[40:41], v[60:61]
	flat_store_dwordx4 v[28:29], v[4:7] offset:256
	s_nop 1
	v_mul_f64 v[4:5], s[40:41], v[52:53]
	v_mul_f64 v[6:7], s[38:39], v[52:53]
	v_fma_f64 v[4:5], s[38:39], v[48:49], -v[4:5]
	v_fmac_f64_e32 v[6:7], s[40:41], v[48:49]
	flat_store_dwordx4 v[28:29], v[4:7] offset:512
	s_nop 1
	;; [unrolled: 6-line block ×3, first 2 shown]
	v_mul_f64 v[4:5], s[40:41], v[80:81]
	v_mul_f64 v[6:7], s[38:39], v[80:81]
	v_fma_f64 v[4:5], s[38:39], v[78:79], -v[4:5]
	v_fmac_f64_e32 v[6:7], s[40:41], v[78:79]
	flat_store_dwordx4 v[24:25], v[4:7]
	s_nop 1
	v_mul_f64 v[4:5], s[40:41], v[18:19]
	v_mul_f64 v[6:7], s[38:39], v[18:19]
	v_fma_f64 v[4:5], s[38:39], v[16:17], -v[4:5]
	v_fmac_f64_e32 v[6:7], s[40:41], v[16:17]
	flat_store_dwordx4 v[24:25], v[4:7] offset:256
	s_nop 1
	v_mul_f64 v[4:5], s[40:41], v[14:15]
	v_mul_f64 v[6:7], s[38:39], v[14:15]
	v_fma_f64 v[4:5], s[38:39], v[12:13], -v[4:5]
	v_fmac_f64_e32 v[6:7], s[40:41], v[12:13]
	flat_store_dwordx4 v[24:25], v[4:7] offset:512
	s_nop 1
	v_mul_f64 v[4:5], s[40:41], v[10:11]
	v_fma_f64 v[26:27], s[38:39], v[8:9], -v[4:5]
	v_mul_f64 v[4:5], s[38:39], v[10:11]
	v_fmac_f64_e32 v[4:5], s[40:41], v[8:9]
	v_lshl_add_u64 v[6:7], v[24:25], 0, s[2:3]
	flat_store_dwordx2 v[24:25], v[26:27] offset:768
	s_andn2_b64 vcc, exec, s[8:9]
	s_cbranch_vccz .LBB265_7
	s_branch .LBB265_8
.LBB265_6:
                                        ; implicit-def: $vgpr4_vgpr5
                                        ; implicit-def: $vgpr6_vgpr7
.LBB265_7:
	s_lshl_b64 s[2:3], s[18:19], 4
	s_add_u32 s2, s4, s2
	s_addc_u32 s3, s5, s3
	v_mul_lo_u32 v6, v3, s16
	v_mul_lo_u32 v7, v2, s17
	v_mad_u64_u32 v[4:5], s[4:5], v2, s16, 0
	v_add3_u32 v5, v5, v7, v6
	v_lshl_add_u64 v[24:25], v[4:5], 4, s[2:3]
	v_lshlrev_b64 v[0:1], 4, v[0:1]
	v_lshl_add_u64 v[26:27], v[24:25], 0, v[0:1]
	flat_load_dwordx4 v[4:7], v[26:27]
	v_mul_lo_u32 v32, v3, s22
	v_mul_lo_u32 v33, v2, s23
	v_mad_u64_u32 v[2:3], s[2:3], v2, s22, 0
	v_add3_u32 v3, v3, v33, v32
	v_mul_f64 v[28:29], s[40:41], v[56:57]
	v_mul_f64 v[30:31], s[38:39], v[56:57]
	v_lshl_add_u64 v[32:33], v[2:3], 4, s[0:1]
	v_fma_f64 v[28:29], s[38:39], v[54:55], -v[28:29]
	v_fmac_f64_e32 v[30:31], s[40:41], v[54:55]
	v_lshl_add_u64 v[54:55], v[32:33], 0, v[0:1]
	s_lshl_b64 s[0:1], s[16:17], 8
	s_lshl_b64 s[2:3], s[22:23], 8
	s_waitcnt vmcnt(0) lgkmcnt(0)
	v_mul_f64 v[2:3], s[12:13], v[6:7]
	v_mul_f64 v[6:7], s[10:11], v[6:7]
	v_fma_f64 v[2:3], s[10:11], v[4:5], -v[2:3]
	v_fmac_f64_e32 v[6:7], s[12:13], v[4:5]
	v_add_f64 v[2:3], v[28:29], v[2:3]
	v_add_f64 v[4:5], v[30:31], v[6:7]
	flat_store_dwordx4 v[54:55], v[2:5]
	flat_load_dwordx4 v[2:5], v[26:27] offset:256
	v_mul_f64 v[6:7], s[40:41], v[40:41]
	v_mul_f64 v[28:29], s[38:39], v[40:41]
	v_fma_f64 v[6:7], s[38:39], v[38:39], -v[6:7]
	v_fmac_f64_e32 v[28:29], s[40:41], v[38:39]
	s_waitcnt vmcnt(0) lgkmcnt(0)
	v_mul_f64 v[30:31], s[12:13], v[4:5]
	v_mul_f64 v[4:5], s[10:11], v[4:5]
	v_fma_f64 v[30:31], s[10:11], v[2:3], -v[30:31]
	v_fmac_f64_e32 v[4:5], s[12:13], v[2:3]
	v_add_f64 v[2:3], v[6:7], v[30:31]
	v_add_f64 v[4:5], v[28:29], v[4:5]
	flat_store_dwordx4 v[54:55], v[2:5] offset:256
	flat_load_dwordx4 v[2:5], v[26:27] offset:512
	v_mul_f64 v[6:7], s[40:41], v[36:37]
	v_mul_f64 v[28:29], s[38:39], v[36:37]
	v_fma_f64 v[6:7], s[38:39], v[34:35], -v[6:7]
	v_fmac_f64_e32 v[28:29], s[40:41], v[34:35]
	s_waitcnt vmcnt(0) lgkmcnt(0)
	v_mul_f64 v[30:31], s[12:13], v[4:5]
	v_mul_f64 v[4:5], s[10:11], v[4:5]
	v_fma_f64 v[30:31], s[10:11], v[2:3], -v[30:31]
	v_fmac_f64_e32 v[4:5], s[12:13], v[2:3]
	v_add_f64 v[2:3], v[6:7], v[30:31]
	v_add_f64 v[4:5], v[28:29], v[4:5]
	flat_store_dwordx4 v[54:55], v[2:5] offset:512
	flat_load_dwordx4 v[2:5], v[26:27] offset:768
	v_mul_f64 v[6:7], s[40:41], v[22:23]
	v_mul_f64 v[22:23], s[38:39], v[22:23]
	v_fma_f64 v[6:7], s[38:39], v[20:21], -v[6:7]
	v_fmac_f64_e32 v[22:23], s[40:41], v[20:21]
	v_lshl_add_u64 v[20:21], v[24:25], 0, s[0:1]
	v_lshl_add_u64 v[24:25], v[20:21], 0, v[0:1]
	v_lshl_add_u64 v[20:21], v[20:21], 0, s[0:1]
	s_waitcnt vmcnt(0) lgkmcnt(0)
	v_mul_f64 v[26:27], s[12:13], v[4:5]
	v_mul_f64 v[4:5], s[10:11], v[4:5]
	v_fma_f64 v[26:27], s[10:11], v[2:3], -v[26:27]
	v_fmac_f64_e32 v[4:5], s[12:13], v[2:3]
	v_add_f64 v[2:3], v[6:7], v[26:27]
	v_add_f64 v[4:5], v[22:23], v[4:5]
	flat_store_dwordx4 v[54:55], v[2:5] offset:768
	flat_load_dwordx4 v[2:5], v[24:25]
	v_mul_f64 v[6:7], s[40:41], v[76:77]
	v_mul_f64 v[22:23], s[38:39], v[76:77]
	v_fma_f64 v[6:7], s[38:39], v[74:75], -v[6:7]
	v_fmac_f64_e32 v[22:23], s[40:41], v[74:75]
	v_lshl_add_u64 v[26:27], v[32:33], 0, s[2:3]
	v_lshl_add_u64 v[28:29], v[26:27], 0, v[0:1]
	;; [unrolled: 1-line block ×3, first 2 shown]
	s_waitcnt vmcnt(0) lgkmcnt(0)
	v_mul_f64 v[30:31], s[12:13], v[4:5]
	v_mul_f64 v[4:5], s[10:11], v[4:5]
	v_fma_f64 v[30:31], s[10:11], v[2:3], -v[30:31]
	v_fmac_f64_e32 v[4:5], s[12:13], v[2:3]
	v_add_f64 v[2:3], v[6:7], v[30:31]
	v_add_f64 v[4:5], v[22:23], v[4:5]
	flat_store_dwordx4 v[28:29], v[2:5]
	flat_load_dwordx4 v[2:5], v[24:25] offset:256
	v_mul_f64 v[6:7], s[40:41], v[68:69]
	v_mul_f64 v[22:23], s[38:39], v[68:69]
	v_fma_f64 v[6:7], s[38:39], v[66:67], -v[6:7]
	v_fmac_f64_e32 v[22:23], s[40:41], v[66:67]
	s_waitcnt vmcnt(0) lgkmcnt(0)
	v_mul_f64 v[30:31], s[12:13], v[4:5]
	v_mul_f64 v[4:5], s[10:11], v[4:5]
	v_fma_f64 v[30:31], s[10:11], v[2:3], -v[30:31]
	v_fmac_f64_e32 v[4:5], s[12:13], v[2:3]
	v_add_f64 v[2:3], v[6:7], v[30:31]
	v_add_f64 v[4:5], v[22:23], v[4:5]
	flat_store_dwordx4 v[28:29], v[2:5] offset:256
	flat_load_dwordx4 v[2:5], v[24:25] offset:512
	v_mul_f64 v[6:7], s[40:41], v[62:63]
	v_mul_f64 v[22:23], s[38:39], v[62:63]
	v_fma_f64 v[6:7], s[38:39], v[58:59], -v[6:7]
	v_fmac_f64_e32 v[22:23], s[40:41], v[58:59]
	s_waitcnt vmcnt(0) lgkmcnt(0)
	v_mul_f64 v[30:31], s[12:13], v[4:5]
	v_mul_f64 v[4:5], s[10:11], v[4:5]
	v_fma_f64 v[30:31], s[10:11], v[2:3], -v[30:31]
	v_fmac_f64_e32 v[4:5], s[12:13], v[2:3]
	v_add_f64 v[2:3], v[6:7], v[30:31]
	v_add_f64 v[4:5], v[22:23], v[4:5]
	flat_store_dwordx4 v[28:29], v[2:5] offset:512
	flat_load_dwordx4 v[2:5], v[24:25] offset:768
	v_mul_f64 v[6:7], s[40:41], v[50:51]
	v_mul_f64 v[22:23], s[38:39], v[50:51]
	v_fma_f64 v[6:7], s[38:39], v[46:47], -v[6:7]
	v_fmac_f64_e32 v[22:23], s[40:41], v[46:47]
	v_lshl_add_u64 v[24:25], v[20:21], 0, v[0:1]
	v_lshl_add_u64 v[20:21], v[20:21], 0, s[0:1]
	;; [unrolled: 1-line block ×3, first 2 shown]
	s_mov_b64 s[0:1], 0x300
	s_waitcnt vmcnt(0) lgkmcnt(0)
	v_mul_f64 v[30:31], s[12:13], v[4:5]
	v_mul_f64 v[4:5], s[10:11], v[4:5]
	v_fma_f64 v[30:31], s[10:11], v[2:3], -v[30:31]
	v_fmac_f64_e32 v[4:5], s[12:13], v[2:3]
	v_add_f64 v[2:3], v[6:7], v[30:31]
	v_add_f64 v[4:5], v[22:23], v[4:5]
	flat_store_dwordx4 v[28:29], v[2:5] offset:768
	flat_load_dwordx4 v[2:5], v[24:25]
	v_mul_f64 v[6:7], s[40:41], v[72:73]
	v_mul_f64 v[22:23], s[38:39], v[72:73]
	v_fma_f64 v[6:7], s[38:39], v[70:71], -v[6:7]
	v_fmac_f64_e32 v[22:23], s[40:41], v[70:71]
	v_lshl_add_u64 v[28:29], v[26:27], 0, v[0:1]
	s_waitcnt vmcnt(0) lgkmcnt(0)
	v_mul_f64 v[30:31], s[12:13], v[4:5]
	v_mul_f64 v[4:5], s[10:11], v[4:5]
	v_fma_f64 v[30:31], s[10:11], v[2:3], -v[30:31]
	v_fmac_f64_e32 v[4:5], s[12:13], v[2:3]
	v_add_f64 v[2:3], v[6:7], v[30:31]
	v_add_f64 v[4:5], v[22:23], v[4:5]
	flat_store_dwordx4 v[28:29], v[2:5]
	flat_load_dwordx4 v[2:5], v[24:25] offset:256
	v_mul_f64 v[6:7], s[40:41], v[64:65]
	v_mul_f64 v[22:23], s[38:39], v[64:65]
	v_fma_f64 v[6:7], s[38:39], v[60:61], -v[6:7]
	v_fmac_f64_e32 v[22:23], s[40:41], v[60:61]
	s_waitcnt vmcnt(0) lgkmcnt(0)
	v_mul_f64 v[30:31], s[12:13], v[4:5]
	v_mul_f64 v[4:5], s[10:11], v[4:5]
	v_fma_f64 v[30:31], s[10:11], v[2:3], -v[30:31]
	v_fmac_f64_e32 v[4:5], s[12:13], v[2:3]
	v_add_f64 v[2:3], v[6:7], v[30:31]
	v_add_f64 v[4:5], v[22:23], v[4:5]
	flat_store_dwordx4 v[28:29], v[2:5] offset:256
	flat_load_dwordx4 v[2:5], v[24:25] offset:512
	v_mul_f64 v[6:7], s[40:41], v[52:53]
	v_mul_f64 v[22:23], s[38:39], v[52:53]
	v_fma_f64 v[6:7], s[38:39], v[48:49], -v[6:7]
	v_fmac_f64_e32 v[22:23], s[40:41], v[48:49]
	s_waitcnt vmcnt(0) lgkmcnt(0)
	v_mul_f64 v[30:31], s[12:13], v[4:5]
	v_mul_f64 v[4:5], s[10:11], v[4:5]
	v_fma_f64 v[30:31], s[10:11], v[2:3], -v[30:31]
	v_fmac_f64_e32 v[4:5], s[12:13], v[2:3]
	v_add_f64 v[2:3], v[6:7], v[30:31]
	v_add_f64 v[4:5], v[22:23], v[4:5]
	flat_store_dwordx4 v[28:29], v[2:5] offset:512
	;; [unrolled: 13-line block ×3, first 2 shown]
	flat_load_dwordx4 v[2:5], v[20:21]
	v_lshl_add_u64 v[24:25], v[26:27], 0, s[2:3]
	v_mul_f64 v[6:7], s[40:41], v[80:81]
	v_mul_f64 v[22:23], s[38:39], v[80:81]
	v_lshl_add_u64 v[24:25], v[24:25], 0, v[0:1]
	v_fma_f64 v[6:7], s[38:39], v[78:79], -v[6:7]
	v_fmac_f64_e32 v[22:23], s[40:41], v[78:79]
	s_waitcnt vmcnt(0) lgkmcnt(0)
	v_mul_f64 v[0:1], s[12:13], v[4:5]
	v_mul_f64 v[4:5], s[10:11], v[4:5]
	v_fma_f64 v[0:1], s[10:11], v[2:3], -v[0:1]
	v_fmac_f64_e32 v[4:5], s[12:13], v[2:3]
	v_add_f64 v[0:1], v[6:7], v[0:1]
	v_add_f64 v[2:3], v[22:23], v[4:5]
	flat_store_dwordx4 v[24:25], v[0:3]
	flat_load_dwordx4 v[0:3], v[20:21] offset:256
	v_mul_f64 v[4:5], s[40:41], v[18:19]
	v_mul_f64 v[6:7], s[38:39], v[18:19]
	v_fma_f64 v[4:5], s[38:39], v[16:17], -v[4:5]
	v_fmac_f64_e32 v[6:7], s[40:41], v[16:17]
	s_waitcnt vmcnt(0) lgkmcnt(0)
	v_mul_f64 v[16:17], s[12:13], v[2:3]
	v_mul_f64 v[2:3], s[10:11], v[2:3]
	v_fma_f64 v[16:17], s[10:11], v[0:1], -v[16:17]
	v_fmac_f64_e32 v[2:3], s[12:13], v[0:1]
	v_add_f64 v[0:1], v[4:5], v[16:17]
	v_add_f64 v[2:3], v[6:7], v[2:3]
	flat_store_dwordx4 v[24:25], v[0:3] offset:256
	flat_load_dwordx4 v[0:3], v[20:21] offset:512
	v_mul_f64 v[4:5], s[40:41], v[14:15]
	v_mul_f64 v[6:7], s[38:39], v[14:15]
	v_fma_f64 v[4:5], s[38:39], v[12:13], -v[4:5]
	v_fmac_f64_e32 v[6:7], s[40:41], v[12:13]
	s_waitcnt vmcnt(0) lgkmcnt(0)
	v_mul_f64 v[12:13], s[12:13], v[2:3]
	v_mul_f64 v[2:3], s[10:11], v[2:3]
	v_fma_f64 v[12:13], s[10:11], v[0:1], -v[12:13]
	v_fmac_f64_e32 v[2:3], s[12:13], v[0:1]
	v_add_f64 v[0:1], v[4:5], v[12:13]
	v_add_f64 v[2:3], v[6:7], v[2:3]
	flat_store_dwordx4 v[24:25], v[0:3] offset:512
	flat_load_dwordx4 v[0:3], v[20:21] offset:768
	v_mul_f64 v[4:5], s[40:41], v[10:11]
	v_mul_f64 v[6:7], s[38:39], v[10:11]
	v_fma_f64 v[4:5], s[38:39], v[8:9], -v[4:5]
	v_fmac_f64_e32 v[6:7], s[40:41], v[8:9]
	s_waitcnt vmcnt(0) lgkmcnt(0)
	v_mul_f64 v[8:9], s[12:13], v[2:3]
	v_mul_f64 v[2:3], s[10:11], v[2:3]
	v_fma_f64 v[8:9], s[10:11], v[0:1], -v[8:9]
	v_fmac_f64_e32 v[2:3], s[12:13], v[0:1]
	v_add_f64 v[0:1], v[4:5], v[8:9]
	v_add_f64 v[4:5], v[6:7], v[2:3]
	v_lshl_add_u64 v[6:7], v[24:25], 0, s[0:1]
	flat_store_dwordx2 v[24:25], v[0:1] offset:768
.LBB265_8:
	flat_store_dwordx2 v[6:7], v[4:5] offset:8
	s_endpgm
	.section	.rodata,"a",@progbits
	.p2align	6, 0x0
	.amdhsa_kernel _ZN12_GLOBAL__N_127rocblas_gemm_batched_kernelI19rocblas_complex_numIdELi16ELi16ELi64ELi64ELi4ELi64ELi4ELi4ELi64ELc78ELc84EKPKS2_S5_KPS2_EEvlllT_PT11_llSA_llS8_PT12_llPT13_lli
		.amdhsa_group_segment_fixed_size 8192
		.amdhsa_private_segment_fixed_size 0
		.amdhsa_kernarg_size 156
		.amdhsa_user_sgpr_count 2
		.amdhsa_user_sgpr_dispatch_ptr 0
		.amdhsa_user_sgpr_queue_ptr 0
		.amdhsa_user_sgpr_kernarg_segment_ptr 1
		.amdhsa_user_sgpr_dispatch_id 0
		.amdhsa_user_sgpr_kernarg_preload_length 0
		.amdhsa_user_sgpr_kernarg_preload_offset 0
		.amdhsa_user_sgpr_private_segment_size 0
		.amdhsa_uses_dynamic_stack 0
		.amdhsa_enable_private_segment 0
		.amdhsa_system_sgpr_workgroup_id_x 1
		.amdhsa_system_sgpr_workgroup_id_y 1
		.amdhsa_system_sgpr_workgroup_id_z 1
		.amdhsa_system_sgpr_workgroup_info 0
		.amdhsa_system_vgpr_workitem_id 1
		.amdhsa_next_free_vgpr 138
		.amdhsa_next_free_sgpr 52
		.amdhsa_accum_offset 140
		.amdhsa_reserve_vcc 1
		.amdhsa_float_round_mode_32 0
		.amdhsa_float_round_mode_16_64 0
		.amdhsa_float_denorm_mode_32 3
		.amdhsa_float_denorm_mode_16_64 3
		.amdhsa_dx10_clamp 1
		.amdhsa_ieee_mode 1
		.amdhsa_fp16_overflow 0
		.amdhsa_tg_split 0
		.amdhsa_exception_fp_ieee_invalid_op 0
		.amdhsa_exception_fp_denorm_src 0
		.amdhsa_exception_fp_ieee_div_zero 0
		.amdhsa_exception_fp_ieee_overflow 0
		.amdhsa_exception_fp_ieee_underflow 0
		.amdhsa_exception_fp_ieee_inexact 0
		.amdhsa_exception_int_div_zero 0
	.end_amdhsa_kernel
	.section	.text._ZN12_GLOBAL__N_127rocblas_gemm_batched_kernelI19rocblas_complex_numIdELi16ELi16ELi64ELi64ELi4ELi64ELi4ELi4ELi64ELc78ELc84EKPKS2_S5_KPS2_EEvlllT_PT11_llSA_llS8_PT12_llPT13_lli,"axG",@progbits,_ZN12_GLOBAL__N_127rocblas_gemm_batched_kernelI19rocblas_complex_numIdELi16ELi16ELi64ELi64ELi4ELi64ELi4ELi4ELi64ELc78ELc84EKPKS2_S5_KPS2_EEvlllT_PT11_llSA_llS8_PT12_llPT13_lli,comdat
.Lfunc_end265:
	.size	_ZN12_GLOBAL__N_127rocblas_gemm_batched_kernelI19rocblas_complex_numIdELi16ELi16ELi64ELi64ELi4ELi64ELi4ELi4ELi64ELc78ELc84EKPKS2_S5_KPS2_EEvlllT_PT11_llSA_llS8_PT12_llPT13_lli, .Lfunc_end265-_ZN12_GLOBAL__N_127rocblas_gemm_batched_kernelI19rocblas_complex_numIdELi16ELi16ELi64ELi64ELi4ELi64ELi4ELi4ELi64ELc78ELc84EKPKS2_S5_KPS2_EEvlllT_PT11_llSA_llS8_PT12_llPT13_lli
                                        ; -- End function
	.set _ZN12_GLOBAL__N_127rocblas_gemm_batched_kernelI19rocblas_complex_numIdELi16ELi16ELi64ELi64ELi4ELi64ELi4ELi4ELi64ELc78ELc84EKPKS2_S5_KPS2_EEvlllT_PT11_llSA_llS8_PT12_llPT13_lli.num_vgpr, 138
	.set _ZN12_GLOBAL__N_127rocblas_gemm_batched_kernelI19rocblas_complex_numIdELi16ELi16ELi64ELi64ELi4ELi64ELi4ELi4ELi64ELc78ELc84EKPKS2_S5_KPS2_EEvlllT_PT11_llSA_llS8_PT12_llPT13_lli.num_agpr, 0
	.set _ZN12_GLOBAL__N_127rocblas_gemm_batched_kernelI19rocblas_complex_numIdELi16ELi16ELi64ELi64ELi4ELi64ELi4ELi4ELi64ELc78ELc84EKPKS2_S5_KPS2_EEvlllT_PT11_llSA_llS8_PT12_llPT13_lli.numbered_sgpr, 52
	.set _ZN12_GLOBAL__N_127rocblas_gemm_batched_kernelI19rocblas_complex_numIdELi16ELi16ELi64ELi64ELi4ELi64ELi4ELi4ELi64ELc78ELc84EKPKS2_S5_KPS2_EEvlllT_PT11_llSA_llS8_PT12_llPT13_lli.num_named_barrier, 0
	.set _ZN12_GLOBAL__N_127rocblas_gemm_batched_kernelI19rocblas_complex_numIdELi16ELi16ELi64ELi64ELi4ELi64ELi4ELi4ELi64ELc78ELc84EKPKS2_S5_KPS2_EEvlllT_PT11_llSA_llS8_PT12_llPT13_lli.private_seg_size, 0
	.set _ZN12_GLOBAL__N_127rocblas_gemm_batched_kernelI19rocblas_complex_numIdELi16ELi16ELi64ELi64ELi4ELi64ELi4ELi4ELi64ELc78ELc84EKPKS2_S5_KPS2_EEvlllT_PT11_llSA_llS8_PT12_llPT13_lli.uses_vcc, 1
	.set _ZN12_GLOBAL__N_127rocblas_gemm_batched_kernelI19rocblas_complex_numIdELi16ELi16ELi64ELi64ELi4ELi64ELi4ELi4ELi64ELc78ELc84EKPKS2_S5_KPS2_EEvlllT_PT11_llSA_llS8_PT12_llPT13_lli.uses_flat_scratch, 0
	.set _ZN12_GLOBAL__N_127rocblas_gemm_batched_kernelI19rocblas_complex_numIdELi16ELi16ELi64ELi64ELi4ELi64ELi4ELi4ELi64ELc78ELc84EKPKS2_S5_KPS2_EEvlllT_PT11_llSA_llS8_PT12_llPT13_lli.has_dyn_sized_stack, 0
	.set _ZN12_GLOBAL__N_127rocblas_gemm_batched_kernelI19rocblas_complex_numIdELi16ELi16ELi64ELi64ELi4ELi64ELi4ELi4ELi64ELc78ELc84EKPKS2_S5_KPS2_EEvlllT_PT11_llSA_llS8_PT12_llPT13_lli.has_recursion, 0
	.set _ZN12_GLOBAL__N_127rocblas_gemm_batched_kernelI19rocblas_complex_numIdELi16ELi16ELi64ELi64ELi4ELi64ELi4ELi4ELi64ELc78ELc84EKPKS2_S5_KPS2_EEvlllT_PT11_llSA_llS8_PT12_llPT13_lli.has_indirect_call, 0
	.section	.AMDGPU.csdata,"",@progbits
; Kernel info:
; codeLenInByte = 6444
; TotalNumSgprs: 58
; NumVgprs: 138
; NumAgprs: 0
; TotalNumVgprs: 138
; ScratchSize: 0
; MemoryBound: 0
; FloatMode: 240
; IeeeMode: 1
; LDSByteSize: 8192 bytes/workgroup (compile time only)
; SGPRBlocks: 7
; VGPRBlocks: 17
; NumSGPRsForWavesPerEU: 58
; NumVGPRsForWavesPerEU: 138
; AccumOffset: 140
; Occupancy: 3
; WaveLimiterHint : 1
; COMPUTE_PGM_RSRC2:SCRATCH_EN: 0
; COMPUTE_PGM_RSRC2:USER_SGPR: 2
; COMPUTE_PGM_RSRC2:TRAP_HANDLER: 0
; COMPUTE_PGM_RSRC2:TGID_X_EN: 1
; COMPUTE_PGM_RSRC2:TGID_Y_EN: 1
; COMPUTE_PGM_RSRC2:TGID_Z_EN: 1
; COMPUTE_PGM_RSRC2:TIDIG_COMP_CNT: 1
; COMPUTE_PGM_RSRC3_GFX90A:ACCUM_OFFSET: 34
; COMPUTE_PGM_RSRC3_GFX90A:TG_SPLIT: 0
	.section	.text._ZN12_GLOBAL__N_127rocblas_gemm_batched_kernelI19rocblas_complex_numIdELi16ELi16ELi64ELi64ELi4ELi64ELi4ELi4ELi64ELc84ELc84EKPKS2_S5_KPS2_EEvlllT_PT11_llSA_llS8_PT12_llPT13_lli,"axG",@progbits,_ZN12_GLOBAL__N_127rocblas_gemm_batched_kernelI19rocblas_complex_numIdELi16ELi16ELi64ELi64ELi4ELi64ELi4ELi4ELi64ELc84ELc84EKPKS2_S5_KPS2_EEvlllT_PT11_llSA_llS8_PT12_llPT13_lli,comdat
	.globl	_ZN12_GLOBAL__N_127rocblas_gemm_batched_kernelI19rocblas_complex_numIdELi16ELi16ELi64ELi64ELi4ELi64ELi4ELi4ELi64ELc84ELc84EKPKS2_S5_KPS2_EEvlllT_PT11_llSA_llS8_PT12_llPT13_lli ; -- Begin function _ZN12_GLOBAL__N_127rocblas_gemm_batched_kernelI19rocblas_complex_numIdELi16ELi16ELi64ELi64ELi4ELi64ELi4ELi4ELi64ELc84ELc84EKPKS2_S5_KPS2_EEvlllT_PT11_llSA_llS8_PT12_llPT13_lli
	.p2align	8
	.type	_ZN12_GLOBAL__N_127rocblas_gemm_batched_kernelI19rocblas_complex_numIdELi16ELi16ELi64ELi64ELi4ELi64ELi4ELi4ELi64ELc84ELc84EKPKS2_S5_KPS2_EEvlllT_PT11_llSA_llS8_PT12_llPT13_lli,@function
_ZN12_GLOBAL__N_127rocblas_gemm_batched_kernelI19rocblas_complex_numIdELi16ELi16ELi64ELi64ELi4ELi64ELi4ELi4ELi64ELc84ELc84EKPKS2_S5_KPS2_EEvlllT_PT11_llSA_llS8_PT12_llPT13_lli: ; @_ZN12_GLOBAL__N_127rocblas_gemm_batched_kernelI19rocblas_complex_numIdELi16ELi16ELi64ELi64ELi4ELi64ELi4ELi4ELi64ELc84ELc84EKPKS2_S5_KPS2_EEvlllT_PT11_llSA_llS8_PT12_llPT13_lli
; %bb.0:
	s_load_dwordx16 s[36:51], s[0:1], 0x10
	s_load_dwordx16 s[8:23], s[0:1], 0x50
	s_mov_b32 s5, 0
	s_lshl_b64 s[24:25], s[4:5], 3
	s_mov_b32 s26, s3
	v_mov_b32_e32 v27, 0
	s_waitcnt lgkmcnt(0)
	s_add_u32 s4, s14, s24
	s_addc_u32 s5, s15, s25
	s_add_u32 s6, s20, s24
	s_addc_u32 s7, s21, s25
	s_load_dwordx2 s[4:5], s[4:5], 0x0
	s_ashr_i32 s3, s2, 31
	s_load_dwordx2 s[6:7], s[6:7], 0x0
	s_ashr_i32 s27, s26, 31
	v_cmp_lt_i64_e64 s[20:21], s[36:37], 1
	v_bfe_u32 v26, v0, 10, 10
	v_and_b32_e32 v24, 0x3ff, v0
	v_mov_b32_e32 v25, v27
	s_lshl_b64 s[2:3], s[2:3], 6
	s_lshl_b64 s[14:15], s[26:27], 6
	s_and_b64 vcc, exec, s[20:21]
	s_cbranch_vccnz .LBB266_3
; %bb.1:
	v_lshl_add_u32 v6, v26, 4, v24
	v_lshrrev_b32_e32 v0, 2, v6
	v_mov_b32_e32 v1, v27
	s_add_u32 s20, s42, s24
	v_lshl_add_u64 v[2:3], v[0:1], 0, s[14:15]
	v_and_b32_e32 v1, 3, v24
	s_addc_u32 s21, s43, s25
	v_mad_u64_u32 v[2:3], s[26:27], s50, v1, v[2:3]
	s_add_u32 s24, s48, s24
	v_mov_b32_e32 v4, v3
	s_addc_u32 s25, s49, s25
	v_mad_u64_u32 v[4:5], s[26:27], s51, v1, v[4:5]
	v_lshlrev_b32_e32 v1, 4, v1
	s_load_dwordx2 s[24:25], s[24:25], 0x0
	v_lshl_or_b32 v0, v0, 6, v1
	v_mov_b32_e32 v3, v4
	v_and_b32_e32 v4, 63, v6
	v_mov_b32_e32 v5, v27
	v_add_u32_e32 v111, 0x1000, v0
	v_mov_b32_e32 v0, 0x1000
	s_load_dwordx2 s[20:21], s[20:21], 0x0
	v_lshl_add_u32 v113, v26, 6, v0
	v_lshl_add_u64 v[0:1], s[2:3], 0, v[4:5]
	v_lshlrev_b32_e32 v7, 4, v4
	v_mul_lo_u32 v4, s45, v0
	v_mul_lo_u32 v5, s44, v1
	v_mad_u64_u32 v[0:1], s[26:27], s44, v0, 0
	v_lshrrev_b32_e32 v6, 6, v6
	v_add3_u32 v1, v1, v5, v4
	s_lshl_b64 s[26:27], s[46:47], 4
	s_lshl_b64 s[8:9], s[8:9], 4
	v_lshl_add_u64 v[0:1], v[0:1], 4, s[26:27]
	v_lshlrev_b32_e32 v4, 4, v6
	v_mov_b32_e32 v5, v27
	s_waitcnt lgkmcnt(0)
	s_add_u32 s8, s24, s8
	v_lshl_add_u64 v[0:1], v[0:1], 0, v[4:5]
	s_addc_u32 s9, s25, s9
	v_lshl_or_b32 v110, v6, 10, v7
	v_lshlrev_b32_e32 v112, 4, v24
	v_lshl_add_u64 v[28:29], s[20:21], 0, v[0:1]
	v_lshl_add_u64 v[30:31], v[2:3], 4, s[8:9]
	s_lshl_b64 s[8:9], s[50:51], 6
	s_mov_b64 s[20:21], 0
	v_mov_b64_e32 v[10:11], 0
	v_mov_b64_e32 v[32:33], s[36:37]
	;; [unrolled: 1-line block ×33, first 2 shown]
.LBB266_2:                              ; =>This Inner Loop Header: Depth=1
	flat_load_dwordx4 v[0:3], v[28:29]
	s_add_u32 s20, s20, 4
	s_addc_u32 s21, s21, 0
	v_cmp_lt_i64_e32 vcc, s[20:21], v[32:33]
	v_lshl_add_u64 v[28:29], v[28:29], 0, 64
	s_and_b64 vcc, exec, vcc
	s_waitcnt vmcnt(0) lgkmcnt(0)
	ds_write2_b64 v110, v[0:1], v[2:3] offset1:1
	flat_load_dwordx4 v[0:3], v[30:31]
	v_lshl_add_u64 v[30:31], v[30:31], 0, s[8:9]
	s_waitcnt vmcnt(0) lgkmcnt(0)
	ds_write2_b64 v111, v[0:1], v[2:3] offset1:1
	s_waitcnt lgkmcnt(0)
	s_barrier
	ds_read_b128 v[82:85], v113
	ds_read_b128 v[114:117], v113 offset:16
	ds_read_b128 v[4:7], v113 offset:32
	;; [unrolled: 1-line block ×3, first 2 shown]
	ds_read_b128 v[118:121], v112
	s_waitcnt lgkmcnt(0)
	v_mul_f64 v[86:87], v[84:85], v[120:121]
	v_mul_f64 v[88:89], v[82:83], v[120:121]
	v_fma_f64 v[86:87], v[82:83], v[118:119], -v[86:87]
	v_fmac_f64_e32 v[88:89], v[84:85], v[118:119]
	v_add_f64 v[122:123], v[54:55], v[86:87]
	v_add_f64 v[124:125], v[88:89], v[56:57]
	ds_read_b128 v[54:57], v112 offset:256
	s_waitcnt lgkmcnt(0)
	v_mul_f64 v[86:87], v[84:85], v[56:57]
	v_mul_f64 v[88:89], v[82:83], v[56:57]
	v_fma_f64 v[86:87], v[82:83], v[54:55], -v[86:87]
	v_fmac_f64_e32 v[88:89], v[84:85], v[54:55]
	v_add_f64 v[126:127], v[38:39], v[86:87]
	v_add_f64 v[128:129], v[88:89], v[40:41]
	ds_read_b128 v[38:41], v112 offset:512
	s_waitcnt lgkmcnt(0)
	v_mul_f64 v[86:87], v[84:85], v[40:41]
	v_mul_f64 v[88:89], v[82:83], v[40:41]
	v_fma_f64 v[86:87], v[82:83], v[38:39], -v[86:87]
	v_fmac_f64_e32 v[88:89], v[84:85], v[38:39]
	v_add_f64 v[130:131], v[34:35], v[86:87]
	v_add_f64 v[132:133], v[88:89], v[36:37]
	ds_read_b128 v[34:37], v112 offset:768
	s_waitcnt lgkmcnt(0)
	v_mul_f64 v[86:87], v[84:85], v[36:37]
	v_fma_f64 v[86:87], v[82:83], v[34:35], -v[86:87]
	v_mul_f64 v[82:83], v[82:83], v[36:37]
	v_fmac_f64_e32 v[82:83], v[84:85], v[34:35]
	v_add_f64 v[134:135], v[20:21], v[86:87]
	v_add_f64 v[136:137], v[82:83], v[22:23]
	ds_read_b128 v[20:23], v113 offset:1024
	s_waitcnt lgkmcnt(0)
	v_mul_f64 v[82:83], v[22:23], v[120:121]
	v_fma_f64 v[82:83], v[20:21], v[118:119], -v[82:83]
	v_add_f64 v[74:75], v[74:75], v[82:83]
	v_mul_f64 v[82:83], v[22:23], v[56:57]
	v_mul_f64 v[84:85], v[20:21], v[120:121]
	v_fma_f64 v[82:83], v[20:21], v[54:55], -v[82:83]
	v_fmac_f64_e32 v[84:85], v[22:23], v[118:119]
	v_add_f64 v[98:99], v[66:67], v[82:83]
	v_mul_f64 v[66:67], v[22:23], v[40:41]
	v_add_f64 v[76:77], v[84:85], v[76:77]
	v_mul_f64 v[84:85], v[20:21], v[56:57]
	v_fma_f64 v[66:67], v[20:21], v[38:39], -v[66:67]
	v_fmac_f64_e32 v[84:85], v[22:23], v[54:55]
	v_add_f64 v[102:103], v[58:59], v[66:67]
	v_mul_f64 v[58:59], v[22:23], v[36:37]
	v_add_f64 v[100:101], v[84:85], v[68:69]
	v_mul_f64 v[68:69], v[20:21], v[40:41]
	v_fma_f64 v[58:59], v[20:21], v[34:35], -v[58:59]
	v_mul_f64 v[20:21], v[20:21], v[36:37]
	v_fmac_f64_e32 v[20:21], v[22:23], v[34:35]
	v_fmac_f64_e32 v[68:69], v[22:23], v[38:39]
	v_add_f64 v[108:109], v[20:21], v[50:51]
	ds_read_b128 v[20:23], v113 offset:2048
	v_add_f64 v[106:107], v[46:47], v[58:59]
	v_add_f64 v[104:105], v[68:69], v[62:63]
	s_waitcnt lgkmcnt(0)
	v_mul_f64 v[46:47], v[22:23], v[120:121]
	v_fma_f64 v[46:47], v[20:21], v[118:119], -v[46:47]
	v_add_f64 v[82:83], v[70:71], v[46:47]
	v_mul_f64 v[46:47], v[22:23], v[56:57]
	v_mul_f64 v[50:51], v[20:21], v[120:121]
	v_fma_f64 v[46:47], v[20:21], v[54:55], -v[46:47]
	v_fmac_f64_e32 v[50:51], v[22:23], v[118:119]
	v_add_f64 v[86:87], v[60:61], v[46:47]
	v_mul_f64 v[46:47], v[22:23], v[40:41]
	v_add_f64 v[84:85], v[50:51], v[72:73]
	v_mul_f64 v[50:51], v[20:21], v[56:57]
	v_fma_f64 v[46:47], v[20:21], v[38:39], -v[46:47]
	v_fmac_f64_e32 v[50:51], v[22:23], v[54:55]
	v_add_f64 v[90:91], v[48:49], v[46:47]
	v_mul_f64 v[46:47], v[22:23], v[36:37]
	v_add_f64 v[88:89], v[50:51], v[64:65]
	v_mul_f64 v[50:51], v[20:21], v[40:41]
	v_fma_f64 v[46:47], v[20:21], v[34:35], -v[46:47]
	v_mul_f64 v[20:21], v[20:21], v[36:37]
	v_fmac_f64_e32 v[20:21], v[22:23], v[34:35]
	v_fmac_f64_e32 v[50:51], v[22:23], v[38:39]
	v_add_f64 v[96:97], v[20:21], v[44:45]
	ds_read_b128 v[20:23], v113 offset:3072
	v_add_f64 v[94:95], v[42:43], v[46:47]
	v_add_f64 v[92:93], v[50:51], v[52:53]
	s_waitcnt lgkmcnt(0)
	v_mul_f64 v[42:43], v[22:23], v[120:121]
	v_mul_f64 v[44:45], v[20:21], v[120:121]
	v_fma_f64 v[42:43], v[20:21], v[118:119], -v[42:43]
	v_fmac_f64_e32 v[44:45], v[22:23], v[118:119]
	v_add_f64 v[62:63], v[78:79], v[42:43]
	v_add_f64 v[64:65], v[44:45], v[80:81]
	v_mul_f64 v[42:43], v[22:23], v[56:57]
	v_mul_f64 v[44:45], v[20:21], v[56:57]
	v_fma_f64 v[42:43], v[20:21], v[54:55], -v[42:43]
	v_fmac_f64_e32 v[44:45], v[22:23], v[54:55]
	v_add_f64 v[58:59], v[16:17], v[42:43]
	v_add_f64 v[60:61], v[44:45], v[18:19]
	;; [unrolled: 6-line block ×3, first 2 shown]
	v_mul_f64 v[12:13], v[22:23], v[36:37]
	v_mul_f64 v[14:15], v[20:21], v[36:37]
	v_fma_f64 v[12:13], v[20:21], v[34:35], -v[12:13]
	v_fmac_f64_e32 v[14:15], v[22:23], v[34:35]
	ds_read_b128 v[20:23], v112 offset:1024
	ds_read_b128 v[16:19], v112 offset:1280
	v_add_f64 v[50:51], v[8:9], v[12:13]
	v_add_f64 v[52:53], v[14:15], v[10:11]
	ds_read_b128 v[12:15], v112 offset:1536
	ds_read_b128 v[78:81], v113 offset:1040
	s_waitcnt lgkmcnt(3)
	v_mul_f64 v[8:9], v[116:117], v[22:23]
	v_mul_f64 v[10:11], v[114:115], v[22:23]
	v_fma_f64 v[8:9], v[114:115], v[20:21], -v[8:9]
	v_fmac_f64_e32 v[10:11], v[116:117], v[20:21]
	v_add_f64 v[46:47], v[122:123], v[8:9]
	v_add_f64 v[48:49], v[10:11], v[124:125]
	s_waitcnt lgkmcnt(2)
	v_mul_f64 v[8:9], v[116:117], v[18:19]
	v_mul_f64 v[10:11], v[114:115], v[18:19]
	v_fma_f64 v[8:9], v[114:115], v[16:17], -v[8:9]
	v_fmac_f64_e32 v[10:11], v[116:117], v[16:17]
	v_add_f64 v[42:43], v[126:127], v[8:9]
	v_add_f64 v[44:45], v[10:11], v[128:129]
	;; [unrolled: 7-line block ×3, first 2 shown]
	ds_read_b128 v[8:11], v112 offset:1792
	s_waitcnt lgkmcnt(1)
	v_mul_f64 v[70:71], v[80:81], v[18:19]
	v_mul_f64 v[72:73], v[78:79], v[18:19]
	;; [unrolled: 1-line block ×4, first 2 shown]
	v_fma_f64 v[70:71], v[78:79], v[16:17], -v[70:71]
	v_fmac_f64_e32 v[72:73], v[80:81], v[16:17]
	v_fma_f64 v[66:67], v[78:79], v[20:21], -v[66:67]
	v_fmac_f64_e32 v[68:69], v[80:81], v[20:21]
	v_add_f64 v[70:71], v[98:99], v[70:71]
	v_add_f64 v[72:73], v[72:73], v[100:101]
	s_waitcnt lgkmcnt(0)
	v_mul_f64 v[98:99], v[80:81], v[10:11]
	v_mul_f64 v[100:101], v[78:79], v[10:11]
	v_add_f64 v[66:67], v[74:75], v[66:67]
	v_add_f64 v[68:69], v[68:69], v[76:77]
	v_mul_f64 v[74:75], v[80:81], v[14:15]
	v_mul_f64 v[76:77], v[78:79], v[14:15]
	v_fma_f64 v[98:99], v[78:79], v[8:9], -v[98:99]
	v_fmac_f64_e32 v[100:101], v[80:81], v[8:9]
	v_fma_f64 v[74:75], v[78:79], v[12:13], -v[74:75]
	v_fmac_f64_e32 v[76:77], v[80:81], v[12:13]
	v_add_f64 v[78:79], v[106:107], v[98:99]
	v_add_f64 v[80:81], v[100:101], v[108:109]
	ds_read_b128 v[98:101], v113 offset:2064
	v_add_f64 v[74:75], v[102:103], v[74:75]
	v_add_f64 v[76:77], v[76:77], v[104:105]
	v_mul_f64 v[34:35], v[116:117], v[10:11]
	v_mul_f64 v[36:37], v[114:115], v[10:11]
	s_waitcnt lgkmcnt(0)
	v_mul_f64 v[102:103], v[100:101], v[22:23]
	v_mul_f64 v[104:105], v[98:99], v[22:23]
	v_fma_f64 v[102:103], v[98:99], v[20:21], -v[102:103]
	v_fmac_f64_e32 v[104:105], v[100:101], v[20:21]
	v_add_f64 v[82:83], v[82:83], v[102:103]
	v_add_f64 v[84:85], v[104:105], v[84:85]
	v_mul_f64 v[102:103], v[100:101], v[18:19]
	v_mul_f64 v[104:105], v[98:99], v[18:19]
	v_fma_f64 v[102:103], v[98:99], v[16:17], -v[102:103]
	v_fmac_f64_e32 v[104:105], v[100:101], v[16:17]
	v_add_f64 v[86:87], v[86:87], v[102:103]
	v_add_f64 v[88:89], v[104:105], v[88:89]
	;; [unrolled: 6-line block ×4, first 2 shown]
	ds_read_b128 v[94:97], v113 offset:3088
	v_fma_f64 v[34:35], v[114:115], v[8:9], -v[34:35]
	v_fmac_f64_e32 v[36:37], v[116:117], v[8:9]
	v_add_f64 v[36:37], v[36:37], v[136:137]
	v_add_f64 v[34:35], v[134:135], v[34:35]
	s_waitcnt lgkmcnt(0)
	v_mul_f64 v[102:103], v[96:97], v[22:23]
	v_mul_f64 v[22:23], v[94:95], v[22:23]
	v_fma_f64 v[102:103], v[94:95], v[20:21], -v[102:103]
	v_fmac_f64_e32 v[22:23], v[96:97], v[20:21]
	v_mul_f64 v[20:21], v[96:97], v[18:19]
	v_mul_f64 v[18:19], v[94:95], v[18:19]
	v_fma_f64 v[20:21], v[94:95], v[16:17], -v[20:21]
	v_fmac_f64_e32 v[18:19], v[96:97], v[16:17]
	;; [unrolled: 4-line block ×3, first 2 shown]
	v_mul_f64 v[12:13], v[96:97], v[10:11]
	v_mul_f64 v[10:11], v[94:95], v[10:11]
	v_fmac_f64_e32 v[10:11], v[96:97], v[8:9]
	v_fma_f64 v[12:13], v[94:95], v[8:9], -v[12:13]
	v_add_f64 v[116:117], v[10:11], v[52:53]
	ds_read_b128 v[8:11], v112 offset:2048
	v_add_f64 v[56:57], v[14:15], v[56:57]
	v_add_f64 v[114:115], v[50:51], v[12:13]
	v_add_f64 v[108:109], v[18:19], v[60:61]
	v_add_f64 v[54:55], v[54:55], v[16:17]
	s_waitcnt lgkmcnt(0)
	v_mul_f64 v[12:13], v[6:7], v[10:11]
	v_mul_f64 v[14:15], v[4:5], v[10:11]
	v_fma_f64 v[12:13], v[4:5], v[8:9], -v[12:13]
	v_fmac_f64_e32 v[14:15], v[6:7], v[8:9]
	v_add_f64 v[118:119], v[46:47], v[12:13]
	v_add_f64 v[120:121], v[14:15], v[48:49]
	ds_read_b128 v[12:15], v112 offset:2304
	v_add_f64 v[104:105], v[22:23], v[64:65]
	v_add_f64 v[106:107], v[58:59], v[20:21]
	;; [unrolled: 1-line block ×3, first 2 shown]
	s_waitcnt lgkmcnt(0)
	v_mul_f64 v[16:17], v[6:7], v[14:15]
	v_mul_f64 v[18:19], v[4:5], v[14:15]
	v_fma_f64 v[16:17], v[4:5], v[12:13], -v[16:17]
	v_fmac_f64_e32 v[18:19], v[6:7], v[12:13]
	v_add_f64 v[122:123], v[42:43], v[16:17]
	v_add_f64 v[124:125], v[18:19], v[44:45]
	ds_read_b128 v[16:19], v112 offset:2560
	s_waitcnt lgkmcnt(0)
	v_mul_f64 v[20:21], v[6:7], v[18:19]
	v_mul_f64 v[22:23], v[4:5], v[18:19]
	v_fma_f64 v[20:21], v[4:5], v[16:17], -v[20:21]
	v_fmac_f64_e32 v[22:23], v[6:7], v[16:17]
	v_add_f64 v[126:127], v[38:39], v[20:21]
	v_add_f64 v[128:129], v[22:23], v[40:41]
	ds_read_b128 v[20:23], v112 offset:2816
	s_waitcnt lgkmcnt(0)
	v_mul_f64 v[38:39], v[6:7], v[22:23]
	v_fma_f64 v[38:39], v[4:5], v[20:21], -v[38:39]
	v_mul_f64 v[4:5], v[4:5], v[22:23]
	v_fmac_f64_e32 v[4:5], v[6:7], v[20:21]
	v_add_f64 v[132:133], v[4:5], v[36:37]
	ds_read_b128 v[4:7], v113 offset:1056
	v_add_f64 v[130:131], v[34:35], v[38:39]
	s_waitcnt lgkmcnt(0)
	v_mul_f64 v[34:35], v[6:7], v[10:11]
	v_fma_f64 v[34:35], v[4:5], v[8:9], -v[34:35]
	v_add_f64 v[46:47], v[66:67], v[34:35]
	v_mul_f64 v[34:35], v[6:7], v[14:15]
	v_mul_f64 v[36:37], v[4:5], v[10:11]
	v_fma_f64 v[34:35], v[4:5], v[12:13], -v[34:35]
	v_fmac_f64_e32 v[36:37], v[6:7], v[8:9]
	v_add_f64 v[58:59], v[70:71], v[34:35]
	v_mul_f64 v[34:35], v[6:7], v[18:19]
	v_add_f64 v[50:51], v[36:37], v[68:69]
	v_mul_f64 v[36:37], v[4:5], v[14:15]
	v_fma_f64 v[34:35], v[4:5], v[16:17], -v[34:35]
	v_fmac_f64_e32 v[36:37], v[6:7], v[12:13]
	v_add_f64 v[62:63], v[74:75], v[34:35]
	v_mul_f64 v[34:35], v[6:7], v[22:23]
	v_add_f64 v[60:61], v[36:37], v[72:73]
	v_mul_f64 v[36:37], v[4:5], v[18:19]
	v_fma_f64 v[34:35], v[4:5], v[20:21], -v[34:35]
	v_mul_f64 v[4:5], v[4:5], v[22:23]
	v_fmac_f64_e32 v[4:5], v[6:7], v[20:21]
	v_fmac_f64_e32 v[36:37], v[6:7], v[16:17]
	v_add_f64 v[72:73], v[4:5], v[80:81]
	ds_read_b128 v[4:7], v113 offset:2080
	v_add_f64 v[70:71], v[78:79], v[34:35]
	v_add_f64 v[64:65], v[36:37], v[76:77]
	s_waitcnt lgkmcnt(0)
	v_mul_f64 v[34:35], v[6:7], v[10:11]
	v_fma_f64 v[34:35], v[4:5], v[8:9], -v[34:35]
	v_add_f64 v[42:43], v[82:83], v[34:35]
	v_mul_f64 v[34:35], v[6:7], v[14:15]
	v_mul_f64 v[36:37], v[4:5], v[10:11]
	v_fma_f64 v[34:35], v[4:5], v[12:13], -v[34:35]
	v_fmac_f64_e32 v[36:37], v[6:7], v[8:9]
	v_add_f64 v[48:49], v[86:87], v[34:35]
	v_mul_f64 v[34:35], v[6:7], v[18:19]
	v_add_f64 v[44:45], v[36:37], v[84:85]
	v_mul_f64 v[36:37], v[4:5], v[14:15]
	v_fma_f64 v[34:35], v[4:5], v[16:17], -v[34:35]
	v_fmac_f64_e32 v[36:37], v[6:7], v[12:13]
	v_add_f64 v[94:95], v[90:91], v[34:35]
	v_mul_f64 v[34:35], v[6:7], v[22:23]
	v_add_f64 v[52:53], v[36:37], v[88:89]
	v_mul_f64 v[36:37], v[4:5], v[18:19]
	v_fma_f64 v[34:35], v[4:5], v[20:21], -v[34:35]
	v_mul_f64 v[4:5], v[4:5], v[22:23]
	v_fmac_f64_e32 v[4:5], v[6:7], v[20:21]
	v_fmac_f64_e32 v[36:37], v[6:7], v[16:17]
	v_add_f64 v[100:101], v[4:5], v[100:101]
	ds_read_b128 v[4:7], v113 offset:3104
	v_add_f64 v[98:99], v[98:99], v[34:35]
	v_add_f64 v[96:97], v[36:37], v[92:93]
	s_waitcnt lgkmcnt(0)
	v_mul_f64 v[34:35], v[6:7], v[10:11]
	v_mul_f64 v[10:11], v[4:5], v[10:11]
	v_fmac_f64_e32 v[10:11], v[6:7], v[8:9]
	v_fma_f64 v[34:35], v[4:5], v[8:9], -v[34:35]
	v_add_f64 v[80:81], v[10:11], v[104:105]
	v_mul_f64 v[8:9], v[6:7], v[14:15]
	v_mul_f64 v[10:11], v[4:5], v[14:15]
	v_fma_f64 v[8:9], v[4:5], v[12:13], -v[8:9]
	v_fmac_f64_e32 v[10:11], v[6:7], v[12:13]
	v_add_f64 v[90:91], v[106:107], v[8:9]
	v_add_f64 v[92:93], v[10:11], v[108:109]
	v_mul_f64 v[8:9], v[6:7], v[18:19]
	v_mul_f64 v[10:11], v[4:5], v[18:19]
	v_fma_f64 v[8:9], v[4:5], v[16:17], -v[8:9]
	v_fmac_f64_e32 v[10:11], v[6:7], v[16:17]
	ds_read_b128 v[16:19], v112 offset:3072
	ds_read_b128 v[12:15], v112 offset:3328
	v_add_f64 v[86:87], v[54:55], v[8:9]
	v_mul_f64 v[8:9], v[6:7], v[22:23]
	v_fma_f64 v[8:9], v[4:5], v[20:21], -v[8:9]
	v_mul_f64 v[4:5], v[4:5], v[22:23]
	v_add_f64 v[88:89], v[10:11], v[56:57]
	v_fmac_f64_e32 v[4:5], v[6:7], v[20:21]
	v_add_f64 v[82:83], v[114:115], v[8:9]
	ds_read_b128 v[8:11], v112 offset:3584
	v_add_f64 v[84:85], v[4:5], v[116:117]
	s_waitcnt lgkmcnt(2)
	v_mul_f64 v[4:5], v[2:3], v[18:19]
	v_mul_f64 v[6:7], v[0:1], v[18:19]
	v_fma_f64 v[4:5], v[0:1], v[16:17], -v[4:5]
	v_fmac_f64_e32 v[6:7], v[2:3], v[16:17]
	v_add_f64 v[54:55], v[118:119], v[4:5]
	v_add_f64 v[56:57], v[6:7], v[120:121]
	s_waitcnt lgkmcnt(1)
	v_mul_f64 v[4:5], v[2:3], v[14:15]
	v_mul_f64 v[6:7], v[0:1], v[14:15]
	v_fma_f64 v[4:5], v[0:1], v[12:13], -v[4:5]
	v_fmac_f64_e32 v[6:7], v[2:3], v[12:13]
	v_add_f64 v[38:39], v[122:123], v[4:5]
	;; [unrolled: 7-line block ×3, first 2 shown]
	v_add_f64 v[34:35], v[126:127], v[4:5]
	v_add_f64 v[36:37], v[6:7], v[128:129]
	ds_read_b128 v[4:7], v112 offset:3840
	s_waitcnt lgkmcnt(0)
	v_mul_f64 v[20:21], v[2:3], v[6:7]
	v_fma_f64 v[20:21], v[0:1], v[4:5], -v[20:21]
	v_mul_f64 v[0:1], v[0:1], v[6:7]
	v_fmac_f64_e32 v[0:1], v[2:3], v[4:5]
	v_add_f64 v[22:23], v[0:1], v[132:133]
	ds_read_b128 v[0:3], v113 offset:1072
	v_add_f64 v[20:21], v[130:131], v[20:21]
	s_waitcnt lgkmcnt(0)
	v_mul_f64 v[66:67], v[2:3], v[18:19]
	v_fma_f64 v[66:67], v[0:1], v[16:17], -v[66:67]
	v_add_f64 v[74:75], v[46:47], v[66:67]
	v_mul_f64 v[46:47], v[2:3], v[14:15]
	v_mul_f64 v[68:69], v[0:1], v[18:19]
	v_fma_f64 v[46:47], v[0:1], v[12:13], -v[46:47]
	v_fmac_f64_e32 v[68:69], v[2:3], v[16:17]
	v_add_f64 v[66:67], v[58:59], v[46:47]
	v_mul_f64 v[46:47], v[2:3], v[10:11]
	v_add_f64 v[76:77], v[68:69], v[50:51]
	v_mul_f64 v[50:51], v[0:1], v[14:15]
	v_fma_f64 v[46:47], v[0:1], v[8:9], -v[46:47]
	v_fmac_f64_e32 v[50:51], v[2:3], v[12:13]
	v_add_f64 v[58:59], v[62:63], v[46:47]
	v_mul_f64 v[46:47], v[2:3], v[6:7]
	v_add_f64 v[68:69], v[50:51], v[60:61]
	v_mul_f64 v[50:51], v[0:1], v[10:11]
	v_fma_f64 v[46:47], v[0:1], v[4:5], -v[46:47]
	v_mul_f64 v[0:1], v[0:1], v[6:7]
	v_fmac_f64_e32 v[50:51], v[2:3], v[8:9]
	v_fmac_f64_e32 v[0:1], v[2:3], v[4:5]
	v_add_f64 v[62:63], v[50:51], v[64:65]
	v_add_f64 v[50:51], v[0:1], v[72:73]
	ds_read_b128 v[0:3], v113 offset:2096
	v_add_f64 v[46:47], v[70:71], v[46:47]
	s_waitcnt lgkmcnt(0)
	v_mul_f64 v[60:61], v[2:3], v[18:19]
	v_fma_f64 v[60:61], v[0:1], v[16:17], -v[60:61]
	v_add_f64 v[70:71], v[42:43], v[60:61]
	v_mul_f64 v[42:43], v[2:3], v[14:15]
	v_mul_f64 v[64:65], v[0:1], v[18:19]
	v_fma_f64 v[42:43], v[0:1], v[12:13], -v[42:43]
	v_fmac_f64_e32 v[64:65], v[2:3], v[16:17]
	v_add_f64 v[60:61], v[48:49], v[42:43]
	v_mul_f64 v[42:43], v[2:3], v[10:11]
	v_add_f64 v[72:73], v[64:65], v[44:45]
	v_mul_f64 v[44:45], v[0:1], v[14:15]
	v_fma_f64 v[42:43], v[0:1], v[8:9], -v[42:43]
	v_fmac_f64_e32 v[44:45], v[2:3], v[12:13]
	v_add_f64 v[48:49], v[94:95], v[42:43]
	v_mul_f64 v[42:43], v[2:3], v[6:7]
	v_add_f64 v[64:65], v[44:45], v[52:53]
	v_mul_f64 v[44:45], v[0:1], v[10:11]
	v_fma_f64 v[42:43], v[0:1], v[4:5], -v[42:43]
	v_mul_f64 v[0:1], v[0:1], v[6:7]
	v_fmac_f64_e32 v[44:45], v[2:3], v[8:9]
	v_fmac_f64_e32 v[0:1], v[2:3], v[4:5]
	v_add_f64 v[52:53], v[44:45], v[96:97]
	v_add_f64 v[44:45], v[0:1], v[100:101]
	ds_read_b128 v[0:3], v113 offset:3120
	v_add_f64 v[42:43], v[98:99], v[42:43]
	s_waitcnt lgkmcnt(0)
	s_barrier
	v_mul_f64 v[94:95], v[2:3], v[18:19]
	v_mul_f64 v[18:19], v[0:1], v[18:19]
	v_fma_f64 v[94:95], v[0:1], v[16:17], -v[94:95]
	v_fmac_f64_e32 v[18:19], v[2:3], v[16:17]
	v_mul_f64 v[16:17], v[2:3], v[14:15]
	v_mul_f64 v[14:15], v[0:1], v[14:15]
	v_fma_f64 v[16:17], v[0:1], v[12:13], -v[16:17]
	v_fmac_f64_e32 v[14:15], v[2:3], v[12:13]
	;; [unrolled: 4-line block ×3, first 2 shown]
	v_mul_f64 v[8:9], v[2:3], v[6:7]
	v_fma_f64 v[8:9], v[0:1], v[4:5], -v[8:9]
	v_mul_f64 v[0:1], v[0:1], v[6:7]
	v_fmac_f64_e32 v[0:1], v[2:3], v[4:5]
	v_add_f64 v[78:79], v[78:79], v[94:95]
	v_add_f64 v[80:81], v[18:19], v[80:81]
	;; [unrolled: 1-line block ×8, first 2 shown]
	s_cbranch_vccnz .LBB266_2
	s_branch .LBB266_4
.LBB266_3:
	v_mov_b64_e32 v[54:55], 0
	v_mov_b64_e32 v[56:57], 0
	;; [unrolled: 1-line block ×32, first 2 shown]
.LBB266_4:
	s_load_dwordx2 s[0:1], s[0:1], 0x90
	v_lshl_add_u64 v[2:3], s[14:15], 0, v[26:27]
	v_cmp_neq_f64_e64 s[14:15], s[10:11], 0
	v_cmp_neq_f64_e64 s[20:21], s[12:13], 0
	s_mov_b64 s[8:9], 0
	s_waitcnt lgkmcnt(0)
	s_lshl_b64 s[0:1], s[0:1], 4
	s_add_u32 s0, s6, s0
	s_addc_u32 s1, s7, s1
	s_or_b64 s[6:7], s[14:15], s[20:21]
	v_lshl_add_u64 v[0:1], s[2:3], 0, v[24:25]
	s_and_b64 vcc, exec, s[6:7]
	s_cbranch_vccnz .LBB266_6
; %bb.5:
	v_mul_lo_u32 v6, v3, s22
	v_mul_lo_u32 v7, v2, s23
	v_mad_u64_u32 v[4:5], s[2:3], v2, s22, 0
	v_add3_u32 v5, v5, v7, v6
	v_lshl_add_u64 v[24:25], v[4:5], 4, s[0:1]
	v_mul_f64 v[4:5], s[40:41], v[56:57]
	v_mul_f64 v[6:7], s[38:39], v[56:57]
	v_lshlrev_b64 v[26:27], 4, v[0:1]
	v_fma_f64 v[4:5], s[38:39], v[54:55], -v[4:5]
	v_fmac_f64_e32 v[6:7], s[40:41], v[54:55]
	v_lshl_add_u64 v[28:29], v[24:25], 0, v[26:27]
	flat_store_dwordx4 v[28:29], v[4:7]
	s_lshl_b64 s[2:3], s[22:23], 8
	v_lshl_add_u64 v[24:25], v[24:25], 0, s[2:3]
	v_mul_f64 v[4:5], s[40:41], v[40:41]
	v_mul_f64 v[6:7], s[38:39], v[40:41]
	v_fma_f64 v[4:5], s[38:39], v[38:39], -v[4:5]
	v_fmac_f64_e32 v[6:7], s[40:41], v[38:39]
	flat_store_dwordx4 v[28:29], v[4:7] offset:256
	s_nop 1
	v_mul_f64 v[4:5], s[40:41], v[36:37]
	v_mul_f64 v[6:7], s[38:39], v[36:37]
	v_fma_f64 v[4:5], s[38:39], v[34:35], -v[4:5]
	v_fmac_f64_e32 v[6:7], s[40:41], v[34:35]
	flat_store_dwordx4 v[28:29], v[4:7] offset:512
	s_nop 1
	v_mul_f64 v[4:5], s[40:41], v[22:23]
	v_mul_f64 v[6:7], s[38:39], v[22:23]
	v_fma_f64 v[4:5], s[38:39], v[20:21], -v[4:5]
	v_fmac_f64_e32 v[6:7], s[40:41], v[20:21]
	flat_store_dwordx4 v[28:29], v[4:7] offset:768
	v_lshl_add_u64 v[28:29], v[24:25], 0, v[26:27]
	v_lshl_add_u64 v[24:25], v[24:25], 0, s[2:3]
	v_mul_f64 v[4:5], s[40:41], v[76:77]
	v_mul_f64 v[6:7], s[38:39], v[76:77]
	v_fma_f64 v[4:5], s[38:39], v[74:75], -v[4:5]
	v_fmac_f64_e32 v[6:7], s[40:41], v[74:75]
	flat_store_dwordx4 v[28:29], v[4:7]
	s_nop 1
	v_mul_f64 v[4:5], s[40:41], v[68:69]
	v_mul_f64 v[6:7], s[38:39], v[68:69]
	v_fma_f64 v[4:5], s[38:39], v[66:67], -v[4:5]
	v_fmac_f64_e32 v[6:7], s[40:41], v[66:67]
	flat_store_dwordx4 v[28:29], v[4:7] offset:256
	s_nop 1
	v_mul_f64 v[4:5], s[40:41], v[62:63]
	v_mul_f64 v[6:7], s[38:39], v[62:63]
	v_fma_f64 v[4:5], s[38:39], v[58:59], -v[4:5]
	v_fmac_f64_e32 v[6:7], s[40:41], v[58:59]
	flat_store_dwordx4 v[28:29], v[4:7] offset:512
	;; [unrolled: 6-line block ×3, first 2 shown]
	v_lshl_add_u64 v[28:29], v[24:25], 0, v[26:27]
	v_lshl_add_u64 v[24:25], v[24:25], 0, s[2:3]
	v_mul_f64 v[4:5], s[40:41], v[72:73]
	v_mul_f64 v[6:7], s[38:39], v[72:73]
	v_fma_f64 v[4:5], s[38:39], v[70:71], -v[4:5]
	v_fmac_f64_e32 v[6:7], s[40:41], v[70:71]
	flat_store_dwordx4 v[28:29], v[4:7]
	v_lshl_add_u64 v[24:25], v[24:25], 0, v[26:27]
	s_mov_b64 s[2:3], 0x300
	v_mul_f64 v[4:5], s[40:41], v[64:65]
	v_mul_f64 v[6:7], s[38:39], v[64:65]
	v_fma_f64 v[4:5], s[38:39], v[60:61], -v[4:5]
	v_fmac_f64_e32 v[6:7], s[40:41], v[60:61]
	flat_store_dwordx4 v[28:29], v[4:7] offset:256
	s_nop 1
	v_mul_f64 v[4:5], s[40:41], v[52:53]
	v_mul_f64 v[6:7], s[38:39], v[52:53]
	v_fma_f64 v[4:5], s[38:39], v[48:49], -v[4:5]
	v_fmac_f64_e32 v[6:7], s[40:41], v[48:49]
	flat_store_dwordx4 v[28:29], v[4:7] offset:512
	s_nop 1
	v_mul_f64 v[4:5], s[40:41], v[44:45]
	v_mul_f64 v[6:7], s[38:39], v[44:45]
	v_fma_f64 v[4:5], s[38:39], v[42:43], -v[4:5]
	v_fmac_f64_e32 v[6:7], s[40:41], v[42:43]
	flat_store_dwordx4 v[28:29], v[4:7] offset:768
	s_nop 1
	v_mul_f64 v[4:5], s[40:41], v[80:81]
	v_mul_f64 v[6:7], s[38:39], v[80:81]
	v_fma_f64 v[4:5], s[38:39], v[78:79], -v[4:5]
	v_fmac_f64_e32 v[6:7], s[40:41], v[78:79]
	flat_store_dwordx4 v[24:25], v[4:7]
	s_nop 1
	v_mul_f64 v[4:5], s[40:41], v[18:19]
	v_mul_f64 v[6:7], s[38:39], v[18:19]
	v_fma_f64 v[4:5], s[38:39], v[16:17], -v[4:5]
	v_fmac_f64_e32 v[6:7], s[40:41], v[16:17]
	flat_store_dwordx4 v[24:25], v[4:7] offset:256
	s_nop 1
	v_mul_f64 v[4:5], s[40:41], v[14:15]
	v_mul_f64 v[6:7], s[38:39], v[14:15]
	v_fma_f64 v[4:5], s[38:39], v[12:13], -v[4:5]
	v_fmac_f64_e32 v[6:7], s[40:41], v[12:13]
	flat_store_dwordx4 v[24:25], v[4:7] offset:512
	s_nop 1
	v_mul_f64 v[4:5], s[40:41], v[10:11]
	v_fma_f64 v[26:27], s[38:39], v[8:9], -v[4:5]
	v_mul_f64 v[4:5], s[38:39], v[10:11]
	v_fmac_f64_e32 v[4:5], s[40:41], v[8:9]
	v_lshl_add_u64 v[6:7], v[24:25], 0, s[2:3]
	flat_store_dwordx2 v[24:25], v[26:27] offset:768
	s_andn2_b64 vcc, exec, s[8:9]
	s_cbranch_vccz .LBB266_7
	s_branch .LBB266_8
.LBB266_6:
                                        ; implicit-def: $vgpr4_vgpr5
                                        ; implicit-def: $vgpr6_vgpr7
.LBB266_7:
	s_lshl_b64 s[2:3], s[18:19], 4
	s_add_u32 s2, s4, s2
	s_addc_u32 s3, s5, s3
	v_mul_lo_u32 v6, v3, s16
	v_mul_lo_u32 v7, v2, s17
	v_mad_u64_u32 v[4:5], s[4:5], v2, s16, 0
	v_add3_u32 v5, v5, v7, v6
	v_lshl_add_u64 v[24:25], v[4:5], 4, s[2:3]
	v_lshlrev_b64 v[0:1], 4, v[0:1]
	v_lshl_add_u64 v[26:27], v[24:25], 0, v[0:1]
	flat_load_dwordx4 v[4:7], v[26:27]
	v_mul_lo_u32 v32, v3, s22
	v_mul_lo_u32 v33, v2, s23
	v_mad_u64_u32 v[2:3], s[2:3], v2, s22, 0
	v_add3_u32 v3, v3, v33, v32
	v_mul_f64 v[28:29], s[40:41], v[56:57]
	v_mul_f64 v[30:31], s[38:39], v[56:57]
	v_lshl_add_u64 v[32:33], v[2:3], 4, s[0:1]
	v_fma_f64 v[28:29], s[38:39], v[54:55], -v[28:29]
	v_fmac_f64_e32 v[30:31], s[40:41], v[54:55]
	v_lshl_add_u64 v[54:55], v[32:33], 0, v[0:1]
	s_lshl_b64 s[0:1], s[16:17], 8
	s_lshl_b64 s[2:3], s[22:23], 8
	s_waitcnt vmcnt(0) lgkmcnt(0)
	v_mul_f64 v[2:3], s[12:13], v[6:7]
	v_mul_f64 v[6:7], s[10:11], v[6:7]
	v_fma_f64 v[2:3], s[10:11], v[4:5], -v[2:3]
	v_fmac_f64_e32 v[6:7], s[12:13], v[4:5]
	v_add_f64 v[2:3], v[28:29], v[2:3]
	v_add_f64 v[4:5], v[30:31], v[6:7]
	flat_store_dwordx4 v[54:55], v[2:5]
	flat_load_dwordx4 v[2:5], v[26:27] offset:256
	v_mul_f64 v[6:7], s[40:41], v[40:41]
	v_mul_f64 v[28:29], s[38:39], v[40:41]
	v_fma_f64 v[6:7], s[38:39], v[38:39], -v[6:7]
	v_fmac_f64_e32 v[28:29], s[40:41], v[38:39]
	s_waitcnt vmcnt(0) lgkmcnt(0)
	v_mul_f64 v[30:31], s[12:13], v[4:5]
	v_mul_f64 v[4:5], s[10:11], v[4:5]
	v_fma_f64 v[30:31], s[10:11], v[2:3], -v[30:31]
	v_fmac_f64_e32 v[4:5], s[12:13], v[2:3]
	v_add_f64 v[2:3], v[6:7], v[30:31]
	v_add_f64 v[4:5], v[28:29], v[4:5]
	flat_store_dwordx4 v[54:55], v[2:5] offset:256
	flat_load_dwordx4 v[2:5], v[26:27] offset:512
	v_mul_f64 v[6:7], s[40:41], v[36:37]
	v_mul_f64 v[28:29], s[38:39], v[36:37]
	v_fma_f64 v[6:7], s[38:39], v[34:35], -v[6:7]
	v_fmac_f64_e32 v[28:29], s[40:41], v[34:35]
	s_waitcnt vmcnt(0) lgkmcnt(0)
	v_mul_f64 v[30:31], s[12:13], v[4:5]
	v_mul_f64 v[4:5], s[10:11], v[4:5]
	v_fma_f64 v[30:31], s[10:11], v[2:3], -v[30:31]
	v_fmac_f64_e32 v[4:5], s[12:13], v[2:3]
	v_add_f64 v[2:3], v[6:7], v[30:31]
	v_add_f64 v[4:5], v[28:29], v[4:5]
	flat_store_dwordx4 v[54:55], v[2:5] offset:512
	flat_load_dwordx4 v[2:5], v[26:27] offset:768
	v_mul_f64 v[6:7], s[40:41], v[22:23]
	v_mul_f64 v[22:23], s[38:39], v[22:23]
	v_fma_f64 v[6:7], s[38:39], v[20:21], -v[6:7]
	v_fmac_f64_e32 v[22:23], s[40:41], v[20:21]
	v_lshl_add_u64 v[20:21], v[24:25], 0, s[0:1]
	v_lshl_add_u64 v[24:25], v[20:21], 0, v[0:1]
	;; [unrolled: 1-line block ×3, first 2 shown]
	s_waitcnt vmcnt(0) lgkmcnt(0)
	v_mul_f64 v[26:27], s[12:13], v[4:5]
	v_mul_f64 v[4:5], s[10:11], v[4:5]
	v_fma_f64 v[26:27], s[10:11], v[2:3], -v[26:27]
	v_fmac_f64_e32 v[4:5], s[12:13], v[2:3]
	v_add_f64 v[2:3], v[6:7], v[26:27]
	v_add_f64 v[4:5], v[22:23], v[4:5]
	flat_store_dwordx4 v[54:55], v[2:5] offset:768
	flat_load_dwordx4 v[2:5], v[24:25]
	v_mul_f64 v[6:7], s[40:41], v[76:77]
	v_mul_f64 v[22:23], s[38:39], v[76:77]
	v_fma_f64 v[6:7], s[38:39], v[74:75], -v[6:7]
	v_fmac_f64_e32 v[22:23], s[40:41], v[74:75]
	v_lshl_add_u64 v[26:27], v[32:33], 0, s[2:3]
	v_lshl_add_u64 v[28:29], v[26:27], 0, v[0:1]
	;; [unrolled: 1-line block ×3, first 2 shown]
	s_waitcnt vmcnt(0) lgkmcnt(0)
	v_mul_f64 v[30:31], s[12:13], v[4:5]
	v_mul_f64 v[4:5], s[10:11], v[4:5]
	v_fma_f64 v[30:31], s[10:11], v[2:3], -v[30:31]
	v_fmac_f64_e32 v[4:5], s[12:13], v[2:3]
	v_add_f64 v[2:3], v[6:7], v[30:31]
	v_add_f64 v[4:5], v[22:23], v[4:5]
	flat_store_dwordx4 v[28:29], v[2:5]
	flat_load_dwordx4 v[2:5], v[24:25] offset:256
	v_mul_f64 v[6:7], s[40:41], v[68:69]
	v_mul_f64 v[22:23], s[38:39], v[68:69]
	v_fma_f64 v[6:7], s[38:39], v[66:67], -v[6:7]
	v_fmac_f64_e32 v[22:23], s[40:41], v[66:67]
	s_waitcnt vmcnt(0) lgkmcnt(0)
	v_mul_f64 v[30:31], s[12:13], v[4:5]
	v_mul_f64 v[4:5], s[10:11], v[4:5]
	v_fma_f64 v[30:31], s[10:11], v[2:3], -v[30:31]
	v_fmac_f64_e32 v[4:5], s[12:13], v[2:3]
	v_add_f64 v[2:3], v[6:7], v[30:31]
	v_add_f64 v[4:5], v[22:23], v[4:5]
	flat_store_dwordx4 v[28:29], v[2:5] offset:256
	flat_load_dwordx4 v[2:5], v[24:25] offset:512
	v_mul_f64 v[6:7], s[40:41], v[62:63]
	v_mul_f64 v[22:23], s[38:39], v[62:63]
	v_fma_f64 v[6:7], s[38:39], v[58:59], -v[6:7]
	v_fmac_f64_e32 v[22:23], s[40:41], v[58:59]
	s_waitcnt vmcnt(0) lgkmcnt(0)
	v_mul_f64 v[30:31], s[12:13], v[4:5]
	v_mul_f64 v[4:5], s[10:11], v[4:5]
	v_fma_f64 v[30:31], s[10:11], v[2:3], -v[30:31]
	v_fmac_f64_e32 v[4:5], s[12:13], v[2:3]
	v_add_f64 v[2:3], v[6:7], v[30:31]
	v_add_f64 v[4:5], v[22:23], v[4:5]
	flat_store_dwordx4 v[28:29], v[2:5] offset:512
	flat_load_dwordx4 v[2:5], v[24:25] offset:768
	v_mul_f64 v[6:7], s[40:41], v[50:51]
	v_mul_f64 v[22:23], s[38:39], v[50:51]
	v_fma_f64 v[6:7], s[38:39], v[46:47], -v[6:7]
	v_fmac_f64_e32 v[22:23], s[40:41], v[46:47]
	v_lshl_add_u64 v[24:25], v[20:21], 0, v[0:1]
	v_lshl_add_u64 v[20:21], v[20:21], 0, s[0:1]
	;; [unrolled: 1-line block ×3, first 2 shown]
	s_mov_b64 s[0:1], 0x300
	s_waitcnt vmcnt(0) lgkmcnt(0)
	v_mul_f64 v[30:31], s[12:13], v[4:5]
	v_mul_f64 v[4:5], s[10:11], v[4:5]
	v_fma_f64 v[30:31], s[10:11], v[2:3], -v[30:31]
	v_fmac_f64_e32 v[4:5], s[12:13], v[2:3]
	v_add_f64 v[2:3], v[6:7], v[30:31]
	v_add_f64 v[4:5], v[22:23], v[4:5]
	flat_store_dwordx4 v[28:29], v[2:5] offset:768
	flat_load_dwordx4 v[2:5], v[24:25]
	v_mul_f64 v[6:7], s[40:41], v[72:73]
	v_mul_f64 v[22:23], s[38:39], v[72:73]
	v_fma_f64 v[6:7], s[38:39], v[70:71], -v[6:7]
	v_fmac_f64_e32 v[22:23], s[40:41], v[70:71]
	v_lshl_add_u64 v[28:29], v[26:27], 0, v[0:1]
	s_waitcnt vmcnt(0) lgkmcnt(0)
	v_mul_f64 v[30:31], s[12:13], v[4:5]
	v_mul_f64 v[4:5], s[10:11], v[4:5]
	v_fma_f64 v[30:31], s[10:11], v[2:3], -v[30:31]
	v_fmac_f64_e32 v[4:5], s[12:13], v[2:3]
	v_add_f64 v[2:3], v[6:7], v[30:31]
	v_add_f64 v[4:5], v[22:23], v[4:5]
	flat_store_dwordx4 v[28:29], v[2:5]
	flat_load_dwordx4 v[2:5], v[24:25] offset:256
	v_mul_f64 v[6:7], s[40:41], v[64:65]
	v_mul_f64 v[22:23], s[38:39], v[64:65]
	v_fma_f64 v[6:7], s[38:39], v[60:61], -v[6:7]
	v_fmac_f64_e32 v[22:23], s[40:41], v[60:61]
	s_waitcnt vmcnt(0) lgkmcnt(0)
	v_mul_f64 v[30:31], s[12:13], v[4:5]
	v_mul_f64 v[4:5], s[10:11], v[4:5]
	v_fma_f64 v[30:31], s[10:11], v[2:3], -v[30:31]
	v_fmac_f64_e32 v[4:5], s[12:13], v[2:3]
	v_add_f64 v[2:3], v[6:7], v[30:31]
	v_add_f64 v[4:5], v[22:23], v[4:5]
	flat_store_dwordx4 v[28:29], v[2:5] offset:256
	flat_load_dwordx4 v[2:5], v[24:25] offset:512
	v_mul_f64 v[6:7], s[40:41], v[52:53]
	v_mul_f64 v[22:23], s[38:39], v[52:53]
	v_fma_f64 v[6:7], s[38:39], v[48:49], -v[6:7]
	v_fmac_f64_e32 v[22:23], s[40:41], v[48:49]
	s_waitcnt vmcnt(0) lgkmcnt(0)
	v_mul_f64 v[30:31], s[12:13], v[4:5]
	v_mul_f64 v[4:5], s[10:11], v[4:5]
	v_fma_f64 v[30:31], s[10:11], v[2:3], -v[30:31]
	v_fmac_f64_e32 v[4:5], s[12:13], v[2:3]
	v_add_f64 v[2:3], v[6:7], v[30:31]
	v_add_f64 v[4:5], v[22:23], v[4:5]
	flat_store_dwordx4 v[28:29], v[2:5] offset:512
	;; [unrolled: 13-line block ×3, first 2 shown]
	flat_load_dwordx4 v[2:5], v[20:21]
	v_lshl_add_u64 v[24:25], v[26:27], 0, s[2:3]
	v_mul_f64 v[6:7], s[40:41], v[80:81]
	v_mul_f64 v[22:23], s[38:39], v[80:81]
	v_lshl_add_u64 v[24:25], v[24:25], 0, v[0:1]
	v_fma_f64 v[6:7], s[38:39], v[78:79], -v[6:7]
	v_fmac_f64_e32 v[22:23], s[40:41], v[78:79]
	s_waitcnt vmcnt(0) lgkmcnt(0)
	v_mul_f64 v[0:1], s[12:13], v[4:5]
	v_mul_f64 v[4:5], s[10:11], v[4:5]
	v_fma_f64 v[0:1], s[10:11], v[2:3], -v[0:1]
	v_fmac_f64_e32 v[4:5], s[12:13], v[2:3]
	v_add_f64 v[0:1], v[6:7], v[0:1]
	v_add_f64 v[2:3], v[22:23], v[4:5]
	flat_store_dwordx4 v[24:25], v[0:3]
	flat_load_dwordx4 v[0:3], v[20:21] offset:256
	v_mul_f64 v[4:5], s[40:41], v[18:19]
	v_mul_f64 v[6:7], s[38:39], v[18:19]
	v_fma_f64 v[4:5], s[38:39], v[16:17], -v[4:5]
	v_fmac_f64_e32 v[6:7], s[40:41], v[16:17]
	s_waitcnt vmcnt(0) lgkmcnt(0)
	v_mul_f64 v[16:17], s[12:13], v[2:3]
	v_mul_f64 v[2:3], s[10:11], v[2:3]
	v_fma_f64 v[16:17], s[10:11], v[0:1], -v[16:17]
	v_fmac_f64_e32 v[2:3], s[12:13], v[0:1]
	v_add_f64 v[0:1], v[4:5], v[16:17]
	v_add_f64 v[2:3], v[6:7], v[2:3]
	flat_store_dwordx4 v[24:25], v[0:3] offset:256
	flat_load_dwordx4 v[0:3], v[20:21] offset:512
	v_mul_f64 v[4:5], s[40:41], v[14:15]
	v_mul_f64 v[6:7], s[38:39], v[14:15]
	v_fma_f64 v[4:5], s[38:39], v[12:13], -v[4:5]
	v_fmac_f64_e32 v[6:7], s[40:41], v[12:13]
	s_waitcnt vmcnt(0) lgkmcnt(0)
	v_mul_f64 v[12:13], s[12:13], v[2:3]
	v_mul_f64 v[2:3], s[10:11], v[2:3]
	v_fma_f64 v[12:13], s[10:11], v[0:1], -v[12:13]
	v_fmac_f64_e32 v[2:3], s[12:13], v[0:1]
	v_add_f64 v[0:1], v[4:5], v[12:13]
	v_add_f64 v[2:3], v[6:7], v[2:3]
	flat_store_dwordx4 v[24:25], v[0:3] offset:512
	flat_load_dwordx4 v[0:3], v[20:21] offset:768
	v_mul_f64 v[4:5], s[40:41], v[10:11]
	v_mul_f64 v[6:7], s[38:39], v[10:11]
	v_fma_f64 v[4:5], s[38:39], v[8:9], -v[4:5]
	v_fmac_f64_e32 v[6:7], s[40:41], v[8:9]
	s_waitcnt vmcnt(0) lgkmcnt(0)
	v_mul_f64 v[8:9], s[12:13], v[2:3]
	v_mul_f64 v[2:3], s[10:11], v[2:3]
	v_fma_f64 v[8:9], s[10:11], v[0:1], -v[8:9]
	v_fmac_f64_e32 v[2:3], s[12:13], v[0:1]
	v_add_f64 v[0:1], v[4:5], v[8:9]
	v_add_f64 v[4:5], v[6:7], v[2:3]
	v_lshl_add_u64 v[6:7], v[24:25], 0, s[0:1]
	flat_store_dwordx2 v[24:25], v[0:1] offset:768
.LBB266_8:
	flat_store_dwordx2 v[6:7], v[4:5] offset:8
	s_endpgm
	.section	.rodata,"a",@progbits
	.p2align	6, 0x0
	.amdhsa_kernel _ZN12_GLOBAL__N_127rocblas_gemm_batched_kernelI19rocblas_complex_numIdELi16ELi16ELi64ELi64ELi4ELi64ELi4ELi4ELi64ELc84ELc84EKPKS2_S5_KPS2_EEvlllT_PT11_llSA_llS8_PT12_llPT13_lli
		.amdhsa_group_segment_fixed_size 8192
		.amdhsa_private_segment_fixed_size 0
		.amdhsa_kernarg_size 156
		.amdhsa_user_sgpr_count 2
		.amdhsa_user_sgpr_dispatch_ptr 0
		.amdhsa_user_sgpr_queue_ptr 0
		.amdhsa_user_sgpr_kernarg_segment_ptr 1
		.amdhsa_user_sgpr_dispatch_id 0
		.amdhsa_user_sgpr_kernarg_preload_length 0
		.amdhsa_user_sgpr_kernarg_preload_offset 0
		.amdhsa_user_sgpr_private_segment_size 0
		.amdhsa_uses_dynamic_stack 0
		.amdhsa_enable_private_segment 0
		.amdhsa_system_sgpr_workgroup_id_x 1
		.amdhsa_system_sgpr_workgroup_id_y 1
		.amdhsa_system_sgpr_workgroup_id_z 1
		.amdhsa_system_sgpr_workgroup_info 0
		.amdhsa_system_vgpr_workitem_id 1
		.amdhsa_next_free_vgpr 138
		.amdhsa_next_free_sgpr 52
		.amdhsa_accum_offset 140
		.amdhsa_reserve_vcc 1
		.amdhsa_float_round_mode_32 0
		.amdhsa_float_round_mode_16_64 0
		.amdhsa_float_denorm_mode_32 3
		.amdhsa_float_denorm_mode_16_64 3
		.amdhsa_dx10_clamp 1
		.amdhsa_ieee_mode 1
		.amdhsa_fp16_overflow 0
		.amdhsa_tg_split 0
		.amdhsa_exception_fp_ieee_invalid_op 0
		.amdhsa_exception_fp_denorm_src 0
		.amdhsa_exception_fp_ieee_div_zero 0
		.amdhsa_exception_fp_ieee_overflow 0
		.amdhsa_exception_fp_ieee_underflow 0
		.amdhsa_exception_fp_ieee_inexact 0
		.amdhsa_exception_int_div_zero 0
	.end_amdhsa_kernel
	.section	.text._ZN12_GLOBAL__N_127rocblas_gemm_batched_kernelI19rocblas_complex_numIdELi16ELi16ELi64ELi64ELi4ELi64ELi4ELi4ELi64ELc84ELc84EKPKS2_S5_KPS2_EEvlllT_PT11_llSA_llS8_PT12_llPT13_lli,"axG",@progbits,_ZN12_GLOBAL__N_127rocblas_gemm_batched_kernelI19rocblas_complex_numIdELi16ELi16ELi64ELi64ELi4ELi64ELi4ELi4ELi64ELc84ELc84EKPKS2_S5_KPS2_EEvlllT_PT11_llSA_llS8_PT12_llPT13_lli,comdat
.Lfunc_end266:
	.size	_ZN12_GLOBAL__N_127rocblas_gemm_batched_kernelI19rocblas_complex_numIdELi16ELi16ELi64ELi64ELi4ELi64ELi4ELi4ELi64ELc84ELc84EKPKS2_S5_KPS2_EEvlllT_PT11_llSA_llS8_PT12_llPT13_lli, .Lfunc_end266-_ZN12_GLOBAL__N_127rocblas_gemm_batched_kernelI19rocblas_complex_numIdELi16ELi16ELi64ELi64ELi4ELi64ELi4ELi4ELi64ELc84ELc84EKPKS2_S5_KPS2_EEvlllT_PT11_llSA_llS8_PT12_llPT13_lli
                                        ; -- End function
	.set _ZN12_GLOBAL__N_127rocblas_gemm_batched_kernelI19rocblas_complex_numIdELi16ELi16ELi64ELi64ELi4ELi64ELi4ELi4ELi64ELc84ELc84EKPKS2_S5_KPS2_EEvlllT_PT11_llSA_llS8_PT12_llPT13_lli.num_vgpr, 138
	.set _ZN12_GLOBAL__N_127rocblas_gemm_batched_kernelI19rocblas_complex_numIdELi16ELi16ELi64ELi64ELi4ELi64ELi4ELi4ELi64ELc84ELc84EKPKS2_S5_KPS2_EEvlllT_PT11_llSA_llS8_PT12_llPT13_lli.num_agpr, 0
	.set _ZN12_GLOBAL__N_127rocblas_gemm_batched_kernelI19rocblas_complex_numIdELi16ELi16ELi64ELi64ELi4ELi64ELi4ELi4ELi64ELc84ELc84EKPKS2_S5_KPS2_EEvlllT_PT11_llSA_llS8_PT12_llPT13_lli.numbered_sgpr, 52
	.set _ZN12_GLOBAL__N_127rocblas_gemm_batched_kernelI19rocblas_complex_numIdELi16ELi16ELi64ELi64ELi4ELi64ELi4ELi4ELi64ELc84ELc84EKPKS2_S5_KPS2_EEvlllT_PT11_llSA_llS8_PT12_llPT13_lli.num_named_barrier, 0
	.set _ZN12_GLOBAL__N_127rocblas_gemm_batched_kernelI19rocblas_complex_numIdELi16ELi16ELi64ELi64ELi4ELi64ELi4ELi4ELi64ELc84ELc84EKPKS2_S5_KPS2_EEvlllT_PT11_llSA_llS8_PT12_llPT13_lli.private_seg_size, 0
	.set _ZN12_GLOBAL__N_127rocblas_gemm_batched_kernelI19rocblas_complex_numIdELi16ELi16ELi64ELi64ELi4ELi64ELi4ELi4ELi64ELc84ELc84EKPKS2_S5_KPS2_EEvlllT_PT11_llSA_llS8_PT12_llPT13_lli.uses_vcc, 1
	.set _ZN12_GLOBAL__N_127rocblas_gemm_batched_kernelI19rocblas_complex_numIdELi16ELi16ELi64ELi64ELi4ELi64ELi4ELi4ELi64ELc84ELc84EKPKS2_S5_KPS2_EEvlllT_PT11_llSA_llS8_PT12_llPT13_lli.uses_flat_scratch, 0
	.set _ZN12_GLOBAL__N_127rocblas_gemm_batched_kernelI19rocblas_complex_numIdELi16ELi16ELi64ELi64ELi4ELi64ELi4ELi4ELi64ELc84ELc84EKPKS2_S5_KPS2_EEvlllT_PT11_llSA_llS8_PT12_llPT13_lli.has_dyn_sized_stack, 0
	.set _ZN12_GLOBAL__N_127rocblas_gemm_batched_kernelI19rocblas_complex_numIdELi16ELi16ELi64ELi64ELi4ELi64ELi4ELi4ELi64ELc84ELc84EKPKS2_S5_KPS2_EEvlllT_PT11_llSA_llS8_PT12_llPT13_lli.has_recursion, 0
	.set _ZN12_GLOBAL__N_127rocblas_gemm_batched_kernelI19rocblas_complex_numIdELi16ELi16ELi64ELi64ELi4ELi64ELi4ELi4ELi64ELc84ELc84EKPKS2_S5_KPS2_EEvlllT_PT11_llSA_llS8_PT12_llPT13_lli.has_indirect_call, 0
	.section	.AMDGPU.csdata,"",@progbits
; Kernel info:
; codeLenInByte = 6460
; TotalNumSgprs: 58
; NumVgprs: 138
; NumAgprs: 0
; TotalNumVgprs: 138
; ScratchSize: 0
; MemoryBound: 0
; FloatMode: 240
; IeeeMode: 1
; LDSByteSize: 8192 bytes/workgroup (compile time only)
; SGPRBlocks: 7
; VGPRBlocks: 17
; NumSGPRsForWavesPerEU: 58
; NumVGPRsForWavesPerEU: 138
; AccumOffset: 140
; Occupancy: 3
; WaveLimiterHint : 1
; COMPUTE_PGM_RSRC2:SCRATCH_EN: 0
; COMPUTE_PGM_RSRC2:USER_SGPR: 2
; COMPUTE_PGM_RSRC2:TRAP_HANDLER: 0
; COMPUTE_PGM_RSRC2:TGID_X_EN: 1
; COMPUTE_PGM_RSRC2:TGID_Y_EN: 1
; COMPUTE_PGM_RSRC2:TGID_Z_EN: 1
; COMPUTE_PGM_RSRC2:TIDIG_COMP_CNT: 1
; COMPUTE_PGM_RSRC3_GFX90A:ACCUM_OFFSET: 34
; COMPUTE_PGM_RSRC3_GFX90A:TG_SPLIT: 0
	.section	.text._ZN12_GLOBAL__N_127rocblas_gemm_batched_kernelI19rocblas_complex_numIdELi16ELi16ELi64ELi64ELi4ELi64ELi4ELi4ELi64ELc67ELc67EKPKS2_S5_KPS2_EEvlllT_PT11_llSA_llS8_PT12_llPT13_lli,"axG",@progbits,_ZN12_GLOBAL__N_127rocblas_gemm_batched_kernelI19rocblas_complex_numIdELi16ELi16ELi64ELi64ELi4ELi64ELi4ELi4ELi64ELc67ELc67EKPKS2_S5_KPS2_EEvlllT_PT11_llSA_llS8_PT12_llPT13_lli,comdat
	.globl	_ZN12_GLOBAL__N_127rocblas_gemm_batched_kernelI19rocblas_complex_numIdELi16ELi16ELi64ELi64ELi4ELi64ELi4ELi4ELi64ELc67ELc67EKPKS2_S5_KPS2_EEvlllT_PT11_llSA_llS8_PT12_llPT13_lli ; -- Begin function _ZN12_GLOBAL__N_127rocblas_gemm_batched_kernelI19rocblas_complex_numIdELi16ELi16ELi64ELi64ELi4ELi64ELi4ELi4ELi64ELc67ELc67EKPKS2_S5_KPS2_EEvlllT_PT11_llSA_llS8_PT12_llPT13_lli
	.p2align	8
	.type	_ZN12_GLOBAL__N_127rocblas_gemm_batched_kernelI19rocblas_complex_numIdELi16ELi16ELi64ELi64ELi4ELi64ELi4ELi4ELi64ELc67ELc67EKPKS2_S5_KPS2_EEvlllT_PT11_llSA_llS8_PT12_llPT13_lli,@function
_ZN12_GLOBAL__N_127rocblas_gemm_batched_kernelI19rocblas_complex_numIdELi16ELi16ELi64ELi64ELi4ELi64ELi4ELi4ELi64ELc67ELc67EKPKS2_S5_KPS2_EEvlllT_PT11_llSA_llS8_PT12_llPT13_lli: ; @_ZN12_GLOBAL__N_127rocblas_gemm_batched_kernelI19rocblas_complex_numIdELi16ELi16ELi64ELi64ELi4ELi64ELi4ELi4ELi64ELc67ELc67EKPKS2_S5_KPS2_EEvlllT_PT11_llSA_llS8_PT12_llPT13_lli
; %bb.0:
	s_load_dwordx16 s[36:51], s[0:1], 0x10
	s_load_dwordx16 s[8:23], s[0:1], 0x50
	s_mov_b32 s5, 0
	s_lshl_b64 s[24:25], s[4:5], 3
	s_mov_b32 s26, s3
	v_mov_b32_e32 v27, 0
	s_waitcnt lgkmcnt(0)
	s_add_u32 s4, s14, s24
	s_addc_u32 s5, s15, s25
	s_add_u32 s6, s20, s24
	s_addc_u32 s7, s21, s25
	s_load_dwordx2 s[4:5], s[4:5], 0x0
	s_ashr_i32 s3, s2, 31
	s_load_dwordx2 s[6:7], s[6:7], 0x0
	s_ashr_i32 s27, s26, 31
	v_cmp_lt_i64_e64 s[20:21], s[36:37], 1
	v_bfe_u32 v26, v0, 10, 10
	v_and_b32_e32 v24, 0x3ff, v0
	v_mov_b32_e32 v25, v27
	s_lshl_b64 s[2:3], s[2:3], 6
	s_lshl_b64 s[14:15], s[26:27], 6
	s_and_b64 vcc, exec, s[20:21]
	s_cbranch_vccnz .LBB267_3
; %bb.1:
	v_lshl_add_u32 v6, v26, 4, v24
	v_lshrrev_b32_e32 v0, 2, v6
	v_mov_b32_e32 v1, v27
	s_add_u32 s20, s42, s24
	v_lshl_add_u64 v[2:3], v[0:1], 0, s[14:15]
	v_and_b32_e32 v1, 3, v24
	s_addc_u32 s21, s43, s25
	v_mad_u64_u32 v[2:3], s[26:27], s50, v1, v[2:3]
	s_add_u32 s24, s48, s24
	v_mov_b32_e32 v4, v3
	s_addc_u32 s25, s49, s25
	v_mad_u64_u32 v[4:5], s[26:27], s51, v1, v[4:5]
	v_lshlrev_b32_e32 v1, 4, v1
	s_load_dwordx2 s[24:25], s[24:25], 0x0
	v_lshl_or_b32 v0, v0, 6, v1
	v_mov_b32_e32 v3, v4
	v_and_b32_e32 v4, 63, v6
	v_mov_b32_e32 v5, v27
	v_add_u32_e32 v111, 0x1000, v0
	v_mov_b32_e32 v0, 0x1000
	s_load_dwordx2 s[20:21], s[20:21], 0x0
	v_lshl_add_u32 v113, v26, 6, v0
	v_lshl_add_u64 v[0:1], s[2:3], 0, v[4:5]
	v_lshlrev_b32_e32 v7, 4, v4
	v_mul_lo_u32 v4, s45, v0
	v_mul_lo_u32 v5, s44, v1
	v_mad_u64_u32 v[0:1], s[26:27], s44, v0, 0
	v_lshrrev_b32_e32 v6, 6, v6
	v_add3_u32 v1, v1, v5, v4
	s_lshl_b64 s[26:27], s[46:47], 4
	s_lshl_b64 s[8:9], s[8:9], 4
	v_lshl_add_u64 v[0:1], v[0:1], 4, s[26:27]
	v_lshlrev_b32_e32 v4, 4, v6
	v_mov_b32_e32 v5, v27
	s_waitcnt lgkmcnt(0)
	s_add_u32 s8, s24, s8
	v_lshl_add_u64 v[0:1], v[0:1], 0, v[4:5]
	s_addc_u32 s9, s25, s9
	v_lshl_or_b32 v110, v6, 10, v7
	v_lshlrev_b32_e32 v112, 4, v24
	v_lshl_add_u64 v[28:29], s[20:21], 0, v[0:1]
	v_lshl_add_u64 v[30:31], v[2:3], 4, s[8:9]
	s_lshl_b64 s[8:9], s[50:51], 6
	s_mov_b64 s[20:21], 0
	v_mov_b64_e32 v[10:11], 0
	v_mov_b64_e32 v[32:33], s[36:37]
	;; [unrolled: 1-line block ×33, first 2 shown]
.LBB267_2:                              ; =>This Inner Loop Header: Depth=1
	flat_load_dwordx4 v[0:3], v[28:29]
	s_add_u32 s20, s20, 4
	s_addc_u32 s21, s21, 0
	v_cmp_lt_i64_e32 vcc, s[20:21], v[32:33]
	v_lshl_add_u64 v[28:29], v[28:29], 0, 64
	s_and_b64 vcc, exec, vcc
	s_waitcnt vmcnt(0) lgkmcnt(0)
	v_xor_b32_e32 v3, 0x80000000, v3
	ds_write_b128 v110, v[0:3]
	flat_load_dwordx4 v[0:3], v[30:31]
	v_lshl_add_u64 v[30:31], v[30:31], 0, s[8:9]
	s_waitcnt vmcnt(0) lgkmcnt(0)
	v_xor_b32_e32 v3, 0x80000000, v3
	ds_write_b128 v111, v[0:3]
	s_waitcnt lgkmcnt(0)
	s_barrier
	ds_read_b128 v[82:85], v113
	ds_read_b128 v[114:117], v113 offset:16
	ds_read_b128 v[4:7], v113 offset:32
	;; [unrolled: 1-line block ×3, first 2 shown]
	ds_read_b128 v[118:121], v112
	s_waitcnt lgkmcnt(0)
	v_mul_f64 v[86:87], v[84:85], v[120:121]
	v_mul_f64 v[88:89], v[82:83], v[120:121]
	v_fma_f64 v[86:87], v[82:83], v[118:119], -v[86:87]
	v_fmac_f64_e32 v[88:89], v[84:85], v[118:119]
	v_add_f64 v[122:123], v[54:55], v[86:87]
	v_add_f64 v[124:125], v[88:89], v[56:57]
	ds_read_b128 v[54:57], v112 offset:256
	s_waitcnt lgkmcnt(0)
	v_mul_f64 v[86:87], v[84:85], v[56:57]
	v_mul_f64 v[88:89], v[82:83], v[56:57]
	v_fma_f64 v[86:87], v[82:83], v[54:55], -v[86:87]
	v_fmac_f64_e32 v[88:89], v[84:85], v[54:55]
	v_add_f64 v[126:127], v[38:39], v[86:87]
	v_add_f64 v[128:129], v[88:89], v[40:41]
	ds_read_b128 v[38:41], v112 offset:512
	;; [unrolled: 8-line block ×3, first 2 shown]
	s_waitcnt lgkmcnt(0)
	v_mul_f64 v[86:87], v[84:85], v[36:37]
	v_fma_f64 v[86:87], v[82:83], v[34:35], -v[86:87]
	v_mul_f64 v[82:83], v[82:83], v[36:37]
	v_fmac_f64_e32 v[82:83], v[84:85], v[34:35]
	v_add_f64 v[134:135], v[20:21], v[86:87]
	v_add_f64 v[136:137], v[82:83], v[22:23]
	ds_read_b128 v[20:23], v113 offset:1024
	s_waitcnt lgkmcnt(0)
	v_mul_f64 v[82:83], v[22:23], v[120:121]
	v_fma_f64 v[82:83], v[20:21], v[118:119], -v[82:83]
	v_add_f64 v[74:75], v[74:75], v[82:83]
	v_mul_f64 v[82:83], v[22:23], v[56:57]
	v_mul_f64 v[84:85], v[20:21], v[120:121]
	v_fma_f64 v[82:83], v[20:21], v[54:55], -v[82:83]
	v_fmac_f64_e32 v[84:85], v[22:23], v[118:119]
	v_add_f64 v[98:99], v[66:67], v[82:83]
	v_mul_f64 v[66:67], v[22:23], v[40:41]
	v_add_f64 v[76:77], v[84:85], v[76:77]
	v_mul_f64 v[84:85], v[20:21], v[56:57]
	v_fma_f64 v[66:67], v[20:21], v[38:39], -v[66:67]
	v_fmac_f64_e32 v[84:85], v[22:23], v[54:55]
	v_add_f64 v[102:103], v[58:59], v[66:67]
	v_mul_f64 v[58:59], v[22:23], v[36:37]
	v_add_f64 v[100:101], v[84:85], v[68:69]
	v_mul_f64 v[68:69], v[20:21], v[40:41]
	v_fma_f64 v[58:59], v[20:21], v[34:35], -v[58:59]
	v_mul_f64 v[20:21], v[20:21], v[36:37]
	v_fmac_f64_e32 v[20:21], v[22:23], v[34:35]
	v_fmac_f64_e32 v[68:69], v[22:23], v[38:39]
	v_add_f64 v[108:109], v[20:21], v[50:51]
	ds_read_b128 v[20:23], v113 offset:2048
	v_add_f64 v[106:107], v[46:47], v[58:59]
	v_add_f64 v[104:105], v[68:69], v[62:63]
	s_waitcnt lgkmcnt(0)
	v_mul_f64 v[46:47], v[22:23], v[120:121]
	v_fma_f64 v[46:47], v[20:21], v[118:119], -v[46:47]
	v_add_f64 v[82:83], v[70:71], v[46:47]
	v_mul_f64 v[46:47], v[22:23], v[56:57]
	v_mul_f64 v[50:51], v[20:21], v[120:121]
	v_fma_f64 v[46:47], v[20:21], v[54:55], -v[46:47]
	v_fmac_f64_e32 v[50:51], v[22:23], v[118:119]
	v_add_f64 v[86:87], v[60:61], v[46:47]
	v_mul_f64 v[46:47], v[22:23], v[40:41]
	v_add_f64 v[84:85], v[50:51], v[72:73]
	v_mul_f64 v[50:51], v[20:21], v[56:57]
	v_fma_f64 v[46:47], v[20:21], v[38:39], -v[46:47]
	v_fmac_f64_e32 v[50:51], v[22:23], v[54:55]
	v_add_f64 v[90:91], v[48:49], v[46:47]
	v_mul_f64 v[46:47], v[22:23], v[36:37]
	v_add_f64 v[88:89], v[50:51], v[64:65]
	v_mul_f64 v[50:51], v[20:21], v[40:41]
	v_fma_f64 v[46:47], v[20:21], v[34:35], -v[46:47]
	v_mul_f64 v[20:21], v[20:21], v[36:37]
	v_fmac_f64_e32 v[20:21], v[22:23], v[34:35]
	v_fmac_f64_e32 v[50:51], v[22:23], v[38:39]
	v_add_f64 v[96:97], v[20:21], v[44:45]
	ds_read_b128 v[20:23], v113 offset:3072
	v_add_f64 v[94:95], v[42:43], v[46:47]
	v_add_f64 v[92:93], v[50:51], v[52:53]
	s_waitcnt lgkmcnt(0)
	v_mul_f64 v[42:43], v[22:23], v[120:121]
	v_mul_f64 v[44:45], v[20:21], v[120:121]
	v_fma_f64 v[42:43], v[20:21], v[118:119], -v[42:43]
	v_fmac_f64_e32 v[44:45], v[22:23], v[118:119]
	v_add_f64 v[62:63], v[78:79], v[42:43]
	v_add_f64 v[64:65], v[44:45], v[80:81]
	v_mul_f64 v[42:43], v[22:23], v[56:57]
	v_mul_f64 v[44:45], v[20:21], v[56:57]
	v_fma_f64 v[42:43], v[20:21], v[54:55], -v[42:43]
	v_fmac_f64_e32 v[44:45], v[22:23], v[54:55]
	v_add_f64 v[58:59], v[16:17], v[42:43]
	v_add_f64 v[60:61], v[44:45], v[18:19]
	;; [unrolled: 6-line block ×3, first 2 shown]
	v_mul_f64 v[12:13], v[22:23], v[36:37]
	v_mul_f64 v[14:15], v[20:21], v[36:37]
	v_fma_f64 v[12:13], v[20:21], v[34:35], -v[12:13]
	v_fmac_f64_e32 v[14:15], v[22:23], v[34:35]
	ds_read_b128 v[20:23], v112 offset:1024
	ds_read_b128 v[16:19], v112 offset:1280
	v_add_f64 v[50:51], v[8:9], v[12:13]
	v_add_f64 v[52:53], v[14:15], v[10:11]
	ds_read_b128 v[12:15], v112 offset:1536
	ds_read_b128 v[78:81], v113 offset:1040
	s_waitcnt lgkmcnt(3)
	v_mul_f64 v[8:9], v[116:117], v[22:23]
	v_mul_f64 v[10:11], v[114:115], v[22:23]
	v_fma_f64 v[8:9], v[114:115], v[20:21], -v[8:9]
	v_fmac_f64_e32 v[10:11], v[116:117], v[20:21]
	v_add_f64 v[46:47], v[122:123], v[8:9]
	v_add_f64 v[48:49], v[10:11], v[124:125]
	s_waitcnt lgkmcnt(2)
	v_mul_f64 v[8:9], v[116:117], v[18:19]
	v_mul_f64 v[10:11], v[114:115], v[18:19]
	v_fma_f64 v[8:9], v[114:115], v[16:17], -v[8:9]
	v_fmac_f64_e32 v[10:11], v[116:117], v[16:17]
	v_add_f64 v[42:43], v[126:127], v[8:9]
	v_add_f64 v[44:45], v[10:11], v[128:129]
	;; [unrolled: 7-line block ×3, first 2 shown]
	ds_read_b128 v[8:11], v112 offset:1792
	s_waitcnt lgkmcnt(1)
	v_mul_f64 v[70:71], v[80:81], v[18:19]
	v_mul_f64 v[72:73], v[78:79], v[18:19]
	;; [unrolled: 1-line block ×4, first 2 shown]
	v_fma_f64 v[70:71], v[78:79], v[16:17], -v[70:71]
	v_fmac_f64_e32 v[72:73], v[80:81], v[16:17]
	v_fma_f64 v[66:67], v[78:79], v[20:21], -v[66:67]
	v_fmac_f64_e32 v[68:69], v[80:81], v[20:21]
	v_add_f64 v[70:71], v[98:99], v[70:71]
	v_add_f64 v[72:73], v[72:73], v[100:101]
	s_waitcnt lgkmcnt(0)
	v_mul_f64 v[98:99], v[80:81], v[10:11]
	v_mul_f64 v[100:101], v[78:79], v[10:11]
	v_add_f64 v[66:67], v[74:75], v[66:67]
	v_add_f64 v[68:69], v[68:69], v[76:77]
	v_mul_f64 v[74:75], v[80:81], v[14:15]
	v_mul_f64 v[76:77], v[78:79], v[14:15]
	v_fma_f64 v[98:99], v[78:79], v[8:9], -v[98:99]
	v_fmac_f64_e32 v[100:101], v[80:81], v[8:9]
	v_fma_f64 v[74:75], v[78:79], v[12:13], -v[74:75]
	v_fmac_f64_e32 v[76:77], v[80:81], v[12:13]
	v_add_f64 v[78:79], v[106:107], v[98:99]
	v_add_f64 v[80:81], v[100:101], v[108:109]
	ds_read_b128 v[98:101], v113 offset:2064
	v_add_f64 v[74:75], v[102:103], v[74:75]
	v_add_f64 v[76:77], v[76:77], v[104:105]
	v_mul_f64 v[34:35], v[116:117], v[10:11]
	v_mul_f64 v[36:37], v[114:115], v[10:11]
	s_waitcnt lgkmcnt(0)
	v_mul_f64 v[102:103], v[100:101], v[22:23]
	v_mul_f64 v[104:105], v[98:99], v[22:23]
	v_fma_f64 v[102:103], v[98:99], v[20:21], -v[102:103]
	v_fmac_f64_e32 v[104:105], v[100:101], v[20:21]
	v_add_f64 v[82:83], v[82:83], v[102:103]
	v_add_f64 v[84:85], v[104:105], v[84:85]
	v_mul_f64 v[102:103], v[100:101], v[18:19]
	v_mul_f64 v[104:105], v[98:99], v[18:19]
	v_fma_f64 v[102:103], v[98:99], v[16:17], -v[102:103]
	v_fmac_f64_e32 v[104:105], v[100:101], v[16:17]
	v_add_f64 v[86:87], v[86:87], v[102:103]
	v_add_f64 v[88:89], v[104:105], v[88:89]
	;; [unrolled: 6-line block ×4, first 2 shown]
	ds_read_b128 v[94:97], v113 offset:3088
	v_fma_f64 v[34:35], v[114:115], v[8:9], -v[34:35]
	v_fmac_f64_e32 v[36:37], v[116:117], v[8:9]
	v_add_f64 v[36:37], v[36:37], v[136:137]
	v_add_f64 v[34:35], v[134:135], v[34:35]
	s_waitcnt lgkmcnt(0)
	v_mul_f64 v[102:103], v[96:97], v[22:23]
	v_mul_f64 v[22:23], v[94:95], v[22:23]
	v_fma_f64 v[102:103], v[94:95], v[20:21], -v[102:103]
	v_fmac_f64_e32 v[22:23], v[96:97], v[20:21]
	v_mul_f64 v[20:21], v[96:97], v[18:19]
	v_mul_f64 v[18:19], v[94:95], v[18:19]
	v_fma_f64 v[20:21], v[94:95], v[16:17], -v[20:21]
	v_fmac_f64_e32 v[18:19], v[96:97], v[16:17]
	;; [unrolled: 4-line block ×3, first 2 shown]
	v_mul_f64 v[12:13], v[96:97], v[10:11]
	v_mul_f64 v[10:11], v[94:95], v[10:11]
	v_fmac_f64_e32 v[10:11], v[96:97], v[8:9]
	v_fma_f64 v[12:13], v[94:95], v[8:9], -v[12:13]
	v_add_f64 v[116:117], v[10:11], v[52:53]
	ds_read_b128 v[8:11], v112 offset:2048
	v_add_f64 v[56:57], v[14:15], v[56:57]
	v_add_f64 v[114:115], v[50:51], v[12:13]
	;; [unrolled: 1-line block ×4, first 2 shown]
	s_waitcnt lgkmcnt(0)
	v_mul_f64 v[12:13], v[6:7], v[10:11]
	v_mul_f64 v[14:15], v[4:5], v[10:11]
	v_fma_f64 v[12:13], v[4:5], v[8:9], -v[12:13]
	v_fmac_f64_e32 v[14:15], v[6:7], v[8:9]
	v_add_f64 v[118:119], v[46:47], v[12:13]
	v_add_f64 v[120:121], v[14:15], v[48:49]
	ds_read_b128 v[12:15], v112 offset:2304
	v_add_f64 v[104:105], v[22:23], v[64:65]
	v_add_f64 v[106:107], v[58:59], v[20:21]
	v_add_f64 v[102:103], v[62:63], v[102:103]
	s_waitcnt lgkmcnt(0)
	v_mul_f64 v[16:17], v[6:7], v[14:15]
	v_mul_f64 v[18:19], v[4:5], v[14:15]
	v_fma_f64 v[16:17], v[4:5], v[12:13], -v[16:17]
	v_fmac_f64_e32 v[18:19], v[6:7], v[12:13]
	v_add_f64 v[122:123], v[42:43], v[16:17]
	v_add_f64 v[124:125], v[18:19], v[44:45]
	ds_read_b128 v[16:19], v112 offset:2560
	s_waitcnt lgkmcnt(0)
	v_mul_f64 v[20:21], v[6:7], v[18:19]
	v_mul_f64 v[22:23], v[4:5], v[18:19]
	v_fma_f64 v[20:21], v[4:5], v[16:17], -v[20:21]
	v_fmac_f64_e32 v[22:23], v[6:7], v[16:17]
	v_add_f64 v[126:127], v[38:39], v[20:21]
	v_add_f64 v[128:129], v[22:23], v[40:41]
	ds_read_b128 v[20:23], v112 offset:2816
	s_waitcnt lgkmcnt(0)
	v_mul_f64 v[38:39], v[6:7], v[22:23]
	v_fma_f64 v[38:39], v[4:5], v[20:21], -v[38:39]
	v_mul_f64 v[4:5], v[4:5], v[22:23]
	v_fmac_f64_e32 v[4:5], v[6:7], v[20:21]
	v_add_f64 v[132:133], v[4:5], v[36:37]
	ds_read_b128 v[4:7], v113 offset:1056
	v_add_f64 v[130:131], v[34:35], v[38:39]
	s_waitcnt lgkmcnt(0)
	v_mul_f64 v[34:35], v[6:7], v[10:11]
	v_fma_f64 v[34:35], v[4:5], v[8:9], -v[34:35]
	v_add_f64 v[46:47], v[66:67], v[34:35]
	v_mul_f64 v[34:35], v[6:7], v[14:15]
	v_mul_f64 v[36:37], v[4:5], v[10:11]
	v_fma_f64 v[34:35], v[4:5], v[12:13], -v[34:35]
	v_fmac_f64_e32 v[36:37], v[6:7], v[8:9]
	v_add_f64 v[58:59], v[70:71], v[34:35]
	v_mul_f64 v[34:35], v[6:7], v[18:19]
	v_add_f64 v[50:51], v[36:37], v[68:69]
	v_mul_f64 v[36:37], v[4:5], v[14:15]
	v_fma_f64 v[34:35], v[4:5], v[16:17], -v[34:35]
	v_fmac_f64_e32 v[36:37], v[6:7], v[12:13]
	v_add_f64 v[62:63], v[74:75], v[34:35]
	v_mul_f64 v[34:35], v[6:7], v[22:23]
	v_add_f64 v[60:61], v[36:37], v[72:73]
	v_mul_f64 v[36:37], v[4:5], v[18:19]
	v_fma_f64 v[34:35], v[4:5], v[20:21], -v[34:35]
	v_mul_f64 v[4:5], v[4:5], v[22:23]
	v_fmac_f64_e32 v[4:5], v[6:7], v[20:21]
	v_fmac_f64_e32 v[36:37], v[6:7], v[16:17]
	v_add_f64 v[72:73], v[4:5], v[80:81]
	ds_read_b128 v[4:7], v113 offset:2080
	v_add_f64 v[70:71], v[78:79], v[34:35]
	v_add_f64 v[64:65], v[36:37], v[76:77]
	s_waitcnt lgkmcnt(0)
	v_mul_f64 v[34:35], v[6:7], v[10:11]
	v_fma_f64 v[34:35], v[4:5], v[8:9], -v[34:35]
	v_add_f64 v[42:43], v[82:83], v[34:35]
	v_mul_f64 v[34:35], v[6:7], v[14:15]
	v_mul_f64 v[36:37], v[4:5], v[10:11]
	v_fma_f64 v[34:35], v[4:5], v[12:13], -v[34:35]
	v_fmac_f64_e32 v[36:37], v[6:7], v[8:9]
	v_add_f64 v[48:49], v[86:87], v[34:35]
	v_mul_f64 v[34:35], v[6:7], v[18:19]
	v_add_f64 v[44:45], v[36:37], v[84:85]
	v_mul_f64 v[36:37], v[4:5], v[14:15]
	v_fma_f64 v[34:35], v[4:5], v[16:17], -v[34:35]
	v_fmac_f64_e32 v[36:37], v[6:7], v[12:13]
	v_add_f64 v[94:95], v[90:91], v[34:35]
	v_mul_f64 v[34:35], v[6:7], v[22:23]
	v_add_f64 v[52:53], v[36:37], v[88:89]
	v_mul_f64 v[36:37], v[4:5], v[18:19]
	v_fma_f64 v[34:35], v[4:5], v[20:21], -v[34:35]
	v_mul_f64 v[4:5], v[4:5], v[22:23]
	v_fmac_f64_e32 v[4:5], v[6:7], v[20:21]
	v_fmac_f64_e32 v[36:37], v[6:7], v[16:17]
	v_add_f64 v[100:101], v[4:5], v[100:101]
	ds_read_b128 v[4:7], v113 offset:3104
	v_add_f64 v[98:99], v[98:99], v[34:35]
	v_add_f64 v[96:97], v[36:37], v[92:93]
	s_waitcnt lgkmcnt(0)
	v_mul_f64 v[34:35], v[6:7], v[10:11]
	v_mul_f64 v[10:11], v[4:5], v[10:11]
	v_fmac_f64_e32 v[10:11], v[6:7], v[8:9]
	v_fma_f64 v[34:35], v[4:5], v[8:9], -v[34:35]
	v_add_f64 v[80:81], v[10:11], v[104:105]
	v_mul_f64 v[8:9], v[6:7], v[14:15]
	v_mul_f64 v[10:11], v[4:5], v[14:15]
	v_fma_f64 v[8:9], v[4:5], v[12:13], -v[8:9]
	v_fmac_f64_e32 v[10:11], v[6:7], v[12:13]
	v_add_f64 v[90:91], v[106:107], v[8:9]
	v_add_f64 v[92:93], v[10:11], v[108:109]
	v_mul_f64 v[8:9], v[6:7], v[18:19]
	v_mul_f64 v[10:11], v[4:5], v[18:19]
	v_fma_f64 v[8:9], v[4:5], v[16:17], -v[8:9]
	v_fmac_f64_e32 v[10:11], v[6:7], v[16:17]
	ds_read_b128 v[16:19], v112 offset:3072
	ds_read_b128 v[12:15], v112 offset:3328
	v_add_f64 v[86:87], v[54:55], v[8:9]
	v_mul_f64 v[8:9], v[6:7], v[22:23]
	v_fma_f64 v[8:9], v[4:5], v[20:21], -v[8:9]
	v_mul_f64 v[4:5], v[4:5], v[22:23]
	v_add_f64 v[88:89], v[10:11], v[56:57]
	v_fmac_f64_e32 v[4:5], v[6:7], v[20:21]
	v_add_f64 v[82:83], v[114:115], v[8:9]
	ds_read_b128 v[8:11], v112 offset:3584
	v_add_f64 v[84:85], v[4:5], v[116:117]
	s_waitcnt lgkmcnt(2)
	v_mul_f64 v[4:5], v[2:3], v[18:19]
	v_mul_f64 v[6:7], v[0:1], v[18:19]
	v_fma_f64 v[4:5], v[0:1], v[16:17], -v[4:5]
	v_fmac_f64_e32 v[6:7], v[2:3], v[16:17]
	v_add_f64 v[54:55], v[118:119], v[4:5]
	v_add_f64 v[56:57], v[6:7], v[120:121]
	s_waitcnt lgkmcnt(1)
	v_mul_f64 v[4:5], v[2:3], v[14:15]
	v_mul_f64 v[6:7], v[0:1], v[14:15]
	v_fma_f64 v[4:5], v[0:1], v[12:13], -v[4:5]
	v_fmac_f64_e32 v[6:7], v[2:3], v[12:13]
	v_add_f64 v[38:39], v[122:123], v[4:5]
	;; [unrolled: 7-line block ×3, first 2 shown]
	v_add_f64 v[34:35], v[126:127], v[4:5]
	v_add_f64 v[36:37], v[6:7], v[128:129]
	ds_read_b128 v[4:7], v112 offset:3840
	s_waitcnt lgkmcnt(0)
	v_mul_f64 v[20:21], v[2:3], v[6:7]
	v_fma_f64 v[20:21], v[0:1], v[4:5], -v[20:21]
	v_mul_f64 v[0:1], v[0:1], v[6:7]
	v_fmac_f64_e32 v[0:1], v[2:3], v[4:5]
	v_add_f64 v[22:23], v[0:1], v[132:133]
	ds_read_b128 v[0:3], v113 offset:1072
	v_add_f64 v[20:21], v[130:131], v[20:21]
	s_waitcnt lgkmcnt(0)
	v_mul_f64 v[66:67], v[2:3], v[18:19]
	v_fma_f64 v[66:67], v[0:1], v[16:17], -v[66:67]
	v_add_f64 v[74:75], v[46:47], v[66:67]
	v_mul_f64 v[46:47], v[2:3], v[14:15]
	v_mul_f64 v[68:69], v[0:1], v[18:19]
	v_fma_f64 v[46:47], v[0:1], v[12:13], -v[46:47]
	v_fmac_f64_e32 v[68:69], v[2:3], v[16:17]
	v_add_f64 v[66:67], v[58:59], v[46:47]
	v_mul_f64 v[46:47], v[2:3], v[10:11]
	v_add_f64 v[76:77], v[68:69], v[50:51]
	v_mul_f64 v[50:51], v[0:1], v[14:15]
	v_fma_f64 v[46:47], v[0:1], v[8:9], -v[46:47]
	v_fmac_f64_e32 v[50:51], v[2:3], v[12:13]
	v_add_f64 v[58:59], v[62:63], v[46:47]
	v_mul_f64 v[46:47], v[2:3], v[6:7]
	v_add_f64 v[68:69], v[50:51], v[60:61]
	v_mul_f64 v[50:51], v[0:1], v[10:11]
	v_fma_f64 v[46:47], v[0:1], v[4:5], -v[46:47]
	v_mul_f64 v[0:1], v[0:1], v[6:7]
	v_fmac_f64_e32 v[50:51], v[2:3], v[8:9]
	v_fmac_f64_e32 v[0:1], v[2:3], v[4:5]
	v_add_f64 v[62:63], v[50:51], v[64:65]
	v_add_f64 v[50:51], v[0:1], v[72:73]
	ds_read_b128 v[0:3], v113 offset:2096
	v_add_f64 v[46:47], v[70:71], v[46:47]
	s_waitcnt lgkmcnt(0)
	v_mul_f64 v[60:61], v[2:3], v[18:19]
	v_fma_f64 v[60:61], v[0:1], v[16:17], -v[60:61]
	v_add_f64 v[70:71], v[42:43], v[60:61]
	v_mul_f64 v[42:43], v[2:3], v[14:15]
	v_mul_f64 v[64:65], v[0:1], v[18:19]
	v_fma_f64 v[42:43], v[0:1], v[12:13], -v[42:43]
	v_fmac_f64_e32 v[64:65], v[2:3], v[16:17]
	v_add_f64 v[60:61], v[48:49], v[42:43]
	v_mul_f64 v[42:43], v[2:3], v[10:11]
	v_add_f64 v[72:73], v[64:65], v[44:45]
	v_mul_f64 v[44:45], v[0:1], v[14:15]
	v_fma_f64 v[42:43], v[0:1], v[8:9], -v[42:43]
	v_fmac_f64_e32 v[44:45], v[2:3], v[12:13]
	v_add_f64 v[48:49], v[94:95], v[42:43]
	v_mul_f64 v[42:43], v[2:3], v[6:7]
	v_add_f64 v[64:65], v[44:45], v[52:53]
	v_mul_f64 v[44:45], v[0:1], v[10:11]
	v_fma_f64 v[42:43], v[0:1], v[4:5], -v[42:43]
	v_mul_f64 v[0:1], v[0:1], v[6:7]
	v_fmac_f64_e32 v[44:45], v[2:3], v[8:9]
	v_fmac_f64_e32 v[0:1], v[2:3], v[4:5]
	v_add_f64 v[52:53], v[44:45], v[96:97]
	v_add_f64 v[44:45], v[0:1], v[100:101]
	ds_read_b128 v[0:3], v113 offset:3120
	v_add_f64 v[42:43], v[98:99], v[42:43]
	s_waitcnt lgkmcnt(0)
	s_barrier
	v_mul_f64 v[94:95], v[2:3], v[18:19]
	v_mul_f64 v[18:19], v[0:1], v[18:19]
	v_fma_f64 v[94:95], v[0:1], v[16:17], -v[94:95]
	v_fmac_f64_e32 v[18:19], v[2:3], v[16:17]
	v_mul_f64 v[16:17], v[2:3], v[14:15]
	v_mul_f64 v[14:15], v[0:1], v[14:15]
	v_fma_f64 v[16:17], v[0:1], v[12:13], -v[16:17]
	v_fmac_f64_e32 v[14:15], v[2:3], v[12:13]
	;; [unrolled: 4-line block ×3, first 2 shown]
	v_mul_f64 v[8:9], v[2:3], v[6:7]
	v_fma_f64 v[8:9], v[0:1], v[4:5], -v[8:9]
	v_mul_f64 v[0:1], v[0:1], v[6:7]
	v_fmac_f64_e32 v[0:1], v[2:3], v[4:5]
	v_add_f64 v[78:79], v[78:79], v[94:95]
	v_add_f64 v[80:81], v[18:19], v[80:81]
	;; [unrolled: 1-line block ×8, first 2 shown]
	s_cbranch_vccnz .LBB267_2
	s_branch .LBB267_4
.LBB267_3:
	v_mov_b64_e32 v[54:55], 0
	v_mov_b64_e32 v[56:57], 0
	;; [unrolled: 1-line block ×32, first 2 shown]
.LBB267_4:
	s_load_dwordx2 s[0:1], s[0:1], 0x90
	v_lshl_add_u64 v[2:3], s[14:15], 0, v[26:27]
	v_cmp_neq_f64_e64 s[14:15], s[10:11], 0
	v_cmp_neq_f64_e64 s[20:21], s[12:13], 0
	s_mov_b64 s[8:9], 0
	s_waitcnt lgkmcnt(0)
	s_lshl_b64 s[0:1], s[0:1], 4
	s_add_u32 s0, s6, s0
	s_addc_u32 s1, s7, s1
	s_or_b64 s[6:7], s[14:15], s[20:21]
	v_lshl_add_u64 v[0:1], s[2:3], 0, v[24:25]
	s_and_b64 vcc, exec, s[6:7]
	s_cbranch_vccnz .LBB267_6
; %bb.5:
	v_mul_lo_u32 v6, v3, s22
	v_mul_lo_u32 v7, v2, s23
	v_mad_u64_u32 v[4:5], s[2:3], v2, s22, 0
	v_add3_u32 v5, v5, v7, v6
	v_lshl_add_u64 v[24:25], v[4:5], 4, s[0:1]
	v_mul_f64 v[4:5], s[40:41], v[56:57]
	v_mul_f64 v[6:7], s[38:39], v[56:57]
	v_lshlrev_b64 v[26:27], 4, v[0:1]
	v_fma_f64 v[4:5], s[38:39], v[54:55], -v[4:5]
	v_fmac_f64_e32 v[6:7], s[40:41], v[54:55]
	v_lshl_add_u64 v[28:29], v[24:25], 0, v[26:27]
	flat_store_dwordx4 v[28:29], v[4:7]
	s_lshl_b64 s[2:3], s[22:23], 8
	v_lshl_add_u64 v[24:25], v[24:25], 0, s[2:3]
	v_mul_f64 v[4:5], s[40:41], v[40:41]
	v_mul_f64 v[6:7], s[38:39], v[40:41]
	v_fma_f64 v[4:5], s[38:39], v[38:39], -v[4:5]
	v_fmac_f64_e32 v[6:7], s[40:41], v[38:39]
	flat_store_dwordx4 v[28:29], v[4:7] offset:256
	s_nop 1
	v_mul_f64 v[4:5], s[40:41], v[36:37]
	v_mul_f64 v[6:7], s[38:39], v[36:37]
	v_fma_f64 v[4:5], s[38:39], v[34:35], -v[4:5]
	v_fmac_f64_e32 v[6:7], s[40:41], v[34:35]
	flat_store_dwordx4 v[28:29], v[4:7] offset:512
	s_nop 1
	v_mul_f64 v[4:5], s[40:41], v[22:23]
	v_mul_f64 v[6:7], s[38:39], v[22:23]
	v_fma_f64 v[4:5], s[38:39], v[20:21], -v[4:5]
	v_fmac_f64_e32 v[6:7], s[40:41], v[20:21]
	flat_store_dwordx4 v[28:29], v[4:7] offset:768
	v_lshl_add_u64 v[28:29], v[24:25], 0, v[26:27]
	v_lshl_add_u64 v[24:25], v[24:25], 0, s[2:3]
	v_mul_f64 v[4:5], s[40:41], v[76:77]
	v_mul_f64 v[6:7], s[38:39], v[76:77]
	v_fma_f64 v[4:5], s[38:39], v[74:75], -v[4:5]
	v_fmac_f64_e32 v[6:7], s[40:41], v[74:75]
	flat_store_dwordx4 v[28:29], v[4:7]
	s_nop 1
	v_mul_f64 v[4:5], s[40:41], v[68:69]
	v_mul_f64 v[6:7], s[38:39], v[68:69]
	v_fma_f64 v[4:5], s[38:39], v[66:67], -v[4:5]
	v_fmac_f64_e32 v[6:7], s[40:41], v[66:67]
	flat_store_dwordx4 v[28:29], v[4:7] offset:256
	s_nop 1
	v_mul_f64 v[4:5], s[40:41], v[62:63]
	v_mul_f64 v[6:7], s[38:39], v[62:63]
	v_fma_f64 v[4:5], s[38:39], v[58:59], -v[4:5]
	v_fmac_f64_e32 v[6:7], s[40:41], v[58:59]
	flat_store_dwordx4 v[28:29], v[4:7] offset:512
	;; [unrolled: 6-line block ×3, first 2 shown]
	v_lshl_add_u64 v[28:29], v[24:25], 0, v[26:27]
	v_lshl_add_u64 v[24:25], v[24:25], 0, s[2:3]
	v_mul_f64 v[4:5], s[40:41], v[72:73]
	v_mul_f64 v[6:7], s[38:39], v[72:73]
	v_fma_f64 v[4:5], s[38:39], v[70:71], -v[4:5]
	v_fmac_f64_e32 v[6:7], s[40:41], v[70:71]
	flat_store_dwordx4 v[28:29], v[4:7]
	v_lshl_add_u64 v[24:25], v[24:25], 0, v[26:27]
	s_mov_b64 s[2:3], 0x300
	v_mul_f64 v[4:5], s[40:41], v[64:65]
	v_mul_f64 v[6:7], s[38:39], v[64:65]
	v_fma_f64 v[4:5], s[38:39], v[60:61], -v[4:5]
	v_fmac_f64_e32 v[6:7], s[40:41], v[60:61]
	flat_store_dwordx4 v[28:29], v[4:7] offset:256
	s_nop 1
	v_mul_f64 v[4:5], s[40:41], v[52:53]
	v_mul_f64 v[6:7], s[38:39], v[52:53]
	v_fma_f64 v[4:5], s[38:39], v[48:49], -v[4:5]
	v_fmac_f64_e32 v[6:7], s[40:41], v[48:49]
	flat_store_dwordx4 v[28:29], v[4:7] offset:512
	s_nop 1
	;; [unrolled: 6-line block ×3, first 2 shown]
	v_mul_f64 v[4:5], s[40:41], v[80:81]
	v_mul_f64 v[6:7], s[38:39], v[80:81]
	v_fma_f64 v[4:5], s[38:39], v[78:79], -v[4:5]
	v_fmac_f64_e32 v[6:7], s[40:41], v[78:79]
	flat_store_dwordx4 v[24:25], v[4:7]
	s_nop 1
	v_mul_f64 v[4:5], s[40:41], v[18:19]
	v_mul_f64 v[6:7], s[38:39], v[18:19]
	v_fma_f64 v[4:5], s[38:39], v[16:17], -v[4:5]
	v_fmac_f64_e32 v[6:7], s[40:41], v[16:17]
	flat_store_dwordx4 v[24:25], v[4:7] offset:256
	s_nop 1
	v_mul_f64 v[4:5], s[40:41], v[14:15]
	v_mul_f64 v[6:7], s[38:39], v[14:15]
	v_fma_f64 v[4:5], s[38:39], v[12:13], -v[4:5]
	v_fmac_f64_e32 v[6:7], s[40:41], v[12:13]
	flat_store_dwordx4 v[24:25], v[4:7] offset:512
	s_nop 1
	v_mul_f64 v[4:5], s[40:41], v[10:11]
	v_fma_f64 v[26:27], s[38:39], v[8:9], -v[4:5]
	v_mul_f64 v[4:5], s[38:39], v[10:11]
	v_fmac_f64_e32 v[4:5], s[40:41], v[8:9]
	v_lshl_add_u64 v[6:7], v[24:25], 0, s[2:3]
	flat_store_dwordx2 v[24:25], v[26:27] offset:768
	s_andn2_b64 vcc, exec, s[8:9]
	s_cbranch_vccz .LBB267_7
	s_branch .LBB267_8
.LBB267_6:
                                        ; implicit-def: $vgpr4_vgpr5
                                        ; implicit-def: $vgpr6_vgpr7
.LBB267_7:
	s_lshl_b64 s[2:3], s[18:19], 4
	s_add_u32 s2, s4, s2
	s_addc_u32 s3, s5, s3
	v_mul_lo_u32 v6, v3, s16
	v_mul_lo_u32 v7, v2, s17
	v_mad_u64_u32 v[4:5], s[4:5], v2, s16, 0
	v_add3_u32 v5, v5, v7, v6
	v_lshl_add_u64 v[24:25], v[4:5], 4, s[2:3]
	v_lshlrev_b64 v[0:1], 4, v[0:1]
	v_lshl_add_u64 v[26:27], v[24:25], 0, v[0:1]
	flat_load_dwordx4 v[4:7], v[26:27]
	v_mul_lo_u32 v32, v3, s22
	v_mul_lo_u32 v33, v2, s23
	v_mad_u64_u32 v[2:3], s[2:3], v2, s22, 0
	v_add3_u32 v3, v3, v33, v32
	v_mul_f64 v[28:29], s[40:41], v[56:57]
	v_mul_f64 v[30:31], s[38:39], v[56:57]
	v_lshl_add_u64 v[32:33], v[2:3], 4, s[0:1]
	v_fma_f64 v[28:29], s[38:39], v[54:55], -v[28:29]
	v_fmac_f64_e32 v[30:31], s[40:41], v[54:55]
	v_lshl_add_u64 v[54:55], v[32:33], 0, v[0:1]
	s_lshl_b64 s[0:1], s[16:17], 8
	s_lshl_b64 s[2:3], s[22:23], 8
	s_waitcnt vmcnt(0) lgkmcnt(0)
	v_mul_f64 v[2:3], s[12:13], v[6:7]
	v_mul_f64 v[6:7], s[10:11], v[6:7]
	v_fma_f64 v[2:3], s[10:11], v[4:5], -v[2:3]
	v_fmac_f64_e32 v[6:7], s[12:13], v[4:5]
	v_add_f64 v[2:3], v[28:29], v[2:3]
	v_add_f64 v[4:5], v[30:31], v[6:7]
	flat_store_dwordx4 v[54:55], v[2:5]
	flat_load_dwordx4 v[2:5], v[26:27] offset:256
	v_mul_f64 v[6:7], s[40:41], v[40:41]
	v_mul_f64 v[28:29], s[38:39], v[40:41]
	v_fma_f64 v[6:7], s[38:39], v[38:39], -v[6:7]
	v_fmac_f64_e32 v[28:29], s[40:41], v[38:39]
	s_waitcnt vmcnt(0) lgkmcnt(0)
	v_mul_f64 v[30:31], s[12:13], v[4:5]
	v_mul_f64 v[4:5], s[10:11], v[4:5]
	v_fma_f64 v[30:31], s[10:11], v[2:3], -v[30:31]
	v_fmac_f64_e32 v[4:5], s[12:13], v[2:3]
	v_add_f64 v[2:3], v[6:7], v[30:31]
	v_add_f64 v[4:5], v[28:29], v[4:5]
	flat_store_dwordx4 v[54:55], v[2:5] offset:256
	flat_load_dwordx4 v[2:5], v[26:27] offset:512
	v_mul_f64 v[6:7], s[40:41], v[36:37]
	v_mul_f64 v[28:29], s[38:39], v[36:37]
	v_fma_f64 v[6:7], s[38:39], v[34:35], -v[6:7]
	v_fmac_f64_e32 v[28:29], s[40:41], v[34:35]
	s_waitcnt vmcnt(0) lgkmcnt(0)
	v_mul_f64 v[30:31], s[12:13], v[4:5]
	v_mul_f64 v[4:5], s[10:11], v[4:5]
	v_fma_f64 v[30:31], s[10:11], v[2:3], -v[30:31]
	v_fmac_f64_e32 v[4:5], s[12:13], v[2:3]
	v_add_f64 v[2:3], v[6:7], v[30:31]
	v_add_f64 v[4:5], v[28:29], v[4:5]
	flat_store_dwordx4 v[54:55], v[2:5] offset:512
	flat_load_dwordx4 v[2:5], v[26:27] offset:768
	v_mul_f64 v[6:7], s[40:41], v[22:23]
	v_mul_f64 v[22:23], s[38:39], v[22:23]
	v_fma_f64 v[6:7], s[38:39], v[20:21], -v[6:7]
	v_fmac_f64_e32 v[22:23], s[40:41], v[20:21]
	v_lshl_add_u64 v[20:21], v[24:25], 0, s[0:1]
	v_lshl_add_u64 v[24:25], v[20:21], 0, v[0:1]
	;; [unrolled: 1-line block ×3, first 2 shown]
	s_waitcnt vmcnt(0) lgkmcnt(0)
	v_mul_f64 v[26:27], s[12:13], v[4:5]
	v_mul_f64 v[4:5], s[10:11], v[4:5]
	v_fma_f64 v[26:27], s[10:11], v[2:3], -v[26:27]
	v_fmac_f64_e32 v[4:5], s[12:13], v[2:3]
	v_add_f64 v[2:3], v[6:7], v[26:27]
	v_add_f64 v[4:5], v[22:23], v[4:5]
	flat_store_dwordx4 v[54:55], v[2:5] offset:768
	flat_load_dwordx4 v[2:5], v[24:25]
	v_mul_f64 v[6:7], s[40:41], v[76:77]
	v_mul_f64 v[22:23], s[38:39], v[76:77]
	v_fma_f64 v[6:7], s[38:39], v[74:75], -v[6:7]
	v_fmac_f64_e32 v[22:23], s[40:41], v[74:75]
	v_lshl_add_u64 v[26:27], v[32:33], 0, s[2:3]
	v_lshl_add_u64 v[28:29], v[26:27], 0, v[0:1]
	;; [unrolled: 1-line block ×3, first 2 shown]
	s_waitcnt vmcnt(0) lgkmcnt(0)
	v_mul_f64 v[30:31], s[12:13], v[4:5]
	v_mul_f64 v[4:5], s[10:11], v[4:5]
	v_fma_f64 v[30:31], s[10:11], v[2:3], -v[30:31]
	v_fmac_f64_e32 v[4:5], s[12:13], v[2:3]
	v_add_f64 v[2:3], v[6:7], v[30:31]
	v_add_f64 v[4:5], v[22:23], v[4:5]
	flat_store_dwordx4 v[28:29], v[2:5]
	flat_load_dwordx4 v[2:5], v[24:25] offset:256
	v_mul_f64 v[6:7], s[40:41], v[68:69]
	v_mul_f64 v[22:23], s[38:39], v[68:69]
	v_fma_f64 v[6:7], s[38:39], v[66:67], -v[6:7]
	v_fmac_f64_e32 v[22:23], s[40:41], v[66:67]
	s_waitcnt vmcnt(0) lgkmcnt(0)
	v_mul_f64 v[30:31], s[12:13], v[4:5]
	v_mul_f64 v[4:5], s[10:11], v[4:5]
	v_fma_f64 v[30:31], s[10:11], v[2:3], -v[30:31]
	v_fmac_f64_e32 v[4:5], s[12:13], v[2:3]
	v_add_f64 v[2:3], v[6:7], v[30:31]
	v_add_f64 v[4:5], v[22:23], v[4:5]
	flat_store_dwordx4 v[28:29], v[2:5] offset:256
	flat_load_dwordx4 v[2:5], v[24:25] offset:512
	v_mul_f64 v[6:7], s[40:41], v[62:63]
	v_mul_f64 v[22:23], s[38:39], v[62:63]
	v_fma_f64 v[6:7], s[38:39], v[58:59], -v[6:7]
	v_fmac_f64_e32 v[22:23], s[40:41], v[58:59]
	s_waitcnt vmcnt(0) lgkmcnt(0)
	v_mul_f64 v[30:31], s[12:13], v[4:5]
	v_mul_f64 v[4:5], s[10:11], v[4:5]
	v_fma_f64 v[30:31], s[10:11], v[2:3], -v[30:31]
	v_fmac_f64_e32 v[4:5], s[12:13], v[2:3]
	v_add_f64 v[2:3], v[6:7], v[30:31]
	v_add_f64 v[4:5], v[22:23], v[4:5]
	flat_store_dwordx4 v[28:29], v[2:5] offset:512
	flat_load_dwordx4 v[2:5], v[24:25] offset:768
	v_mul_f64 v[6:7], s[40:41], v[50:51]
	v_mul_f64 v[22:23], s[38:39], v[50:51]
	v_fma_f64 v[6:7], s[38:39], v[46:47], -v[6:7]
	v_fmac_f64_e32 v[22:23], s[40:41], v[46:47]
	v_lshl_add_u64 v[24:25], v[20:21], 0, v[0:1]
	v_lshl_add_u64 v[20:21], v[20:21], 0, s[0:1]
	;; [unrolled: 1-line block ×3, first 2 shown]
	s_mov_b64 s[0:1], 0x300
	s_waitcnt vmcnt(0) lgkmcnt(0)
	v_mul_f64 v[30:31], s[12:13], v[4:5]
	v_mul_f64 v[4:5], s[10:11], v[4:5]
	v_fma_f64 v[30:31], s[10:11], v[2:3], -v[30:31]
	v_fmac_f64_e32 v[4:5], s[12:13], v[2:3]
	v_add_f64 v[2:3], v[6:7], v[30:31]
	v_add_f64 v[4:5], v[22:23], v[4:5]
	flat_store_dwordx4 v[28:29], v[2:5] offset:768
	flat_load_dwordx4 v[2:5], v[24:25]
	v_mul_f64 v[6:7], s[40:41], v[72:73]
	v_mul_f64 v[22:23], s[38:39], v[72:73]
	v_fma_f64 v[6:7], s[38:39], v[70:71], -v[6:7]
	v_fmac_f64_e32 v[22:23], s[40:41], v[70:71]
	v_lshl_add_u64 v[28:29], v[26:27], 0, v[0:1]
	s_waitcnt vmcnt(0) lgkmcnt(0)
	v_mul_f64 v[30:31], s[12:13], v[4:5]
	v_mul_f64 v[4:5], s[10:11], v[4:5]
	v_fma_f64 v[30:31], s[10:11], v[2:3], -v[30:31]
	v_fmac_f64_e32 v[4:5], s[12:13], v[2:3]
	v_add_f64 v[2:3], v[6:7], v[30:31]
	v_add_f64 v[4:5], v[22:23], v[4:5]
	flat_store_dwordx4 v[28:29], v[2:5]
	flat_load_dwordx4 v[2:5], v[24:25] offset:256
	v_mul_f64 v[6:7], s[40:41], v[64:65]
	v_mul_f64 v[22:23], s[38:39], v[64:65]
	v_fma_f64 v[6:7], s[38:39], v[60:61], -v[6:7]
	v_fmac_f64_e32 v[22:23], s[40:41], v[60:61]
	s_waitcnt vmcnt(0) lgkmcnt(0)
	v_mul_f64 v[30:31], s[12:13], v[4:5]
	v_mul_f64 v[4:5], s[10:11], v[4:5]
	v_fma_f64 v[30:31], s[10:11], v[2:3], -v[30:31]
	v_fmac_f64_e32 v[4:5], s[12:13], v[2:3]
	v_add_f64 v[2:3], v[6:7], v[30:31]
	v_add_f64 v[4:5], v[22:23], v[4:5]
	flat_store_dwordx4 v[28:29], v[2:5] offset:256
	flat_load_dwordx4 v[2:5], v[24:25] offset:512
	v_mul_f64 v[6:7], s[40:41], v[52:53]
	v_mul_f64 v[22:23], s[38:39], v[52:53]
	v_fma_f64 v[6:7], s[38:39], v[48:49], -v[6:7]
	v_fmac_f64_e32 v[22:23], s[40:41], v[48:49]
	s_waitcnt vmcnt(0) lgkmcnt(0)
	v_mul_f64 v[30:31], s[12:13], v[4:5]
	v_mul_f64 v[4:5], s[10:11], v[4:5]
	v_fma_f64 v[30:31], s[10:11], v[2:3], -v[30:31]
	v_fmac_f64_e32 v[4:5], s[12:13], v[2:3]
	v_add_f64 v[2:3], v[6:7], v[30:31]
	v_add_f64 v[4:5], v[22:23], v[4:5]
	flat_store_dwordx4 v[28:29], v[2:5] offset:512
	;; [unrolled: 13-line block ×3, first 2 shown]
	flat_load_dwordx4 v[2:5], v[20:21]
	v_lshl_add_u64 v[24:25], v[26:27], 0, s[2:3]
	v_mul_f64 v[6:7], s[40:41], v[80:81]
	v_mul_f64 v[22:23], s[38:39], v[80:81]
	v_lshl_add_u64 v[24:25], v[24:25], 0, v[0:1]
	v_fma_f64 v[6:7], s[38:39], v[78:79], -v[6:7]
	v_fmac_f64_e32 v[22:23], s[40:41], v[78:79]
	s_waitcnt vmcnt(0) lgkmcnt(0)
	v_mul_f64 v[0:1], s[12:13], v[4:5]
	v_mul_f64 v[4:5], s[10:11], v[4:5]
	v_fma_f64 v[0:1], s[10:11], v[2:3], -v[0:1]
	v_fmac_f64_e32 v[4:5], s[12:13], v[2:3]
	v_add_f64 v[0:1], v[6:7], v[0:1]
	v_add_f64 v[2:3], v[22:23], v[4:5]
	flat_store_dwordx4 v[24:25], v[0:3]
	flat_load_dwordx4 v[0:3], v[20:21] offset:256
	v_mul_f64 v[4:5], s[40:41], v[18:19]
	v_mul_f64 v[6:7], s[38:39], v[18:19]
	v_fma_f64 v[4:5], s[38:39], v[16:17], -v[4:5]
	v_fmac_f64_e32 v[6:7], s[40:41], v[16:17]
	s_waitcnt vmcnt(0) lgkmcnt(0)
	v_mul_f64 v[16:17], s[12:13], v[2:3]
	v_mul_f64 v[2:3], s[10:11], v[2:3]
	v_fma_f64 v[16:17], s[10:11], v[0:1], -v[16:17]
	v_fmac_f64_e32 v[2:3], s[12:13], v[0:1]
	v_add_f64 v[0:1], v[4:5], v[16:17]
	v_add_f64 v[2:3], v[6:7], v[2:3]
	flat_store_dwordx4 v[24:25], v[0:3] offset:256
	flat_load_dwordx4 v[0:3], v[20:21] offset:512
	v_mul_f64 v[4:5], s[40:41], v[14:15]
	v_mul_f64 v[6:7], s[38:39], v[14:15]
	v_fma_f64 v[4:5], s[38:39], v[12:13], -v[4:5]
	v_fmac_f64_e32 v[6:7], s[40:41], v[12:13]
	s_waitcnt vmcnt(0) lgkmcnt(0)
	v_mul_f64 v[12:13], s[12:13], v[2:3]
	v_mul_f64 v[2:3], s[10:11], v[2:3]
	v_fma_f64 v[12:13], s[10:11], v[0:1], -v[12:13]
	v_fmac_f64_e32 v[2:3], s[12:13], v[0:1]
	v_add_f64 v[0:1], v[4:5], v[12:13]
	v_add_f64 v[2:3], v[6:7], v[2:3]
	flat_store_dwordx4 v[24:25], v[0:3] offset:512
	flat_load_dwordx4 v[0:3], v[20:21] offset:768
	v_mul_f64 v[4:5], s[40:41], v[10:11]
	v_mul_f64 v[6:7], s[38:39], v[10:11]
	v_fma_f64 v[4:5], s[38:39], v[8:9], -v[4:5]
	v_fmac_f64_e32 v[6:7], s[40:41], v[8:9]
	s_waitcnt vmcnt(0) lgkmcnt(0)
	v_mul_f64 v[8:9], s[12:13], v[2:3]
	v_mul_f64 v[2:3], s[10:11], v[2:3]
	v_fma_f64 v[8:9], s[10:11], v[0:1], -v[8:9]
	v_fmac_f64_e32 v[2:3], s[12:13], v[0:1]
	v_add_f64 v[0:1], v[4:5], v[8:9]
	v_add_f64 v[4:5], v[6:7], v[2:3]
	v_lshl_add_u64 v[6:7], v[24:25], 0, s[0:1]
	flat_store_dwordx2 v[24:25], v[0:1] offset:768
.LBB267_8:
	flat_store_dwordx2 v[6:7], v[4:5] offset:8
	s_endpgm
	.section	.rodata,"a",@progbits
	.p2align	6, 0x0
	.amdhsa_kernel _ZN12_GLOBAL__N_127rocblas_gemm_batched_kernelI19rocblas_complex_numIdELi16ELi16ELi64ELi64ELi4ELi64ELi4ELi4ELi64ELc67ELc67EKPKS2_S5_KPS2_EEvlllT_PT11_llSA_llS8_PT12_llPT13_lli
		.amdhsa_group_segment_fixed_size 8192
		.amdhsa_private_segment_fixed_size 0
		.amdhsa_kernarg_size 156
		.amdhsa_user_sgpr_count 2
		.amdhsa_user_sgpr_dispatch_ptr 0
		.amdhsa_user_sgpr_queue_ptr 0
		.amdhsa_user_sgpr_kernarg_segment_ptr 1
		.amdhsa_user_sgpr_dispatch_id 0
		.amdhsa_user_sgpr_kernarg_preload_length 0
		.amdhsa_user_sgpr_kernarg_preload_offset 0
		.amdhsa_user_sgpr_private_segment_size 0
		.amdhsa_uses_dynamic_stack 0
		.amdhsa_enable_private_segment 0
		.amdhsa_system_sgpr_workgroup_id_x 1
		.amdhsa_system_sgpr_workgroup_id_y 1
		.amdhsa_system_sgpr_workgroup_id_z 1
		.amdhsa_system_sgpr_workgroup_info 0
		.amdhsa_system_vgpr_workitem_id 1
		.amdhsa_next_free_vgpr 138
		.amdhsa_next_free_sgpr 52
		.amdhsa_accum_offset 140
		.amdhsa_reserve_vcc 1
		.amdhsa_float_round_mode_32 0
		.amdhsa_float_round_mode_16_64 0
		.amdhsa_float_denorm_mode_32 3
		.amdhsa_float_denorm_mode_16_64 3
		.amdhsa_dx10_clamp 1
		.amdhsa_ieee_mode 1
		.amdhsa_fp16_overflow 0
		.amdhsa_tg_split 0
		.amdhsa_exception_fp_ieee_invalid_op 0
		.amdhsa_exception_fp_denorm_src 0
		.amdhsa_exception_fp_ieee_div_zero 0
		.amdhsa_exception_fp_ieee_overflow 0
		.amdhsa_exception_fp_ieee_underflow 0
		.amdhsa_exception_fp_ieee_inexact 0
		.amdhsa_exception_int_div_zero 0
	.end_amdhsa_kernel
	.section	.text._ZN12_GLOBAL__N_127rocblas_gemm_batched_kernelI19rocblas_complex_numIdELi16ELi16ELi64ELi64ELi4ELi64ELi4ELi4ELi64ELc67ELc67EKPKS2_S5_KPS2_EEvlllT_PT11_llSA_llS8_PT12_llPT13_lli,"axG",@progbits,_ZN12_GLOBAL__N_127rocblas_gemm_batched_kernelI19rocblas_complex_numIdELi16ELi16ELi64ELi64ELi4ELi64ELi4ELi4ELi64ELc67ELc67EKPKS2_S5_KPS2_EEvlllT_PT11_llSA_llS8_PT12_llPT13_lli,comdat
.Lfunc_end267:
	.size	_ZN12_GLOBAL__N_127rocblas_gemm_batched_kernelI19rocblas_complex_numIdELi16ELi16ELi64ELi64ELi4ELi64ELi4ELi4ELi64ELc67ELc67EKPKS2_S5_KPS2_EEvlllT_PT11_llSA_llS8_PT12_llPT13_lli, .Lfunc_end267-_ZN12_GLOBAL__N_127rocblas_gemm_batched_kernelI19rocblas_complex_numIdELi16ELi16ELi64ELi64ELi4ELi64ELi4ELi4ELi64ELc67ELc67EKPKS2_S5_KPS2_EEvlllT_PT11_llSA_llS8_PT12_llPT13_lli
                                        ; -- End function
	.set _ZN12_GLOBAL__N_127rocblas_gemm_batched_kernelI19rocblas_complex_numIdELi16ELi16ELi64ELi64ELi4ELi64ELi4ELi4ELi64ELc67ELc67EKPKS2_S5_KPS2_EEvlllT_PT11_llSA_llS8_PT12_llPT13_lli.num_vgpr, 138
	.set _ZN12_GLOBAL__N_127rocblas_gemm_batched_kernelI19rocblas_complex_numIdELi16ELi16ELi64ELi64ELi4ELi64ELi4ELi4ELi64ELc67ELc67EKPKS2_S5_KPS2_EEvlllT_PT11_llSA_llS8_PT12_llPT13_lli.num_agpr, 0
	.set _ZN12_GLOBAL__N_127rocblas_gemm_batched_kernelI19rocblas_complex_numIdELi16ELi16ELi64ELi64ELi4ELi64ELi4ELi4ELi64ELc67ELc67EKPKS2_S5_KPS2_EEvlllT_PT11_llSA_llS8_PT12_llPT13_lli.numbered_sgpr, 52
	.set _ZN12_GLOBAL__N_127rocblas_gemm_batched_kernelI19rocblas_complex_numIdELi16ELi16ELi64ELi64ELi4ELi64ELi4ELi4ELi64ELc67ELc67EKPKS2_S5_KPS2_EEvlllT_PT11_llSA_llS8_PT12_llPT13_lli.num_named_barrier, 0
	.set _ZN12_GLOBAL__N_127rocblas_gemm_batched_kernelI19rocblas_complex_numIdELi16ELi16ELi64ELi64ELi4ELi64ELi4ELi4ELi64ELc67ELc67EKPKS2_S5_KPS2_EEvlllT_PT11_llSA_llS8_PT12_llPT13_lli.private_seg_size, 0
	.set _ZN12_GLOBAL__N_127rocblas_gemm_batched_kernelI19rocblas_complex_numIdELi16ELi16ELi64ELi64ELi4ELi64ELi4ELi4ELi64ELc67ELc67EKPKS2_S5_KPS2_EEvlllT_PT11_llSA_llS8_PT12_llPT13_lli.uses_vcc, 1
	.set _ZN12_GLOBAL__N_127rocblas_gemm_batched_kernelI19rocblas_complex_numIdELi16ELi16ELi64ELi64ELi4ELi64ELi4ELi4ELi64ELc67ELc67EKPKS2_S5_KPS2_EEvlllT_PT11_llSA_llS8_PT12_llPT13_lli.uses_flat_scratch, 0
	.set _ZN12_GLOBAL__N_127rocblas_gemm_batched_kernelI19rocblas_complex_numIdELi16ELi16ELi64ELi64ELi4ELi64ELi4ELi4ELi64ELc67ELc67EKPKS2_S5_KPS2_EEvlllT_PT11_llSA_llS8_PT12_llPT13_lli.has_dyn_sized_stack, 0
	.set _ZN12_GLOBAL__N_127rocblas_gemm_batched_kernelI19rocblas_complex_numIdELi16ELi16ELi64ELi64ELi4ELi64ELi4ELi4ELi64ELc67ELc67EKPKS2_S5_KPS2_EEvlllT_PT11_llSA_llS8_PT12_llPT13_lli.has_recursion, 0
	.set _ZN12_GLOBAL__N_127rocblas_gemm_batched_kernelI19rocblas_complex_numIdELi16ELi16ELi64ELi64ELi4ELi64ELi4ELi4ELi64ELc67ELc67EKPKS2_S5_KPS2_EEvlllT_PT11_llSA_llS8_PT12_llPT13_lli.has_indirect_call, 0
	.section	.AMDGPU.csdata,"",@progbits
; Kernel info:
; codeLenInByte = 6476
; TotalNumSgprs: 58
; NumVgprs: 138
; NumAgprs: 0
; TotalNumVgprs: 138
; ScratchSize: 0
; MemoryBound: 0
; FloatMode: 240
; IeeeMode: 1
; LDSByteSize: 8192 bytes/workgroup (compile time only)
; SGPRBlocks: 7
; VGPRBlocks: 17
; NumSGPRsForWavesPerEU: 58
; NumVGPRsForWavesPerEU: 138
; AccumOffset: 140
; Occupancy: 3
; WaveLimiterHint : 1
; COMPUTE_PGM_RSRC2:SCRATCH_EN: 0
; COMPUTE_PGM_RSRC2:USER_SGPR: 2
; COMPUTE_PGM_RSRC2:TRAP_HANDLER: 0
; COMPUTE_PGM_RSRC2:TGID_X_EN: 1
; COMPUTE_PGM_RSRC2:TGID_Y_EN: 1
; COMPUTE_PGM_RSRC2:TGID_Z_EN: 1
; COMPUTE_PGM_RSRC2:TIDIG_COMP_CNT: 1
; COMPUTE_PGM_RSRC3_GFX90A:ACCUM_OFFSET: 34
; COMPUTE_PGM_RSRC3_GFX90A:TG_SPLIT: 0
	.section	.text._ZN12_GLOBAL__N_127rocblas_gemm_batched_kernelI19rocblas_complex_numIdELi16ELi16ELi64ELi64ELi4ELi64ELi4ELi4ELi64ELc67ELc78EKPKS2_S5_KPS2_EEvlllT_PT11_llSA_llS8_PT12_llPT13_lli,"axG",@progbits,_ZN12_GLOBAL__N_127rocblas_gemm_batched_kernelI19rocblas_complex_numIdELi16ELi16ELi64ELi64ELi4ELi64ELi4ELi4ELi64ELc67ELc78EKPKS2_S5_KPS2_EEvlllT_PT11_llSA_llS8_PT12_llPT13_lli,comdat
	.globl	_ZN12_GLOBAL__N_127rocblas_gemm_batched_kernelI19rocblas_complex_numIdELi16ELi16ELi64ELi64ELi4ELi64ELi4ELi4ELi64ELc67ELc78EKPKS2_S5_KPS2_EEvlllT_PT11_llSA_llS8_PT12_llPT13_lli ; -- Begin function _ZN12_GLOBAL__N_127rocblas_gemm_batched_kernelI19rocblas_complex_numIdELi16ELi16ELi64ELi64ELi4ELi64ELi4ELi4ELi64ELc67ELc78EKPKS2_S5_KPS2_EEvlllT_PT11_llSA_llS8_PT12_llPT13_lli
	.p2align	8
	.type	_ZN12_GLOBAL__N_127rocblas_gemm_batched_kernelI19rocblas_complex_numIdELi16ELi16ELi64ELi64ELi4ELi64ELi4ELi4ELi64ELc67ELc78EKPKS2_S5_KPS2_EEvlllT_PT11_llSA_llS8_PT12_llPT13_lli,@function
_ZN12_GLOBAL__N_127rocblas_gemm_batched_kernelI19rocblas_complex_numIdELi16ELi16ELi64ELi64ELi4ELi64ELi4ELi4ELi64ELc67ELc78EKPKS2_S5_KPS2_EEvlllT_PT11_llSA_llS8_PT12_llPT13_lli: ; @_ZN12_GLOBAL__N_127rocblas_gemm_batched_kernelI19rocblas_complex_numIdELi16ELi16ELi64ELi64ELi4ELi64ELi4ELi4ELi64ELc67ELc78EKPKS2_S5_KPS2_EEvlllT_PT11_llSA_llS8_PT12_llPT13_lli
; %bb.0:
	s_load_dwordx16 s[36:51], s[0:1], 0x10
	s_load_dwordx16 s[8:23], s[0:1], 0x50
	s_mov_b32 s5, 0
	s_lshl_b64 s[24:25], s[4:5], 3
	s_mov_b32 s26, s3
	v_mov_b32_e32 v27, 0
	s_waitcnt lgkmcnt(0)
	s_add_u32 s4, s14, s24
	s_addc_u32 s5, s15, s25
	s_add_u32 s6, s20, s24
	s_addc_u32 s7, s21, s25
	s_load_dwordx2 s[4:5], s[4:5], 0x0
	s_ashr_i32 s3, s2, 31
	s_load_dwordx2 s[6:7], s[6:7], 0x0
	s_ashr_i32 s27, s26, 31
	v_cmp_lt_i64_e64 s[20:21], s[36:37], 1
	v_bfe_u32 v26, v0, 10, 10
	v_and_b32_e32 v24, 0x3ff, v0
	v_mov_b32_e32 v25, v27
	s_lshl_b64 s[2:3], s[2:3], 6
	s_lshl_b64 s[14:15], s[26:27], 6
	s_and_b64 vcc, exec, s[20:21]
	s_cbranch_vccnz .LBB268_3
; %bb.1:
	v_lshl_add_u32 v6, v26, 4, v24
	v_lshrrev_b32_e32 v0, 2, v6
	v_mov_b32_e32 v1, v27
	v_and_b32_e32 v4, 63, v6
	v_lshl_add_u64 v[2:3], v[0:1], 0, s[14:15]
	v_and_b32_e32 v1, 3, v24
	v_lshrrev_b32_e32 v7, 6, v6
	v_lshlrev_b32_e32 v6, 4, v4
	v_lshl_or_b32 v110, v7, 10, v6
	v_lshlrev_b32_e32 v6, 4, v1
	s_add_u32 s20, s42, s24
	v_lshl_or_b32 v0, v0, 6, v6
	s_addc_u32 s21, s43, s25
	v_mov_b32_e32 v5, v27
	v_add_u32_e32 v111, 0x1000, v0
	v_mov_b32_e32 v0, 0x1000
	s_load_dwordx2 s[20:21], s[20:21], 0x0
	v_lshl_add_u32 v113, v26, 6, v0
	v_lshl_add_u64 v[0:1], s[2:3], 0, v[4:5]
	s_add_u32 s24, s48, s24
	v_mul_lo_u32 v4, s45, v0
	v_mul_lo_u32 v5, s44, v1
	v_mad_u64_u32 v[0:1], s[26:27], s44, v0, 0
	s_addc_u32 s25, s49, s25
	v_add3_u32 v1, v1, v5, v4
	s_lshl_b64 s[26:27], s[46:47], 4
	v_lshl_add_u64 v[0:1], v[0:1], 4, s[26:27]
	v_lshlrev_b32_e32 v4, 4, v7
	v_mov_b32_e32 v5, v27
	s_load_dwordx2 s[24:25], s[24:25], 0x0
	v_lshl_add_u64 v[0:1], v[0:1], 0, v[4:5]
	s_waitcnt lgkmcnt(0)
	v_lshl_add_u64 v[28:29], s[20:21], 0, v[0:1]
	v_mul_lo_u32 v4, s51, v2
	v_mul_lo_u32 v3, s50, v3
	v_mad_u64_u32 v[0:1], s[20:21], s50, v2, 0
	v_add3_u32 v1, v1, v3, v4
	s_lshl_b64 s[8:9], s[8:9], 4
	v_lshl_add_u64 v[0:1], v[0:1], 4, s[8:9]
	v_mov_b32_e32 v7, v27
	v_lshl_add_u64 v[0:1], v[0:1], 0, v[6:7]
	v_lshlrev_b32_e32 v112, 4, v24
	v_lshl_add_u64 v[30:31], s[24:25], 0, v[0:1]
	s_mov_b64 s[8:9], 0
	v_mov_b64_e32 v[10:11], 0
	v_mov_b64_e32 v[32:33], s[36:37]
	;; [unrolled: 1-line block ×33, first 2 shown]
.LBB268_2:                              ; =>This Inner Loop Header: Depth=1
	flat_load_dwordx4 v[0:3], v[28:29]
	s_add_u32 s8, s8, 4
	s_addc_u32 s9, s9, 0
	v_cmp_lt_i64_e32 vcc, s[8:9], v[32:33]
	v_lshl_add_u64 v[28:29], v[28:29], 0, 64
	s_and_b64 vcc, exec, vcc
	s_waitcnt vmcnt(0) lgkmcnt(0)
	v_xor_b32_e32 v3, 0x80000000, v3
	ds_write_b128 v110, v[0:3]
	flat_load_dwordx4 v[0:3], v[30:31]
	v_lshl_add_u64 v[30:31], v[30:31], 0, 64
	s_waitcnt vmcnt(0) lgkmcnt(0)
	ds_write2_b64 v111, v[0:1], v[2:3] offset1:1
	s_waitcnt lgkmcnt(0)
	s_barrier
	ds_read_b128 v[82:85], v113
	ds_read_b128 v[114:117], v113 offset:16
	ds_read_b128 v[4:7], v113 offset:32
	;; [unrolled: 1-line block ×3, first 2 shown]
	ds_read_b128 v[118:121], v112
	s_waitcnt lgkmcnt(0)
	v_mul_f64 v[86:87], v[84:85], v[120:121]
	v_mul_f64 v[88:89], v[82:83], v[120:121]
	v_fma_f64 v[86:87], v[82:83], v[118:119], -v[86:87]
	v_fmac_f64_e32 v[88:89], v[84:85], v[118:119]
	v_add_f64 v[122:123], v[54:55], v[86:87]
	v_add_f64 v[124:125], v[88:89], v[56:57]
	ds_read_b128 v[54:57], v112 offset:256
	s_waitcnt lgkmcnt(0)
	v_mul_f64 v[86:87], v[84:85], v[56:57]
	v_mul_f64 v[88:89], v[82:83], v[56:57]
	v_fma_f64 v[86:87], v[82:83], v[54:55], -v[86:87]
	v_fmac_f64_e32 v[88:89], v[84:85], v[54:55]
	v_add_f64 v[126:127], v[38:39], v[86:87]
	v_add_f64 v[128:129], v[88:89], v[40:41]
	ds_read_b128 v[38:41], v112 offset:512
	;; [unrolled: 8-line block ×3, first 2 shown]
	s_waitcnt lgkmcnt(0)
	v_mul_f64 v[86:87], v[84:85], v[36:37]
	v_fma_f64 v[86:87], v[82:83], v[34:35], -v[86:87]
	v_mul_f64 v[82:83], v[82:83], v[36:37]
	v_fmac_f64_e32 v[82:83], v[84:85], v[34:35]
	v_add_f64 v[134:135], v[20:21], v[86:87]
	v_add_f64 v[136:137], v[82:83], v[22:23]
	ds_read_b128 v[20:23], v113 offset:1024
	s_waitcnt lgkmcnt(0)
	v_mul_f64 v[82:83], v[22:23], v[120:121]
	v_fma_f64 v[82:83], v[20:21], v[118:119], -v[82:83]
	v_add_f64 v[74:75], v[74:75], v[82:83]
	v_mul_f64 v[82:83], v[22:23], v[56:57]
	v_mul_f64 v[84:85], v[20:21], v[120:121]
	v_fma_f64 v[82:83], v[20:21], v[54:55], -v[82:83]
	v_fmac_f64_e32 v[84:85], v[22:23], v[118:119]
	v_add_f64 v[98:99], v[66:67], v[82:83]
	v_mul_f64 v[66:67], v[22:23], v[40:41]
	v_add_f64 v[76:77], v[84:85], v[76:77]
	v_mul_f64 v[84:85], v[20:21], v[56:57]
	v_fma_f64 v[66:67], v[20:21], v[38:39], -v[66:67]
	v_fmac_f64_e32 v[84:85], v[22:23], v[54:55]
	v_add_f64 v[102:103], v[58:59], v[66:67]
	v_mul_f64 v[58:59], v[22:23], v[36:37]
	v_add_f64 v[100:101], v[84:85], v[68:69]
	v_mul_f64 v[68:69], v[20:21], v[40:41]
	v_fma_f64 v[58:59], v[20:21], v[34:35], -v[58:59]
	v_mul_f64 v[20:21], v[20:21], v[36:37]
	v_fmac_f64_e32 v[20:21], v[22:23], v[34:35]
	v_fmac_f64_e32 v[68:69], v[22:23], v[38:39]
	v_add_f64 v[108:109], v[20:21], v[50:51]
	ds_read_b128 v[20:23], v113 offset:2048
	v_add_f64 v[106:107], v[46:47], v[58:59]
	v_add_f64 v[104:105], v[68:69], v[62:63]
	s_waitcnt lgkmcnt(0)
	v_mul_f64 v[46:47], v[22:23], v[120:121]
	v_fma_f64 v[46:47], v[20:21], v[118:119], -v[46:47]
	v_add_f64 v[82:83], v[70:71], v[46:47]
	v_mul_f64 v[46:47], v[22:23], v[56:57]
	v_mul_f64 v[50:51], v[20:21], v[120:121]
	v_fma_f64 v[46:47], v[20:21], v[54:55], -v[46:47]
	v_fmac_f64_e32 v[50:51], v[22:23], v[118:119]
	v_add_f64 v[86:87], v[60:61], v[46:47]
	v_mul_f64 v[46:47], v[22:23], v[40:41]
	v_add_f64 v[84:85], v[50:51], v[72:73]
	v_mul_f64 v[50:51], v[20:21], v[56:57]
	v_fma_f64 v[46:47], v[20:21], v[38:39], -v[46:47]
	v_fmac_f64_e32 v[50:51], v[22:23], v[54:55]
	v_add_f64 v[90:91], v[48:49], v[46:47]
	v_mul_f64 v[46:47], v[22:23], v[36:37]
	v_add_f64 v[88:89], v[50:51], v[64:65]
	v_mul_f64 v[50:51], v[20:21], v[40:41]
	v_fma_f64 v[46:47], v[20:21], v[34:35], -v[46:47]
	v_mul_f64 v[20:21], v[20:21], v[36:37]
	v_fmac_f64_e32 v[20:21], v[22:23], v[34:35]
	v_fmac_f64_e32 v[50:51], v[22:23], v[38:39]
	v_add_f64 v[96:97], v[20:21], v[44:45]
	ds_read_b128 v[20:23], v113 offset:3072
	v_add_f64 v[94:95], v[42:43], v[46:47]
	v_add_f64 v[92:93], v[50:51], v[52:53]
	s_waitcnt lgkmcnt(0)
	v_mul_f64 v[42:43], v[22:23], v[120:121]
	v_mul_f64 v[44:45], v[20:21], v[120:121]
	v_fma_f64 v[42:43], v[20:21], v[118:119], -v[42:43]
	v_fmac_f64_e32 v[44:45], v[22:23], v[118:119]
	v_add_f64 v[62:63], v[78:79], v[42:43]
	v_add_f64 v[64:65], v[44:45], v[80:81]
	v_mul_f64 v[42:43], v[22:23], v[56:57]
	v_mul_f64 v[44:45], v[20:21], v[56:57]
	v_fma_f64 v[42:43], v[20:21], v[54:55], -v[42:43]
	v_fmac_f64_e32 v[44:45], v[22:23], v[54:55]
	v_add_f64 v[58:59], v[16:17], v[42:43]
	v_add_f64 v[60:61], v[44:45], v[18:19]
	;; [unrolled: 6-line block ×3, first 2 shown]
	v_mul_f64 v[12:13], v[22:23], v[36:37]
	v_mul_f64 v[14:15], v[20:21], v[36:37]
	v_fma_f64 v[12:13], v[20:21], v[34:35], -v[12:13]
	v_fmac_f64_e32 v[14:15], v[22:23], v[34:35]
	ds_read_b128 v[20:23], v112 offset:1024
	ds_read_b128 v[16:19], v112 offset:1280
	v_add_f64 v[50:51], v[8:9], v[12:13]
	v_add_f64 v[52:53], v[14:15], v[10:11]
	ds_read_b128 v[12:15], v112 offset:1536
	ds_read_b128 v[78:81], v113 offset:1040
	s_waitcnt lgkmcnt(3)
	v_mul_f64 v[8:9], v[116:117], v[22:23]
	v_mul_f64 v[10:11], v[114:115], v[22:23]
	v_fma_f64 v[8:9], v[114:115], v[20:21], -v[8:9]
	v_fmac_f64_e32 v[10:11], v[116:117], v[20:21]
	v_add_f64 v[46:47], v[122:123], v[8:9]
	v_add_f64 v[48:49], v[10:11], v[124:125]
	s_waitcnt lgkmcnt(2)
	v_mul_f64 v[8:9], v[116:117], v[18:19]
	v_mul_f64 v[10:11], v[114:115], v[18:19]
	v_fma_f64 v[8:9], v[114:115], v[16:17], -v[8:9]
	v_fmac_f64_e32 v[10:11], v[116:117], v[16:17]
	v_add_f64 v[42:43], v[126:127], v[8:9]
	v_add_f64 v[44:45], v[10:11], v[128:129]
	;; [unrolled: 7-line block ×3, first 2 shown]
	ds_read_b128 v[8:11], v112 offset:1792
	s_waitcnt lgkmcnt(1)
	v_mul_f64 v[70:71], v[80:81], v[18:19]
	v_mul_f64 v[72:73], v[78:79], v[18:19]
	;; [unrolled: 1-line block ×4, first 2 shown]
	v_fma_f64 v[70:71], v[78:79], v[16:17], -v[70:71]
	v_fmac_f64_e32 v[72:73], v[80:81], v[16:17]
	v_fma_f64 v[66:67], v[78:79], v[20:21], -v[66:67]
	v_fmac_f64_e32 v[68:69], v[80:81], v[20:21]
	v_add_f64 v[70:71], v[98:99], v[70:71]
	v_add_f64 v[72:73], v[72:73], v[100:101]
	s_waitcnt lgkmcnt(0)
	v_mul_f64 v[98:99], v[80:81], v[10:11]
	v_mul_f64 v[100:101], v[78:79], v[10:11]
	v_add_f64 v[66:67], v[74:75], v[66:67]
	v_add_f64 v[68:69], v[68:69], v[76:77]
	v_mul_f64 v[74:75], v[80:81], v[14:15]
	v_mul_f64 v[76:77], v[78:79], v[14:15]
	v_fma_f64 v[98:99], v[78:79], v[8:9], -v[98:99]
	v_fmac_f64_e32 v[100:101], v[80:81], v[8:9]
	v_fma_f64 v[74:75], v[78:79], v[12:13], -v[74:75]
	v_fmac_f64_e32 v[76:77], v[80:81], v[12:13]
	v_add_f64 v[78:79], v[106:107], v[98:99]
	v_add_f64 v[80:81], v[100:101], v[108:109]
	ds_read_b128 v[98:101], v113 offset:2064
	v_add_f64 v[74:75], v[102:103], v[74:75]
	v_add_f64 v[76:77], v[76:77], v[104:105]
	v_mul_f64 v[34:35], v[116:117], v[10:11]
	v_mul_f64 v[36:37], v[114:115], v[10:11]
	s_waitcnt lgkmcnt(0)
	v_mul_f64 v[102:103], v[100:101], v[22:23]
	v_mul_f64 v[104:105], v[98:99], v[22:23]
	v_fma_f64 v[102:103], v[98:99], v[20:21], -v[102:103]
	v_fmac_f64_e32 v[104:105], v[100:101], v[20:21]
	v_add_f64 v[82:83], v[82:83], v[102:103]
	v_add_f64 v[84:85], v[104:105], v[84:85]
	v_mul_f64 v[102:103], v[100:101], v[18:19]
	v_mul_f64 v[104:105], v[98:99], v[18:19]
	v_fma_f64 v[102:103], v[98:99], v[16:17], -v[102:103]
	v_fmac_f64_e32 v[104:105], v[100:101], v[16:17]
	v_add_f64 v[86:87], v[86:87], v[102:103]
	v_add_f64 v[88:89], v[104:105], v[88:89]
	;; [unrolled: 6-line block ×4, first 2 shown]
	ds_read_b128 v[94:97], v113 offset:3088
	v_fma_f64 v[34:35], v[114:115], v[8:9], -v[34:35]
	v_fmac_f64_e32 v[36:37], v[116:117], v[8:9]
	v_add_f64 v[36:37], v[36:37], v[136:137]
	v_add_f64 v[34:35], v[134:135], v[34:35]
	s_waitcnt lgkmcnt(0)
	v_mul_f64 v[102:103], v[96:97], v[22:23]
	v_mul_f64 v[22:23], v[94:95], v[22:23]
	v_fma_f64 v[102:103], v[94:95], v[20:21], -v[102:103]
	v_fmac_f64_e32 v[22:23], v[96:97], v[20:21]
	v_mul_f64 v[20:21], v[96:97], v[18:19]
	v_mul_f64 v[18:19], v[94:95], v[18:19]
	v_fma_f64 v[20:21], v[94:95], v[16:17], -v[20:21]
	v_fmac_f64_e32 v[18:19], v[96:97], v[16:17]
	;; [unrolled: 4-line block ×3, first 2 shown]
	v_mul_f64 v[12:13], v[96:97], v[10:11]
	v_mul_f64 v[10:11], v[94:95], v[10:11]
	v_fmac_f64_e32 v[10:11], v[96:97], v[8:9]
	v_fma_f64 v[12:13], v[94:95], v[8:9], -v[12:13]
	v_add_f64 v[116:117], v[10:11], v[52:53]
	ds_read_b128 v[8:11], v112 offset:2048
	v_add_f64 v[56:57], v[14:15], v[56:57]
	v_add_f64 v[114:115], v[50:51], v[12:13]
	;; [unrolled: 1-line block ×4, first 2 shown]
	s_waitcnt lgkmcnt(0)
	v_mul_f64 v[12:13], v[6:7], v[10:11]
	v_mul_f64 v[14:15], v[4:5], v[10:11]
	v_fma_f64 v[12:13], v[4:5], v[8:9], -v[12:13]
	v_fmac_f64_e32 v[14:15], v[6:7], v[8:9]
	v_add_f64 v[118:119], v[46:47], v[12:13]
	v_add_f64 v[120:121], v[14:15], v[48:49]
	ds_read_b128 v[12:15], v112 offset:2304
	v_add_f64 v[104:105], v[22:23], v[64:65]
	v_add_f64 v[106:107], v[58:59], v[20:21]
	;; [unrolled: 1-line block ×3, first 2 shown]
	s_waitcnt lgkmcnt(0)
	v_mul_f64 v[16:17], v[6:7], v[14:15]
	v_mul_f64 v[18:19], v[4:5], v[14:15]
	v_fma_f64 v[16:17], v[4:5], v[12:13], -v[16:17]
	v_fmac_f64_e32 v[18:19], v[6:7], v[12:13]
	v_add_f64 v[122:123], v[42:43], v[16:17]
	v_add_f64 v[124:125], v[18:19], v[44:45]
	ds_read_b128 v[16:19], v112 offset:2560
	s_waitcnt lgkmcnt(0)
	v_mul_f64 v[20:21], v[6:7], v[18:19]
	v_mul_f64 v[22:23], v[4:5], v[18:19]
	v_fma_f64 v[20:21], v[4:5], v[16:17], -v[20:21]
	v_fmac_f64_e32 v[22:23], v[6:7], v[16:17]
	v_add_f64 v[126:127], v[38:39], v[20:21]
	v_add_f64 v[128:129], v[22:23], v[40:41]
	ds_read_b128 v[20:23], v112 offset:2816
	s_waitcnt lgkmcnt(0)
	v_mul_f64 v[38:39], v[6:7], v[22:23]
	v_fma_f64 v[38:39], v[4:5], v[20:21], -v[38:39]
	v_mul_f64 v[4:5], v[4:5], v[22:23]
	v_fmac_f64_e32 v[4:5], v[6:7], v[20:21]
	v_add_f64 v[132:133], v[4:5], v[36:37]
	ds_read_b128 v[4:7], v113 offset:1056
	v_add_f64 v[130:131], v[34:35], v[38:39]
	s_waitcnt lgkmcnt(0)
	v_mul_f64 v[34:35], v[6:7], v[10:11]
	v_fma_f64 v[34:35], v[4:5], v[8:9], -v[34:35]
	v_add_f64 v[46:47], v[66:67], v[34:35]
	v_mul_f64 v[34:35], v[6:7], v[14:15]
	v_mul_f64 v[36:37], v[4:5], v[10:11]
	v_fma_f64 v[34:35], v[4:5], v[12:13], -v[34:35]
	v_fmac_f64_e32 v[36:37], v[6:7], v[8:9]
	v_add_f64 v[58:59], v[70:71], v[34:35]
	v_mul_f64 v[34:35], v[6:7], v[18:19]
	v_add_f64 v[50:51], v[36:37], v[68:69]
	v_mul_f64 v[36:37], v[4:5], v[14:15]
	v_fma_f64 v[34:35], v[4:5], v[16:17], -v[34:35]
	v_fmac_f64_e32 v[36:37], v[6:7], v[12:13]
	v_add_f64 v[62:63], v[74:75], v[34:35]
	v_mul_f64 v[34:35], v[6:7], v[22:23]
	v_add_f64 v[60:61], v[36:37], v[72:73]
	v_mul_f64 v[36:37], v[4:5], v[18:19]
	v_fma_f64 v[34:35], v[4:5], v[20:21], -v[34:35]
	v_mul_f64 v[4:5], v[4:5], v[22:23]
	v_fmac_f64_e32 v[4:5], v[6:7], v[20:21]
	v_fmac_f64_e32 v[36:37], v[6:7], v[16:17]
	v_add_f64 v[72:73], v[4:5], v[80:81]
	ds_read_b128 v[4:7], v113 offset:2080
	v_add_f64 v[70:71], v[78:79], v[34:35]
	v_add_f64 v[64:65], v[36:37], v[76:77]
	s_waitcnt lgkmcnt(0)
	v_mul_f64 v[34:35], v[6:7], v[10:11]
	v_fma_f64 v[34:35], v[4:5], v[8:9], -v[34:35]
	v_add_f64 v[42:43], v[82:83], v[34:35]
	v_mul_f64 v[34:35], v[6:7], v[14:15]
	v_mul_f64 v[36:37], v[4:5], v[10:11]
	v_fma_f64 v[34:35], v[4:5], v[12:13], -v[34:35]
	v_fmac_f64_e32 v[36:37], v[6:7], v[8:9]
	v_add_f64 v[48:49], v[86:87], v[34:35]
	v_mul_f64 v[34:35], v[6:7], v[18:19]
	v_add_f64 v[44:45], v[36:37], v[84:85]
	v_mul_f64 v[36:37], v[4:5], v[14:15]
	v_fma_f64 v[34:35], v[4:5], v[16:17], -v[34:35]
	v_fmac_f64_e32 v[36:37], v[6:7], v[12:13]
	v_add_f64 v[94:95], v[90:91], v[34:35]
	v_mul_f64 v[34:35], v[6:7], v[22:23]
	v_add_f64 v[52:53], v[36:37], v[88:89]
	v_mul_f64 v[36:37], v[4:5], v[18:19]
	v_fma_f64 v[34:35], v[4:5], v[20:21], -v[34:35]
	v_mul_f64 v[4:5], v[4:5], v[22:23]
	v_fmac_f64_e32 v[4:5], v[6:7], v[20:21]
	v_fmac_f64_e32 v[36:37], v[6:7], v[16:17]
	v_add_f64 v[100:101], v[4:5], v[100:101]
	ds_read_b128 v[4:7], v113 offset:3104
	v_add_f64 v[98:99], v[98:99], v[34:35]
	v_add_f64 v[96:97], v[36:37], v[92:93]
	s_waitcnt lgkmcnt(0)
	v_mul_f64 v[34:35], v[6:7], v[10:11]
	v_mul_f64 v[10:11], v[4:5], v[10:11]
	v_fmac_f64_e32 v[10:11], v[6:7], v[8:9]
	v_fma_f64 v[34:35], v[4:5], v[8:9], -v[34:35]
	v_add_f64 v[80:81], v[10:11], v[104:105]
	v_mul_f64 v[8:9], v[6:7], v[14:15]
	v_mul_f64 v[10:11], v[4:5], v[14:15]
	v_fma_f64 v[8:9], v[4:5], v[12:13], -v[8:9]
	v_fmac_f64_e32 v[10:11], v[6:7], v[12:13]
	v_add_f64 v[90:91], v[106:107], v[8:9]
	v_add_f64 v[92:93], v[10:11], v[108:109]
	v_mul_f64 v[8:9], v[6:7], v[18:19]
	v_mul_f64 v[10:11], v[4:5], v[18:19]
	v_fma_f64 v[8:9], v[4:5], v[16:17], -v[8:9]
	v_fmac_f64_e32 v[10:11], v[6:7], v[16:17]
	ds_read_b128 v[16:19], v112 offset:3072
	ds_read_b128 v[12:15], v112 offset:3328
	v_add_f64 v[86:87], v[54:55], v[8:9]
	v_mul_f64 v[8:9], v[6:7], v[22:23]
	v_fma_f64 v[8:9], v[4:5], v[20:21], -v[8:9]
	v_mul_f64 v[4:5], v[4:5], v[22:23]
	v_add_f64 v[88:89], v[10:11], v[56:57]
	v_fmac_f64_e32 v[4:5], v[6:7], v[20:21]
	v_add_f64 v[82:83], v[114:115], v[8:9]
	ds_read_b128 v[8:11], v112 offset:3584
	v_add_f64 v[84:85], v[4:5], v[116:117]
	s_waitcnt lgkmcnt(2)
	v_mul_f64 v[4:5], v[2:3], v[18:19]
	v_mul_f64 v[6:7], v[0:1], v[18:19]
	v_fma_f64 v[4:5], v[0:1], v[16:17], -v[4:5]
	v_fmac_f64_e32 v[6:7], v[2:3], v[16:17]
	v_add_f64 v[54:55], v[118:119], v[4:5]
	v_add_f64 v[56:57], v[6:7], v[120:121]
	s_waitcnt lgkmcnt(1)
	v_mul_f64 v[4:5], v[2:3], v[14:15]
	v_mul_f64 v[6:7], v[0:1], v[14:15]
	v_fma_f64 v[4:5], v[0:1], v[12:13], -v[4:5]
	v_fmac_f64_e32 v[6:7], v[2:3], v[12:13]
	v_add_f64 v[38:39], v[122:123], v[4:5]
	;; [unrolled: 7-line block ×3, first 2 shown]
	v_add_f64 v[34:35], v[126:127], v[4:5]
	v_add_f64 v[36:37], v[6:7], v[128:129]
	ds_read_b128 v[4:7], v112 offset:3840
	s_waitcnt lgkmcnt(0)
	v_mul_f64 v[20:21], v[2:3], v[6:7]
	v_fma_f64 v[20:21], v[0:1], v[4:5], -v[20:21]
	v_mul_f64 v[0:1], v[0:1], v[6:7]
	v_fmac_f64_e32 v[0:1], v[2:3], v[4:5]
	v_add_f64 v[22:23], v[0:1], v[132:133]
	ds_read_b128 v[0:3], v113 offset:1072
	v_add_f64 v[20:21], v[130:131], v[20:21]
	s_waitcnt lgkmcnt(0)
	v_mul_f64 v[66:67], v[2:3], v[18:19]
	v_fma_f64 v[66:67], v[0:1], v[16:17], -v[66:67]
	v_add_f64 v[74:75], v[46:47], v[66:67]
	v_mul_f64 v[46:47], v[2:3], v[14:15]
	v_mul_f64 v[68:69], v[0:1], v[18:19]
	v_fma_f64 v[46:47], v[0:1], v[12:13], -v[46:47]
	v_fmac_f64_e32 v[68:69], v[2:3], v[16:17]
	v_add_f64 v[66:67], v[58:59], v[46:47]
	v_mul_f64 v[46:47], v[2:3], v[10:11]
	v_add_f64 v[76:77], v[68:69], v[50:51]
	v_mul_f64 v[50:51], v[0:1], v[14:15]
	v_fma_f64 v[46:47], v[0:1], v[8:9], -v[46:47]
	v_fmac_f64_e32 v[50:51], v[2:3], v[12:13]
	v_add_f64 v[58:59], v[62:63], v[46:47]
	v_mul_f64 v[46:47], v[2:3], v[6:7]
	v_add_f64 v[68:69], v[50:51], v[60:61]
	v_mul_f64 v[50:51], v[0:1], v[10:11]
	v_fma_f64 v[46:47], v[0:1], v[4:5], -v[46:47]
	v_mul_f64 v[0:1], v[0:1], v[6:7]
	v_fmac_f64_e32 v[50:51], v[2:3], v[8:9]
	v_fmac_f64_e32 v[0:1], v[2:3], v[4:5]
	v_add_f64 v[62:63], v[50:51], v[64:65]
	v_add_f64 v[50:51], v[0:1], v[72:73]
	ds_read_b128 v[0:3], v113 offset:2096
	v_add_f64 v[46:47], v[70:71], v[46:47]
	s_waitcnt lgkmcnt(0)
	v_mul_f64 v[60:61], v[2:3], v[18:19]
	v_fma_f64 v[60:61], v[0:1], v[16:17], -v[60:61]
	v_add_f64 v[70:71], v[42:43], v[60:61]
	v_mul_f64 v[42:43], v[2:3], v[14:15]
	v_mul_f64 v[64:65], v[0:1], v[18:19]
	v_fma_f64 v[42:43], v[0:1], v[12:13], -v[42:43]
	v_fmac_f64_e32 v[64:65], v[2:3], v[16:17]
	v_add_f64 v[60:61], v[48:49], v[42:43]
	v_mul_f64 v[42:43], v[2:3], v[10:11]
	v_add_f64 v[72:73], v[64:65], v[44:45]
	v_mul_f64 v[44:45], v[0:1], v[14:15]
	v_fma_f64 v[42:43], v[0:1], v[8:9], -v[42:43]
	v_fmac_f64_e32 v[44:45], v[2:3], v[12:13]
	v_add_f64 v[48:49], v[94:95], v[42:43]
	v_mul_f64 v[42:43], v[2:3], v[6:7]
	v_add_f64 v[64:65], v[44:45], v[52:53]
	v_mul_f64 v[44:45], v[0:1], v[10:11]
	v_fma_f64 v[42:43], v[0:1], v[4:5], -v[42:43]
	v_mul_f64 v[0:1], v[0:1], v[6:7]
	v_fmac_f64_e32 v[44:45], v[2:3], v[8:9]
	v_fmac_f64_e32 v[0:1], v[2:3], v[4:5]
	v_add_f64 v[52:53], v[44:45], v[96:97]
	v_add_f64 v[44:45], v[0:1], v[100:101]
	ds_read_b128 v[0:3], v113 offset:3120
	v_add_f64 v[42:43], v[98:99], v[42:43]
	s_waitcnt lgkmcnt(0)
	s_barrier
	v_mul_f64 v[94:95], v[2:3], v[18:19]
	v_mul_f64 v[18:19], v[0:1], v[18:19]
	v_fma_f64 v[94:95], v[0:1], v[16:17], -v[94:95]
	v_fmac_f64_e32 v[18:19], v[2:3], v[16:17]
	v_mul_f64 v[16:17], v[2:3], v[14:15]
	v_mul_f64 v[14:15], v[0:1], v[14:15]
	v_fma_f64 v[16:17], v[0:1], v[12:13], -v[16:17]
	v_fmac_f64_e32 v[14:15], v[2:3], v[12:13]
	v_mul_f64 v[12:13], v[2:3], v[10:11]
	v_mul_f64 v[10:11], v[0:1], v[10:11]
	v_fma_f64 v[12:13], v[0:1], v[8:9], -v[12:13]
	v_fmac_f64_e32 v[10:11], v[2:3], v[8:9]
	v_mul_f64 v[8:9], v[2:3], v[6:7]
	v_fma_f64 v[8:9], v[0:1], v[4:5], -v[8:9]
	v_mul_f64 v[0:1], v[0:1], v[6:7]
	v_fmac_f64_e32 v[0:1], v[2:3], v[4:5]
	v_add_f64 v[78:79], v[78:79], v[94:95]
	v_add_f64 v[80:81], v[18:19], v[80:81]
	;; [unrolled: 1-line block ×8, first 2 shown]
	s_cbranch_vccnz .LBB268_2
	s_branch .LBB268_4
.LBB268_3:
	v_mov_b64_e32 v[54:55], 0
	v_mov_b64_e32 v[56:57], 0
	;; [unrolled: 1-line block ×32, first 2 shown]
.LBB268_4:
	s_load_dwordx2 s[0:1], s[0:1], 0x90
	v_lshl_add_u64 v[2:3], s[14:15], 0, v[26:27]
	v_cmp_neq_f64_e64 s[14:15], s[10:11], 0
	v_cmp_neq_f64_e64 s[20:21], s[12:13], 0
	s_mov_b64 s[8:9], 0
	s_waitcnt lgkmcnt(0)
	s_lshl_b64 s[0:1], s[0:1], 4
	s_add_u32 s0, s6, s0
	s_addc_u32 s1, s7, s1
	s_or_b64 s[6:7], s[14:15], s[20:21]
	v_lshl_add_u64 v[0:1], s[2:3], 0, v[24:25]
	s_and_b64 vcc, exec, s[6:7]
	s_cbranch_vccnz .LBB268_6
; %bb.5:
	v_mul_lo_u32 v6, v3, s22
	v_mul_lo_u32 v7, v2, s23
	v_mad_u64_u32 v[4:5], s[2:3], v2, s22, 0
	v_add3_u32 v5, v5, v7, v6
	v_lshl_add_u64 v[24:25], v[4:5], 4, s[0:1]
	v_mul_f64 v[4:5], s[40:41], v[56:57]
	v_mul_f64 v[6:7], s[38:39], v[56:57]
	v_lshlrev_b64 v[26:27], 4, v[0:1]
	v_fma_f64 v[4:5], s[38:39], v[54:55], -v[4:5]
	v_fmac_f64_e32 v[6:7], s[40:41], v[54:55]
	v_lshl_add_u64 v[28:29], v[24:25], 0, v[26:27]
	flat_store_dwordx4 v[28:29], v[4:7]
	s_lshl_b64 s[2:3], s[22:23], 8
	v_lshl_add_u64 v[24:25], v[24:25], 0, s[2:3]
	v_mul_f64 v[4:5], s[40:41], v[40:41]
	v_mul_f64 v[6:7], s[38:39], v[40:41]
	v_fma_f64 v[4:5], s[38:39], v[38:39], -v[4:5]
	v_fmac_f64_e32 v[6:7], s[40:41], v[38:39]
	flat_store_dwordx4 v[28:29], v[4:7] offset:256
	s_nop 1
	v_mul_f64 v[4:5], s[40:41], v[36:37]
	v_mul_f64 v[6:7], s[38:39], v[36:37]
	v_fma_f64 v[4:5], s[38:39], v[34:35], -v[4:5]
	v_fmac_f64_e32 v[6:7], s[40:41], v[34:35]
	flat_store_dwordx4 v[28:29], v[4:7] offset:512
	s_nop 1
	v_mul_f64 v[4:5], s[40:41], v[22:23]
	v_mul_f64 v[6:7], s[38:39], v[22:23]
	v_fma_f64 v[4:5], s[38:39], v[20:21], -v[4:5]
	v_fmac_f64_e32 v[6:7], s[40:41], v[20:21]
	flat_store_dwordx4 v[28:29], v[4:7] offset:768
	v_lshl_add_u64 v[28:29], v[24:25], 0, v[26:27]
	v_lshl_add_u64 v[24:25], v[24:25], 0, s[2:3]
	v_mul_f64 v[4:5], s[40:41], v[76:77]
	v_mul_f64 v[6:7], s[38:39], v[76:77]
	v_fma_f64 v[4:5], s[38:39], v[74:75], -v[4:5]
	v_fmac_f64_e32 v[6:7], s[40:41], v[74:75]
	flat_store_dwordx4 v[28:29], v[4:7]
	s_nop 1
	v_mul_f64 v[4:5], s[40:41], v[68:69]
	v_mul_f64 v[6:7], s[38:39], v[68:69]
	v_fma_f64 v[4:5], s[38:39], v[66:67], -v[4:5]
	v_fmac_f64_e32 v[6:7], s[40:41], v[66:67]
	flat_store_dwordx4 v[28:29], v[4:7] offset:256
	s_nop 1
	v_mul_f64 v[4:5], s[40:41], v[62:63]
	v_mul_f64 v[6:7], s[38:39], v[62:63]
	v_fma_f64 v[4:5], s[38:39], v[58:59], -v[4:5]
	v_fmac_f64_e32 v[6:7], s[40:41], v[58:59]
	flat_store_dwordx4 v[28:29], v[4:7] offset:512
	s_nop 1
	v_mul_f64 v[4:5], s[40:41], v[50:51]
	v_mul_f64 v[6:7], s[38:39], v[50:51]
	v_fma_f64 v[4:5], s[38:39], v[46:47], -v[4:5]
	v_fmac_f64_e32 v[6:7], s[40:41], v[46:47]
	flat_store_dwordx4 v[28:29], v[4:7] offset:768
	v_lshl_add_u64 v[28:29], v[24:25], 0, v[26:27]
	v_lshl_add_u64 v[24:25], v[24:25], 0, s[2:3]
	v_mul_f64 v[4:5], s[40:41], v[72:73]
	v_mul_f64 v[6:7], s[38:39], v[72:73]
	v_fma_f64 v[4:5], s[38:39], v[70:71], -v[4:5]
	v_fmac_f64_e32 v[6:7], s[40:41], v[70:71]
	flat_store_dwordx4 v[28:29], v[4:7]
	v_lshl_add_u64 v[24:25], v[24:25], 0, v[26:27]
	s_mov_b64 s[2:3], 0x300
	v_mul_f64 v[4:5], s[40:41], v[64:65]
	v_mul_f64 v[6:7], s[38:39], v[64:65]
	v_fma_f64 v[4:5], s[38:39], v[60:61], -v[4:5]
	v_fmac_f64_e32 v[6:7], s[40:41], v[60:61]
	flat_store_dwordx4 v[28:29], v[4:7] offset:256
	s_nop 1
	v_mul_f64 v[4:5], s[40:41], v[52:53]
	v_mul_f64 v[6:7], s[38:39], v[52:53]
	v_fma_f64 v[4:5], s[38:39], v[48:49], -v[4:5]
	v_fmac_f64_e32 v[6:7], s[40:41], v[48:49]
	flat_store_dwordx4 v[28:29], v[4:7] offset:512
	s_nop 1
	;; [unrolled: 6-line block ×3, first 2 shown]
	v_mul_f64 v[4:5], s[40:41], v[80:81]
	v_mul_f64 v[6:7], s[38:39], v[80:81]
	v_fma_f64 v[4:5], s[38:39], v[78:79], -v[4:5]
	v_fmac_f64_e32 v[6:7], s[40:41], v[78:79]
	flat_store_dwordx4 v[24:25], v[4:7]
	s_nop 1
	v_mul_f64 v[4:5], s[40:41], v[18:19]
	v_mul_f64 v[6:7], s[38:39], v[18:19]
	v_fma_f64 v[4:5], s[38:39], v[16:17], -v[4:5]
	v_fmac_f64_e32 v[6:7], s[40:41], v[16:17]
	flat_store_dwordx4 v[24:25], v[4:7] offset:256
	s_nop 1
	v_mul_f64 v[4:5], s[40:41], v[14:15]
	v_mul_f64 v[6:7], s[38:39], v[14:15]
	v_fma_f64 v[4:5], s[38:39], v[12:13], -v[4:5]
	v_fmac_f64_e32 v[6:7], s[40:41], v[12:13]
	flat_store_dwordx4 v[24:25], v[4:7] offset:512
	s_nop 1
	v_mul_f64 v[4:5], s[40:41], v[10:11]
	v_fma_f64 v[26:27], s[38:39], v[8:9], -v[4:5]
	v_mul_f64 v[4:5], s[38:39], v[10:11]
	v_fmac_f64_e32 v[4:5], s[40:41], v[8:9]
	v_lshl_add_u64 v[6:7], v[24:25], 0, s[2:3]
	flat_store_dwordx2 v[24:25], v[26:27] offset:768
	s_andn2_b64 vcc, exec, s[8:9]
	s_cbranch_vccz .LBB268_7
	s_branch .LBB268_8
.LBB268_6:
                                        ; implicit-def: $vgpr4_vgpr5
                                        ; implicit-def: $vgpr6_vgpr7
.LBB268_7:
	s_lshl_b64 s[2:3], s[18:19], 4
	s_add_u32 s2, s4, s2
	s_addc_u32 s3, s5, s3
	v_mul_lo_u32 v6, v3, s16
	v_mul_lo_u32 v7, v2, s17
	v_mad_u64_u32 v[4:5], s[4:5], v2, s16, 0
	v_add3_u32 v5, v5, v7, v6
	v_lshl_add_u64 v[24:25], v[4:5], 4, s[2:3]
	v_lshlrev_b64 v[0:1], 4, v[0:1]
	v_lshl_add_u64 v[26:27], v[24:25], 0, v[0:1]
	flat_load_dwordx4 v[4:7], v[26:27]
	v_mul_lo_u32 v32, v3, s22
	v_mul_lo_u32 v33, v2, s23
	v_mad_u64_u32 v[2:3], s[2:3], v2, s22, 0
	v_add3_u32 v3, v3, v33, v32
	v_mul_f64 v[28:29], s[40:41], v[56:57]
	v_mul_f64 v[30:31], s[38:39], v[56:57]
	v_lshl_add_u64 v[32:33], v[2:3], 4, s[0:1]
	v_fma_f64 v[28:29], s[38:39], v[54:55], -v[28:29]
	v_fmac_f64_e32 v[30:31], s[40:41], v[54:55]
	v_lshl_add_u64 v[54:55], v[32:33], 0, v[0:1]
	s_lshl_b64 s[0:1], s[16:17], 8
	s_lshl_b64 s[2:3], s[22:23], 8
	s_waitcnt vmcnt(0) lgkmcnt(0)
	v_mul_f64 v[2:3], s[12:13], v[6:7]
	v_mul_f64 v[6:7], s[10:11], v[6:7]
	v_fma_f64 v[2:3], s[10:11], v[4:5], -v[2:3]
	v_fmac_f64_e32 v[6:7], s[12:13], v[4:5]
	v_add_f64 v[2:3], v[28:29], v[2:3]
	v_add_f64 v[4:5], v[30:31], v[6:7]
	flat_store_dwordx4 v[54:55], v[2:5]
	flat_load_dwordx4 v[2:5], v[26:27] offset:256
	v_mul_f64 v[6:7], s[40:41], v[40:41]
	v_mul_f64 v[28:29], s[38:39], v[40:41]
	v_fma_f64 v[6:7], s[38:39], v[38:39], -v[6:7]
	v_fmac_f64_e32 v[28:29], s[40:41], v[38:39]
	s_waitcnt vmcnt(0) lgkmcnt(0)
	v_mul_f64 v[30:31], s[12:13], v[4:5]
	v_mul_f64 v[4:5], s[10:11], v[4:5]
	v_fma_f64 v[30:31], s[10:11], v[2:3], -v[30:31]
	v_fmac_f64_e32 v[4:5], s[12:13], v[2:3]
	v_add_f64 v[2:3], v[6:7], v[30:31]
	v_add_f64 v[4:5], v[28:29], v[4:5]
	flat_store_dwordx4 v[54:55], v[2:5] offset:256
	flat_load_dwordx4 v[2:5], v[26:27] offset:512
	v_mul_f64 v[6:7], s[40:41], v[36:37]
	v_mul_f64 v[28:29], s[38:39], v[36:37]
	v_fma_f64 v[6:7], s[38:39], v[34:35], -v[6:7]
	v_fmac_f64_e32 v[28:29], s[40:41], v[34:35]
	s_waitcnt vmcnt(0) lgkmcnt(0)
	v_mul_f64 v[30:31], s[12:13], v[4:5]
	v_mul_f64 v[4:5], s[10:11], v[4:5]
	v_fma_f64 v[30:31], s[10:11], v[2:3], -v[30:31]
	v_fmac_f64_e32 v[4:5], s[12:13], v[2:3]
	v_add_f64 v[2:3], v[6:7], v[30:31]
	v_add_f64 v[4:5], v[28:29], v[4:5]
	flat_store_dwordx4 v[54:55], v[2:5] offset:512
	flat_load_dwordx4 v[2:5], v[26:27] offset:768
	v_mul_f64 v[6:7], s[40:41], v[22:23]
	v_mul_f64 v[22:23], s[38:39], v[22:23]
	v_fma_f64 v[6:7], s[38:39], v[20:21], -v[6:7]
	v_fmac_f64_e32 v[22:23], s[40:41], v[20:21]
	v_lshl_add_u64 v[20:21], v[24:25], 0, s[0:1]
	v_lshl_add_u64 v[24:25], v[20:21], 0, v[0:1]
	;; [unrolled: 1-line block ×3, first 2 shown]
	s_waitcnt vmcnt(0) lgkmcnt(0)
	v_mul_f64 v[26:27], s[12:13], v[4:5]
	v_mul_f64 v[4:5], s[10:11], v[4:5]
	v_fma_f64 v[26:27], s[10:11], v[2:3], -v[26:27]
	v_fmac_f64_e32 v[4:5], s[12:13], v[2:3]
	v_add_f64 v[2:3], v[6:7], v[26:27]
	v_add_f64 v[4:5], v[22:23], v[4:5]
	flat_store_dwordx4 v[54:55], v[2:5] offset:768
	flat_load_dwordx4 v[2:5], v[24:25]
	v_mul_f64 v[6:7], s[40:41], v[76:77]
	v_mul_f64 v[22:23], s[38:39], v[76:77]
	v_fma_f64 v[6:7], s[38:39], v[74:75], -v[6:7]
	v_fmac_f64_e32 v[22:23], s[40:41], v[74:75]
	v_lshl_add_u64 v[26:27], v[32:33], 0, s[2:3]
	v_lshl_add_u64 v[28:29], v[26:27], 0, v[0:1]
	;; [unrolled: 1-line block ×3, first 2 shown]
	s_waitcnt vmcnt(0) lgkmcnt(0)
	v_mul_f64 v[30:31], s[12:13], v[4:5]
	v_mul_f64 v[4:5], s[10:11], v[4:5]
	v_fma_f64 v[30:31], s[10:11], v[2:3], -v[30:31]
	v_fmac_f64_e32 v[4:5], s[12:13], v[2:3]
	v_add_f64 v[2:3], v[6:7], v[30:31]
	v_add_f64 v[4:5], v[22:23], v[4:5]
	flat_store_dwordx4 v[28:29], v[2:5]
	flat_load_dwordx4 v[2:5], v[24:25] offset:256
	v_mul_f64 v[6:7], s[40:41], v[68:69]
	v_mul_f64 v[22:23], s[38:39], v[68:69]
	v_fma_f64 v[6:7], s[38:39], v[66:67], -v[6:7]
	v_fmac_f64_e32 v[22:23], s[40:41], v[66:67]
	s_waitcnt vmcnt(0) lgkmcnt(0)
	v_mul_f64 v[30:31], s[12:13], v[4:5]
	v_mul_f64 v[4:5], s[10:11], v[4:5]
	v_fma_f64 v[30:31], s[10:11], v[2:3], -v[30:31]
	v_fmac_f64_e32 v[4:5], s[12:13], v[2:3]
	v_add_f64 v[2:3], v[6:7], v[30:31]
	v_add_f64 v[4:5], v[22:23], v[4:5]
	flat_store_dwordx4 v[28:29], v[2:5] offset:256
	flat_load_dwordx4 v[2:5], v[24:25] offset:512
	v_mul_f64 v[6:7], s[40:41], v[62:63]
	v_mul_f64 v[22:23], s[38:39], v[62:63]
	v_fma_f64 v[6:7], s[38:39], v[58:59], -v[6:7]
	v_fmac_f64_e32 v[22:23], s[40:41], v[58:59]
	s_waitcnt vmcnt(0) lgkmcnt(0)
	v_mul_f64 v[30:31], s[12:13], v[4:5]
	v_mul_f64 v[4:5], s[10:11], v[4:5]
	v_fma_f64 v[30:31], s[10:11], v[2:3], -v[30:31]
	v_fmac_f64_e32 v[4:5], s[12:13], v[2:3]
	v_add_f64 v[2:3], v[6:7], v[30:31]
	v_add_f64 v[4:5], v[22:23], v[4:5]
	flat_store_dwordx4 v[28:29], v[2:5] offset:512
	flat_load_dwordx4 v[2:5], v[24:25] offset:768
	v_mul_f64 v[6:7], s[40:41], v[50:51]
	v_mul_f64 v[22:23], s[38:39], v[50:51]
	v_fma_f64 v[6:7], s[38:39], v[46:47], -v[6:7]
	v_fmac_f64_e32 v[22:23], s[40:41], v[46:47]
	v_lshl_add_u64 v[24:25], v[20:21], 0, v[0:1]
	v_lshl_add_u64 v[20:21], v[20:21], 0, s[0:1]
	;; [unrolled: 1-line block ×3, first 2 shown]
	s_mov_b64 s[0:1], 0x300
	s_waitcnt vmcnt(0) lgkmcnt(0)
	v_mul_f64 v[30:31], s[12:13], v[4:5]
	v_mul_f64 v[4:5], s[10:11], v[4:5]
	v_fma_f64 v[30:31], s[10:11], v[2:3], -v[30:31]
	v_fmac_f64_e32 v[4:5], s[12:13], v[2:3]
	v_add_f64 v[2:3], v[6:7], v[30:31]
	v_add_f64 v[4:5], v[22:23], v[4:5]
	flat_store_dwordx4 v[28:29], v[2:5] offset:768
	flat_load_dwordx4 v[2:5], v[24:25]
	v_mul_f64 v[6:7], s[40:41], v[72:73]
	v_mul_f64 v[22:23], s[38:39], v[72:73]
	v_fma_f64 v[6:7], s[38:39], v[70:71], -v[6:7]
	v_fmac_f64_e32 v[22:23], s[40:41], v[70:71]
	v_lshl_add_u64 v[28:29], v[26:27], 0, v[0:1]
	s_waitcnt vmcnt(0) lgkmcnt(0)
	v_mul_f64 v[30:31], s[12:13], v[4:5]
	v_mul_f64 v[4:5], s[10:11], v[4:5]
	v_fma_f64 v[30:31], s[10:11], v[2:3], -v[30:31]
	v_fmac_f64_e32 v[4:5], s[12:13], v[2:3]
	v_add_f64 v[2:3], v[6:7], v[30:31]
	v_add_f64 v[4:5], v[22:23], v[4:5]
	flat_store_dwordx4 v[28:29], v[2:5]
	flat_load_dwordx4 v[2:5], v[24:25] offset:256
	v_mul_f64 v[6:7], s[40:41], v[64:65]
	v_mul_f64 v[22:23], s[38:39], v[64:65]
	v_fma_f64 v[6:7], s[38:39], v[60:61], -v[6:7]
	v_fmac_f64_e32 v[22:23], s[40:41], v[60:61]
	s_waitcnt vmcnt(0) lgkmcnt(0)
	v_mul_f64 v[30:31], s[12:13], v[4:5]
	v_mul_f64 v[4:5], s[10:11], v[4:5]
	v_fma_f64 v[30:31], s[10:11], v[2:3], -v[30:31]
	v_fmac_f64_e32 v[4:5], s[12:13], v[2:3]
	v_add_f64 v[2:3], v[6:7], v[30:31]
	v_add_f64 v[4:5], v[22:23], v[4:5]
	flat_store_dwordx4 v[28:29], v[2:5] offset:256
	flat_load_dwordx4 v[2:5], v[24:25] offset:512
	v_mul_f64 v[6:7], s[40:41], v[52:53]
	v_mul_f64 v[22:23], s[38:39], v[52:53]
	v_fma_f64 v[6:7], s[38:39], v[48:49], -v[6:7]
	v_fmac_f64_e32 v[22:23], s[40:41], v[48:49]
	s_waitcnt vmcnt(0) lgkmcnt(0)
	v_mul_f64 v[30:31], s[12:13], v[4:5]
	v_mul_f64 v[4:5], s[10:11], v[4:5]
	v_fma_f64 v[30:31], s[10:11], v[2:3], -v[30:31]
	v_fmac_f64_e32 v[4:5], s[12:13], v[2:3]
	v_add_f64 v[2:3], v[6:7], v[30:31]
	v_add_f64 v[4:5], v[22:23], v[4:5]
	flat_store_dwordx4 v[28:29], v[2:5] offset:512
	;; [unrolled: 13-line block ×3, first 2 shown]
	flat_load_dwordx4 v[2:5], v[20:21]
	v_lshl_add_u64 v[24:25], v[26:27], 0, s[2:3]
	v_mul_f64 v[6:7], s[40:41], v[80:81]
	v_mul_f64 v[22:23], s[38:39], v[80:81]
	v_lshl_add_u64 v[24:25], v[24:25], 0, v[0:1]
	v_fma_f64 v[6:7], s[38:39], v[78:79], -v[6:7]
	v_fmac_f64_e32 v[22:23], s[40:41], v[78:79]
	s_waitcnt vmcnt(0) lgkmcnt(0)
	v_mul_f64 v[0:1], s[12:13], v[4:5]
	v_mul_f64 v[4:5], s[10:11], v[4:5]
	v_fma_f64 v[0:1], s[10:11], v[2:3], -v[0:1]
	v_fmac_f64_e32 v[4:5], s[12:13], v[2:3]
	v_add_f64 v[0:1], v[6:7], v[0:1]
	v_add_f64 v[2:3], v[22:23], v[4:5]
	flat_store_dwordx4 v[24:25], v[0:3]
	flat_load_dwordx4 v[0:3], v[20:21] offset:256
	v_mul_f64 v[4:5], s[40:41], v[18:19]
	v_mul_f64 v[6:7], s[38:39], v[18:19]
	v_fma_f64 v[4:5], s[38:39], v[16:17], -v[4:5]
	v_fmac_f64_e32 v[6:7], s[40:41], v[16:17]
	s_waitcnt vmcnt(0) lgkmcnt(0)
	v_mul_f64 v[16:17], s[12:13], v[2:3]
	v_mul_f64 v[2:3], s[10:11], v[2:3]
	v_fma_f64 v[16:17], s[10:11], v[0:1], -v[16:17]
	v_fmac_f64_e32 v[2:3], s[12:13], v[0:1]
	v_add_f64 v[0:1], v[4:5], v[16:17]
	v_add_f64 v[2:3], v[6:7], v[2:3]
	flat_store_dwordx4 v[24:25], v[0:3] offset:256
	flat_load_dwordx4 v[0:3], v[20:21] offset:512
	v_mul_f64 v[4:5], s[40:41], v[14:15]
	v_mul_f64 v[6:7], s[38:39], v[14:15]
	v_fma_f64 v[4:5], s[38:39], v[12:13], -v[4:5]
	v_fmac_f64_e32 v[6:7], s[40:41], v[12:13]
	s_waitcnt vmcnt(0) lgkmcnt(0)
	v_mul_f64 v[12:13], s[12:13], v[2:3]
	v_mul_f64 v[2:3], s[10:11], v[2:3]
	v_fma_f64 v[12:13], s[10:11], v[0:1], -v[12:13]
	v_fmac_f64_e32 v[2:3], s[12:13], v[0:1]
	v_add_f64 v[0:1], v[4:5], v[12:13]
	v_add_f64 v[2:3], v[6:7], v[2:3]
	flat_store_dwordx4 v[24:25], v[0:3] offset:512
	flat_load_dwordx4 v[0:3], v[20:21] offset:768
	v_mul_f64 v[4:5], s[40:41], v[10:11]
	v_mul_f64 v[6:7], s[38:39], v[10:11]
	v_fma_f64 v[4:5], s[38:39], v[8:9], -v[4:5]
	v_fmac_f64_e32 v[6:7], s[40:41], v[8:9]
	s_waitcnt vmcnt(0) lgkmcnt(0)
	v_mul_f64 v[8:9], s[12:13], v[2:3]
	v_mul_f64 v[2:3], s[10:11], v[2:3]
	v_fma_f64 v[8:9], s[10:11], v[0:1], -v[8:9]
	v_fmac_f64_e32 v[2:3], s[12:13], v[0:1]
	v_add_f64 v[0:1], v[4:5], v[8:9]
	v_add_f64 v[4:5], v[6:7], v[2:3]
	v_lshl_add_u64 v[6:7], v[24:25], 0, s[0:1]
	flat_store_dwordx2 v[24:25], v[0:1] offset:768
.LBB268_8:
	flat_store_dwordx2 v[6:7], v[4:5] offset:8
	s_endpgm
	.section	.rodata,"a",@progbits
	.p2align	6, 0x0
	.amdhsa_kernel _ZN12_GLOBAL__N_127rocblas_gemm_batched_kernelI19rocblas_complex_numIdELi16ELi16ELi64ELi64ELi4ELi64ELi4ELi4ELi64ELc67ELc78EKPKS2_S5_KPS2_EEvlllT_PT11_llSA_llS8_PT12_llPT13_lli
		.amdhsa_group_segment_fixed_size 8192
		.amdhsa_private_segment_fixed_size 0
		.amdhsa_kernarg_size 156
		.amdhsa_user_sgpr_count 2
		.amdhsa_user_sgpr_dispatch_ptr 0
		.amdhsa_user_sgpr_queue_ptr 0
		.amdhsa_user_sgpr_kernarg_segment_ptr 1
		.amdhsa_user_sgpr_dispatch_id 0
		.amdhsa_user_sgpr_kernarg_preload_length 0
		.amdhsa_user_sgpr_kernarg_preload_offset 0
		.amdhsa_user_sgpr_private_segment_size 0
		.amdhsa_uses_dynamic_stack 0
		.amdhsa_enable_private_segment 0
		.amdhsa_system_sgpr_workgroup_id_x 1
		.amdhsa_system_sgpr_workgroup_id_y 1
		.amdhsa_system_sgpr_workgroup_id_z 1
		.amdhsa_system_sgpr_workgroup_info 0
		.amdhsa_system_vgpr_workitem_id 1
		.amdhsa_next_free_vgpr 138
		.amdhsa_next_free_sgpr 52
		.amdhsa_accum_offset 140
		.amdhsa_reserve_vcc 1
		.amdhsa_float_round_mode_32 0
		.amdhsa_float_round_mode_16_64 0
		.amdhsa_float_denorm_mode_32 3
		.amdhsa_float_denorm_mode_16_64 3
		.amdhsa_dx10_clamp 1
		.amdhsa_ieee_mode 1
		.amdhsa_fp16_overflow 0
		.amdhsa_tg_split 0
		.amdhsa_exception_fp_ieee_invalid_op 0
		.amdhsa_exception_fp_denorm_src 0
		.amdhsa_exception_fp_ieee_div_zero 0
		.amdhsa_exception_fp_ieee_overflow 0
		.amdhsa_exception_fp_ieee_underflow 0
		.amdhsa_exception_fp_ieee_inexact 0
		.amdhsa_exception_int_div_zero 0
	.end_amdhsa_kernel
	.section	.text._ZN12_GLOBAL__N_127rocblas_gemm_batched_kernelI19rocblas_complex_numIdELi16ELi16ELi64ELi64ELi4ELi64ELi4ELi4ELi64ELc67ELc78EKPKS2_S5_KPS2_EEvlllT_PT11_llSA_llS8_PT12_llPT13_lli,"axG",@progbits,_ZN12_GLOBAL__N_127rocblas_gemm_batched_kernelI19rocblas_complex_numIdELi16ELi16ELi64ELi64ELi4ELi64ELi4ELi4ELi64ELc67ELc78EKPKS2_S5_KPS2_EEvlllT_PT11_llSA_llS8_PT12_llPT13_lli,comdat
.Lfunc_end268:
	.size	_ZN12_GLOBAL__N_127rocblas_gemm_batched_kernelI19rocblas_complex_numIdELi16ELi16ELi64ELi64ELi4ELi64ELi4ELi4ELi64ELc67ELc78EKPKS2_S5_KPS2_EEvlllT_PT11_llSA_llS8_PT12_llPT13_lli, .Lfunc_end268-_ZN12_GLOBAL__N_127rocblas_gemm_batched_kernelI19rocblas_complex_numIdELi16ELi16ELi64ELi64ELi4ELi64ELi4ELi4ELi64ELc67ELc78EKPKS2_S5_KPS2_EEvlllT_PT11_llSA_llS8_PT12_llPT13_lli
                                        ; -- End function
	.set _ZN12_GLOBAL__N_127rocblas_gemm_batched_kernelI19rocblas_complex_numIdELi16ELi16ELi64ELi64ELi4ELi64ELi4ELi4ELi64ELc67ELc78EKPKS2_S5_KPS2_EEvlllT_PT11_llSA_llS8_PT12_llPT13_lli.num_vgpr, 138
	.set _ZN12_GLOBAL__N_127rocblas_gemm_batched_kernelI19rocblas_complex_numIdELi16ELi16ELi64ELi64ELi4ELi64ELi4ELi4ELi64ELc67ELc78EKPKS2_S5_KPS2_EEvlllT_PT11_llSA_llS8_PT12_llPT13_lli.num_agpr, 0
	.set _ZN12_GLOBAL__N_127rocblas_gemm_batched_kernelI19rocblas_complex_numIdELi16ELi16ELi64ELi64ELi4ELi64ELi4ELi4ELi64ELc67ELc78EKPKS2_S5_KPS2_EEvlllT_PT11_llSA_llS8_PT12_llPT13_lli.numbered_sgpr, 52
	.set _ZN12_GLOBAL__N_127rocblas_gemm_batched_kernelI19rocblas_complex_numIdELi16ELi16ELi64ELi64ELi4ELi64ELi4ELi4ELi64ELc67ELc78EKPKS2_S5_KPS2_EEvlllT_PT11_llSA_llS8_PT12_llPT13_lli.num_named_barrier, 0
	.set _ZN12_GLOBAL__N_127rocblas_gemm_batched_kernelI19rocblas_complex_numIdELi16ELi16ELi64ELi64ELi4ELi64ELi4ELi4ELi64ELc67ELc78EKPKS2_S5_KPS2_EEvlllT_PT11_llSA_llS8_PT12_llPT13_lli.private_seg_size, 0
	.set _ZN12_GLOBAL__N_127rocblas_gemm_batched_kernelI19rocblas_complex_numIdELi16ELi16ELi64ELi64ELi4ELi64ELi4ELi4ELi64ELc67ELc78EKPKS2_S5_KPS2_EEvlllT_PT11_llSA_llS8_PT12_llPT13_lli.uses_vcc, 1
	.set _ZN12_GLOBAL__N_127rocblas_gemm_batched_kernelI19rocblas_complex_numIdELi16ELi16ELi64ELi64ELi4ELi64ELi4ELi4ELi64ELc67ELc78EKPKS2_S5_KPS2_EEvlllT_PT11_llSA_llS8_PT12_llPT13_lli.uses_flat_scratch, 0
	.set _ZN12_GLOBAL__N_127rocblas_gemm_batched_kernelI19rocblas_complex_numIdELi16ELi16ELi64ELi64ELi4ELi64ELi4ELi4ELi64ELc67ELc78EKPKS2_S5_KPS2_EEvlllT_PT11_llSA_llS8_PT12_llPT13_lli.has_dyn_sized_stack, 0
	.set _ZN12_GLOBAL__N_127rocblas_gemm_batched_kernelI19rocblas_complex_numIdELi16ELi16ELi64ELi64ELi4ELi64ELi4ELi4ELi64ELc67ELc78EKPKS2_S5_KPS2_EEvlllT_PT11_llSA_llS8_PT12_llPT13_lli.has_recursion, 0
	.set _ZN12_GLOBAL__N_127rocblas_gemm_batched_kernelI19rocblas_complex_numIdELi16ELi16ELi64ELi64ELi4ELi64ELi4ELi4ELi64ELc67ELc78EKPKS2_S5_KPS2_EEvlllT_PT11_llSA_llS8_PT12_llPT13_lli.has_indirect_call, 0
	.section	.AMDGPU.csdata,"",@progbits
; Kernel info:
; codeLenInByte = 6484
; TotalNumSgprs: 58
; NumVgprs: 138
; NumAgprs: 0
; TotalNumVgprs: 138
; ScratchSize: 0
; MemoryBound: 0
; FloatMode: 240
; IeeeMode: 1
; LDSByteSize: 8192 bytes/workgroup (compile time only)
; SGPRBlocks: 7
; VGPRBlocks: 17
; NumSGPRsForWavesPerEU: 58
; NumVGPRsForWavesPerEU: 138
; AccumOffset: 140
; Occupancy: 3
; WaveLimiterHint : 1
; COMPUTE_PGM_RSRC2:SCRATCH_EN: 0
; COMPUTE_PGM_RSRC2:USER_SGPR: 2
; COMPUTE_PGM_RSRC2:TRAP_HANDLER: 0
; COMPUTE_PGM_RSRC2:TGID_X_EN: 1
; COMPUTE_PGM_RSRC2:TGID_Y_EN: 1
; COMPUTE_PGM_RSRC2:TGID_Z_EN: 1
; COMPUTE_PGM_RSRC2:TIDIG_COMP_CNT: 1
; COMPUTE_PGM_RSRC3_GFX90A:ACCUM_OFFSET: 34
; COMPUTE_PGM_RSRC3_GFX90A:TG_SPLIT: 0
	.section	.text._ZN12_GLOBAL__N_127rocblas_gemm_batched_kernelI19rocblas_complex_numIdELi16ELi16ELi64ELi64ELi4ELi64ELi4ELi4ELi64ELc67ELc84EKPKS2_S5_KPS2_EEvlllT_PT11_llSA_llS8_PT12_llPT13_lli,"axG",@progbits,_ZN12_GLOBAL__N_127rocblas_gemm_batched_kernelI19rocblas_complex_numIdELi16ELi16ELi64ELi64ELi4ELi64ELi4ELi4ELi64ELc67ELc84EKPKS2_S5_KPS2_EEvlllT_PT11_llSA_llS8_PT12_llPT13_lli,comdat
	.globl	_ZN12_GLOBAL__N_127rocblas_gemm_batched_kernelI19rocblas_complex_numIdELi16ELi16ELi64ELi64ELi4ELi64ELi4ELi4ELi64ELc67ELc84EKPKS2_S5_KPS2_EEvlllT_PT11_llSA_llS8_PT12_llPT13_lli ; -- Begin function _ZN12_GLOBAL__N_127rocblas_gemm_batched_kernelI19rocblas_complex_numIdELi16ELi16ELi64ELi64ELi4ELi64ELi4ELi4ELi64ELc67ELc84EKPKS2_S5_KPS2_EEvlllT_PT11_llSA_llS8_PT12_llPT13_lli
	.p2align	8
	.type	_ZN12_GLOBAL__N_127rocblas_gemm_batched_kernelI19rocblas_complex_numIdELi16ELi16ELi64ELi64ELi4ELi64ELi4ELi4ELi64ELc67ELc84EKPKS2_S5_KPS2_EEvlllT_PT11_llSA_llS8_PT12_llPT13_lli,@function
_ZN12_GLOBAL__N_127rocblas_gemm_batched_kernelI19rocblas_complex_numIdELi16ELi16ELi64ELi64ELi4ELi64ELi4ELi4ELi64ELc67ELc84EKPKS2_S5_KPS2_EEvlllT_PT11_llSA_llS8_PT12_llPT13_lli: ; @_ZN12_GLOBAL__N_127rocblas_gemm_batched_kernelI19rocblas_complex_numIdELi16ELi16ELi64ELi64ELi4ELi64ELi4ELi4ELi64ELc67ELc84EKPKS2_S5_KPS2_EEvlllT_PT11_llSA_llS8_PT12_llPT13_lli
; %bb.0:
	s_load_dwordx16 s[36:51], s[0:1], 0x10
	s_load_dwordx16 s[8:23], s[0:1], 0x50
	s_mov_b32 s5, 0
	s_lshl_b64 s[24:25], s[4:5], 3
	s_mov_b32 s26, s3
	v_mov_b32_e32 v27, 0
	s_waitcnt lgkmcnt(0)
	s_add_u32 s4, s14, s24
	s_addc_u32 s5, s15, s25
	s_add_u32 s6, s20, s24
	s_addc_u32 s7, s21, s25
	s_load_dwordx2 s[4:5], s[4:5], 0x0
	s_ashr_i32 s3, s2, 31
	s_load_dwordx2 s[6:7], s[6:7], 0x0
	s_ashr_i32 s27, s26, 31
	v_cmp_lt_i64_e64 s[20:21], s[36:37], 1
	v_bfe_u32 v26, v0, 10, 10
	v_and_b32_e32 v24, 0x3ff, v0
	v_mov_b32_e32 v25, v27
	s_lshl_b64 s[2:3], s[2:3], 6
	s_lshl_b64 s[14:15], s[26:27], 6
	s_and_b64 vcc, exec, s[20:21]
	s_cbranch_vccnz .LBB269_3
; %bb.1:
	v_lshl_add_u32 v6, v26, 4, v24
	v_lshrrev_b32_e32 v0, 2, v6
	v_mov_b32_e32 v1, v27
	s_add_u32 s20, s42, s24
	v_lshl_add_u64 v[2:3], v[0:1], 0, s[14:15]
	v_and_b32_e32 v1, 3, v24
	s_addc_u32 s21, s43, s25
	v_mad_u64_u32 v[2:3], s[26:27], s50, v1, v[2:3]
	s_add_u32 s24, s48, s24
	v_mov_b32_e32 v4, v3
	s_addc_u32 s25, s49, s25
	v_mad_u64_u32 v[4:5], s[26:27], s51, v1, v[4:5]
	v_lshlrev_b32_e32 v1, 4, v1
	s_load_dwordx2 s[24:25], s[24:25], 0x0
	v_lshl_or_b32 v0, v0, 6, v1
	v_mov_b32_e32 v3, v4
	v_and_b32_e32 v4, 63, v6
	v_mov_b32_e32 v5, v27
	v_add_u32_e32 v111, 0x1000, v0
	v_mov_b32_e32 v0, 0x1000
	s_load_dwordx2 s[20:21], s[20:21], 0x0
	v_lshl_add_u32 v113, v26, 6, v0
	v_lshl_add_u64 v[0:1], s[2:3], 0, v[4:5]
	v_lshlrev_b32_e32 v7, 4, v4
	v_mul_lo_u32 v4, s45, v0
	v_mul_lo_u32 v5, s44, v1
	v_mad_u64_u32 v[0:1], s[26:27], s44, v0, 0
	v_lshrrev_b32_e32 v6, 6, v6
	v_add3_u32 v1, v1, v5, v4
	s_lshl_b64 s[26:27], s[46:47], 4
	s_lshl_b64 s[8:9], s[8:9], 4
	v_lshl_add_u64 v[0:1], v[0:1], 4, s[26:27]
	v_lshlrev_b32_e32 v4, 4, v6
	v_mov_b32_e32 v5, v27
	s_waitcnt lgkmcnt(0)
	s_add_u32 s8, s24, s8
	v_lshl_add_u64 v[0:1], v[0:1], 0, v[4:5]
	s_addc_u32 s9, s25, s9
	v_lshl_or_b32 v110, v6, 10, v7
	v_lshlrev_b32_e32 v112, 4, v24
	v_lshl_add_u64 v[28:29], s[20:21], 0, v[0:1]
	v_lshl_add_u64 v[30:31], v[2:3], 4, s[8:9]
	s_lshl_b64 s[8:9], s[50:51], 6
	s_mov_b64 s[20:21], 0
	v_mov_b64_e32 v[10:11], 0
	v_mov_b64_e32 v[32:33], s[36:37]
	;; [unrolled: 1-line block ×33, first 2 shown]
.LBB269_2:                              ; =>This Inner Loop Header: Depth=1
	flat_load_dwordx4 v[0:3], v[28:29]
	s_add_u32 s20, s20, 4
	s_addc_u32 s21, s21, 0
	v_cmp_lt_i64_e32 vcc, s[20:21], v[32:33]
	v_lshl_add_u64 v[28:29], v[28:29], 0, 64
	s_and_b64 vcc, exec, vcc
	s_waitcnt vmcnt(0) lgkmcnt(0)
	v_xor_b32_e32 v3, 0x80000000, v3
	ds_write_b128 v110, v[0:3]
	flat_load_dwordx4 v[0:3], v[30:31]
	v_lshl_add_u64 v[30:31], v[30:31], 0, s[8:9]
	s_waitcnt vmcnt(0) lgkmcnt(0)
	ds_write2_b64 v111, v[0:1], v[2:3] offset1:1
	s_waitcnt lgkmcnt(0)
	s_barrier
	ds_read_b128 v[82:85], v113
	ds_read_b128 v[114:117], v113 offset:16
	ds_read_b128 v[4:7], v113 offset:32
	;; [unrolled: 1-line block ×3, first 2 shown]
	ds_read_b128 v[118:121], v112
	s_waitcnt lgkmcnt(0)
	v_mul_f64 v[86:87], v[84:85], v[120:121]
	v_mul_f64 v[88:89], v[82:83], v[120:121]
	v_fma_f64 v[86:87], v[82:83], v[118:119], -v[86:87]
	v_fmac_f64_e32 v[88:89], v[84:85], v[118:119]
	v_add_f64 v[122:123], v[54:55], v[86:87]
	v_add_f64 v[124:125], v[88:89], v[56:57]
	ds_read_b128 v[54:57], v112 offset:256
	s_waitcnt lgkmcnt(0)
	v_mul_f64 v[86:87], v[84:85], v[56:57]
	v_mul_f64 v[88:89], v[82:83], v[56:57]
	v_fma_f64 v[86:87], v[82:83], v[54:55], -v[86:87]
	v_fmac_f64_e32 v[88:89], v[84:85], v[54:55]
	v_add_f64 v[126:127], v[38:39], v[86:87]
	v_add_f64 v[128:129], v[88:89], v[40:41]
	ds_read_b128 v[38:41], v112 offset:512
	;; [unrolled: 8-line block ×3, first 2 shown]
	s_waitcnt lgkmcnt(0)
	v_mul_f64 v[86:87], v[84:85], v[36:37]
	v_fma_f64 v[86:87], v[82:83], v[34:35], -v[86:87]
	v_mul_f64 v[82:83], v[82:83], v[36:37]
	v_fmac_f64_e32 v[82:83], v[84:85], v[34:35]
	v_add_f64 v[134:135], v[20:21], v[86:87]
	v_add_f64 v[136:137], v[82:83], v[22:23]
	ds_read_b128 v[20:23], v113 offset:1024
	s_waitcnt lgkmcnt(0)
	v_mul_f64 v[82:83], v[22:23], v[120:121]
	v_fma_f64 v[82:83], v[20:21], v[118:119], -v[82:83]
	v_add_f64 v[74:75], v[74:75], v[82:83]
	v_mul_f64 v[82:83], v[22:23], v[56:57]
	v_mul_f64 v[84:85], v[20:21], v[120:121]
	v_fma_f64 v[82:83], v[20:21], v[54:55], -v[82:83]
	v_fmac_f64_e32 v[84:85], v[22:23], v[118:119]
	v_add_f64 v[98:99], v[66:67], v[82:83]
	v_mul_f64 v[66:67], v[22:23], v[40:41]
	v_add_f64 v[76:77], v[84:85], v[76:77]
	v_mul_f64 v[84:85], v[20:21], v[56:57]
	v_fma_f64 v[66:67], v[20:21], v[38:39], -v[66:67]
	v_fmac_f64_e32 v[84:85], v[22:23], v[54:55]
	v_add_f64 v[102:103], v[58:59], v[66:67]
	v_mul_f64 v[58:59], v[22:23], v[36:37]
	v_add_f64 v[100:101], v[84:85], v[68:69]
	v_mul_f64 v[68:69], v[20:21], v[40:41]
	v_fma_f64 v[58:59], v[20:21], v[34:35], -v[58:59]
	v_mul_f64 v[20:21], v[20:21], v[36:37]
	v_fmac_f64_e32 v[20:21], v[22:23], v[34:35]
	v_fmac_f64_e32 v[68:69], v[22:23], v[38:39]
	v_add_f64 v[108:109], v[20:21], v[50:51]
	ds_read_b128 v[20:23], v113 offset:2048
	v_add_f64 v[106:107], v[46:47], v[58:59]
	v_add_f64 v[104:105], v[68:69], v[62:63]
	s_waitcnt lgkmcnt(0)
	v_mul_f64 v[46:47], v[22:23], v[120:121]
	v_fma_f64 v[46:47], v[20:21], v[118:119], -v[46:47]
	v_add_f64 v[82:83], v[70:71], v[46:47]
	v_mul_f64 v[46:47], v[22:23], v[56:57]
	v_mul_f64 v[50:51], v[20:21], v[120:121]
	v_fma_f64 v[46:47], v[20:21], v[54:55], -v[46:47]
	v_fmac_f64_e32 v[50:51], v[22:23], v[118:119]
	v_add_f64 v[86:87], v[60:61], v[46:47]
	v_mul_f64 v[46:47], v[22:23], v[40:41]
	v_add_f64 v[84:85], v[50:51], v[72:73]
	v_mul_f64 v[50:51], v[20:21], v[56:57]
	v_fma_f64 v[46:47], v[20:21], v[38:39], -v[46:47]
	v_fmac_f64_e32 v[50:51], v[22:23], v[54:55]
	v_add_f64 v[90:91], v[48:49], v[46:47]
	v_mul_f64 v[46:47], v[22:23], v[36:37]
	v_add_f64 v[88:89], v[50:51], v[64:65]
	v_mul_f64 v[50:51], v[20:21], v[40:41]
	v_fma_f64 v[46:47], v[20:21], v[34:35], -v[46:47]
	v_mul_f64 v[20:21], v[20:21], v[36:37]
	v_fmac_f64_e32 v[20:21], v[22:23], v[34:35]
	v_fmac_f64_e32 v[50:51], v[22:23], v[38:39]
	v_add_f64 v[96:97], v[20:21], v[44:45]
	ds_read_b128 v[20:23], v113 offset:3072
	v_add_f64 v[94:95], v[42:43], v[46:47]
	v_add_f64 v[92:93], v[50:51], v[52:53]
	s_waitcnt lgkmcnt(0)
	v_mul_f64 v[42:43], v[22:23], v[120:121]
	v_mul_f64 v[44:45], v[20:21], v[120:121]
	v_fma_f64 v[42:43], v[20:21], v[118:119], -v[42:43]
	v_fmac_f64_e32 v[44:45], v[22:23], v[118:119]
	v_add_f64 v[62:63], v[78:79], v[42:43]
	v_add_f64 v[64:65], v[44:45], v[80:81]
	v_mul_f64 v[42:43], v[22:23], v[56:57]
	v_mul_f64 v[44:45], v[20:21], v[56:57]
	v_fma_f64 v[42:43], v[20:21], v[54:55], -v[42:43]
	v_fmac_f64_e32 v[44:45], v[22:23], v[54:55]
	v_add_f64 v[58:59], v[16:17], v[42:43]
	v_add_f64 v[60:61], v[44:45], v[18:19]
	;; [unrolled: 6-line block ×3, first 2 shown]
	v_mul_f64 v[12:13], v[22:23], v[36:37]
	v_mul_f64 v[14:15], v[20:21], v[36:37]
	v_fma_f64 v[12:13], v[20:21], v[34:35], -v[12:13]
	v_fmac_f64_e32 v[14:15], v[22:23], v[34:35]
	ds_read_b128 v[20:23], v112 offset:1024
	ds_read_b128 v[16:19], v112 offset:1280
	v_add_f64 v[50:51], v[8:9], v[12:13]
	v_add_f64 v[52:53], v[14:15], v[10:11]
	ds_read_b128 v[12:15], v112 offset:1536
	ds_read_b128 v[78:81], v113 offset:1040
	s_waitcnt lgkmcnt(3)
	v_mul_f64 v[8:9], v[116:117], v[22:23]
	v_mul_f64 v[10:11], v[114:115], v[22:23]
	v_fma_f64 v[8:9], v[114:115], v[20:21], -v[8:9]
	v_fmac_f64_e32 v[10:11], v[116:117], v[20:21]
	v_add_f64 v[46:47], v[122:123], v[8:9]
	v_add_f64 v[48:49], v[10:11], v[124:125]
	s_waitcnt lgkmcnt(2)
	v_mul_f64 v[8:9], v[116:117], v[18:19]
	v_mul_f64 v[10:11], v[114:115], v[18:19]
	v_fma_f64 v[8:9], v[114:115], v[16:17], -v[8:9]
	v_fmac_f64_e32 v[10:11], v[116:117], v[16:17]
	v_add_f64 v[42:43], v[126:127], v[8:9]
	v_add_f64 v[44:45], v[10:11], v[128:129]
	;; [unrolled: 7-line block ×3, first 2 shown]
	ds_read_b128 v[8:11], v112 offset:1792
	s_waitcnt lgkmcnt(1)
	v_mul_f64 v[70:71], v[80:81], v[18:19]
	v_mul_f64 v[72:73], v[78:79], v[18:19]
	;; [unrolled: 1-line block ×4, first 2 shown]
	v_fma_f64 v[70:71], v[78:79], v[16:17], -v[70:71]
	v_fmac_f64_e32 v[72:73], v[80:81], v[16:17]
	v_fma_f64 v[66:67], v[78:79], v[20:21], -v[66:67]
	v_fmac_f64_e32 v[68:69], v[80:81], v[20:21]
	v_add_f64 v[70:71], v[98:99], v[70:71]
	v_add_f64 v[72:73], v[72:73], v[100:101]
	s_waitcnt lgkmcnt(0)
	v_mul_f64 v[98:99], v[80:81], v[10:11]
	v_mul_f64 v[100:101], v[78:79], v[10:11]
	v_add_f64 v[66:67], v[74:75], v[66:67]
	v_add_f64 v[68:69], v[68:69], v[76:77]
	v_mul_f64 v[74:75], v[80:81], v[14:15]
	v_mul_f64 v[76:77], v[78:79], v[14:15]
	v_fma_f64 v[98:99], v[78:79], v[8:9], -v[98:99]
	v_fmac_f64_e32 v[100:101], v[80:81], v[8:9]
	v_fma_f64 v[74:75], v[78:79], v[12:13], -v[74:75]
	v_fmac_f64_e32 v[76:77], v[80:81], v[12:13]
	v_add_f64 v[78:79], v[106:107], v[98:99]
	v_add_f64 v[80:81], v[100:101], v[108:109]
	ds_read_b128 v[98:101], v113 offset:2064
	v_add_f64 v[74:75], v[102:103], v[74:75]
	v_add_f64 v[76:77], v[76:77], v[104:105]
	v_mul_f64 v[34:35], v[116:117], v[10:11]
	v_mul_f64 v[36:37], v[114:115], v[10:11]
	s_waitcnt lgkmcnt(0)
	v_mul_f64 v[102:103], v[100:101], v[22:23]
	v_mul_f64 v[104:105], v[98:99], v[22:23]
	v_fma_f64 v[102:103], v[98:99], v[20:21], -v[102:103]
	v_fmac_f64_e32 v[104:105], v[100:101], v[20:21]
	v_add_f64 v[82:83], v[82:83], v[102:103]
	v_add_f64 v[84:85], v[104:105], v[84:85]
	v_mul_f64 v[102:103], v[100:101], v[18:19]
	v_mul_f64 v[104:105], v[98:99], v[18:19]
	v_fma_f64 v[102:103], v[98:99], v[16:17], -v[102:103]
	v_fmac_f64_e32 v[104:105], v[100:101], v[16:17]
	v_add_f64 v[86:87], v[86:87], v[102:103]
	v_add_f64 v[88:89], v[104:105], v[88:89]
	;; [unrolled: 6-line block ×4, first 2 shown]
	ds_read_b128 v[94:97], v113 offset:3088
	v_fma_f64 v[34:35], v[114:115], v[8:9], -v[34:35]
	v_fmac_f64_e32 v[36:37], v[116:117], v[8:9]
	v_add_f64 v[36:37], v[36:37], v[136:137]
	v_add_f64 v[34:35], v[134:135], v[34:35]
	s_waitcnt lgkmcnt(0)
	v_mul_f64 v[102:103], v[96:97], v[22:23]
	v_mul_f64 v[22:23], v[94:95], v[22:23]
	v_fma_f64 v[102:103], v[94:95], v[20:21], -v[102:103]
	v_fmac_f64_e32 v[22:23], v[96:97], v[20:21]
	v_mul_f64 v[20:21], v[96:97], v[18:19]
	v_mul_f64 v[18:19], v[94:95], v[18:19]
	v_fma_f64 v[20:21], v[94:95], v[16:17], -v[20:21]
	v_fmac_f64_e32 v[18:19], v[96:97], v[16:17]
	;; [unrolled: 4-line block ×3, first 2 shown]
	v_mul_f64 v[12:13], v[96:97], v[10:11]
	v_mul_f64 v[10:11], v[94:95], v[10:11]
	v_fmac_f64_e32 v[10:11], v[96:97], v[8:9]
	v_fma_f64 v[12:13], v[94:95], v[8:9], -v[12:13]
	v_add_f64 v[116:117], v[10:11], v[52:53]
	ds_read_b128 v[8:11], v112 offset:2048
	v_add_f64 v[56:57], v[14:15], v[56:57]
	v_add_f64 v[114:115], v[50:51], v[12:13]
	;; [unrolled: 1-line block ×4, first 2 shown]
	s_waitcnt lgkmcnt(0)
	v_mul_f64 v[12:13], v[6:7], v[10:11]
	v_mul_f64 v[14:15], v[4:5], v[10:11]
	v_fma_f64 v[12:13], v[4:5], v[8:9], -v[12:13]
	v_fmac_f64_e32 v[14:15], v[6:7], v[8:9]
	v_add_f64 v[118:119], v[46:47], v[12:13]
	v_add_f64 v[120:121], v[14:15], v[48:49]
	ds_read_b128 v[12:15], v112 offset:2304
	v_add_f64 v[104:105], v[22:23], v[64:65]
	v_add_f64 v[106:107], v[58:59], v[20:21]
	;; [unrolled: 1-line block ×3, first 2 shown]
	s_waitcnt lgkmcnt(0)
	v_mul_f64 v[16:17], v[6:7], v[14:15]
	v_mul_f64 v[18:19], v[4:5], v[14:15]
	v_fma_f64 v[16:17], v[4:5], v[12:13], -v[16:17]
	v_fmac_f64_e32 v[18:19], v[6:7], v[12:13]
	v_add_f64 v[122:123], v[42:43], v[16:17]
	v_add_f64 v[124:125], v[18:19], v[44:45]
	ds_read_b128 v[16:19], v112 offset:2560
	s_waitcnt lgkmcnt(0)
	v_mul_f64 v[20:21], v[6:7], v[18:19]
	v_mul_f64 v[22:23], v[4:5], v[18:19]
	v_fma_f64 v[20:21], v[4:5], v[16:17], -v[20:21]
	v_fmac_f64_e32 v[22:23], v[6:7], v[16:17]
	v_add_f64 v[126:127], v[38:39], v[20:21]
	v_add_f64 v[128:129], v[22:23], v[40:41]
	ds_read_b128 v[20:23], v112 offset:2816
	s_waitcnt lgkmcnt(0)
	v_mul_f64 v[38:39], v[6:7], v[22:23]
	v_fma_f64 v[38:39], v[4:5], v[20:21], -v[38:39]
	v_mul_f64 v[4:5], v[4:5], v[22:23]
	v_fmac_f64_e32 v[4:5], v[6:7], v[20:21]
	v_add_f64 v[132:133], v[4:5], v[36:37]
	ds_read_b128 v[4:7], v113 offset:1056
	v_add_f64 v[130:131], v[34:35], v[38:39]
	s_waitcnt lgkmcnt(0)
	v_mul_f64 v[34:35], v[6:7], v[10:11]
	v_fma_f64 v[34:35], v[4:5], v[8:9], -v[34:35]
	v_add_f64 v[46:47], v[66:67], v[34:35]
	v_mul_f64 v[34:35], v[6:7], v[14:15]
	v_mul_f64 v[36:37], v[4:5], v[10:11]
	v_fma_f64 v[34:35], v[4:5], v[12:13], -v[34:35]
	v_fmac_f64_e32 v[36:37], v[6:7], v[8:9]
	v_add_f64 v[58:59], v[70:71], v[34:35]
	v_mul_f64 v[34:35], v[6:7], v[18:19]
	v_add_f64 v[50:51], v[36:37], v[68:69]
	v_mul_f64 v[36:37], v[4:5], v[14:15]
	v_fma_f64 v[34:35], v[4:5], v[16:17], -v[34:35]
	v_fmac_f64_e32 v[36:37], v[6:7], v[12:13]
	v_add_f64 v[62:63], v[74:75], v[34:35]
	v_mul_f64 v[34:35], v[6:7], v[22:23]
	v_add_f64 v[60:61], v[36:37], v[72:73]
	v_mul_f64 v[36:37], v[4:5], v[18:19]
	v_fma_f64 v[34:35], v[4:5], v[20:21], -v[34:35]
	v_mul_f64 v[4:5], v[4:5], v[22:23]
	v_fmac_f64_e32 v[4:5], v[6:7], v[20:21]
	v_fmac_f64_e32 v[36:37], v[6:7], v[16:17]
	v_add_f64 v[72:73], v[4:5], v[80:81]
	ds_read_b128 v[4:7], v113 offset:2080
	v_add_f64 v[70:71], v[78:79], v[34:35]
	v_add_f64 v[64:65], v[36:37], v[76:77]
	s_waitcnt lgkmcnt(0)
	v_mul_f64 v[34:35], v[6:7], v[10:11]
	v_fma_f64 v[34:35], v[4:5], v[8:9], -v[34:35]
	v_add_f64 v[42:43], v[82:83], v[34:35]
	v_mul_f64 v[34:35], v[6:7], v[14:15]
	v_mul_f64 v[36:37], v[4:5], v[10:11]
	v_fma_f64 v[34:35], v[4:5], v[12:13], -v[34:35]
	v_fmac_f64_e32 v[36:37], v[6:7], v[8:9]
	v_add_f64 v[48:49], v[86:87], v[34:35]
	v_mul_f64 v[34:35], v[6:7], v[18:19]
	v_add_f64 v[44:45], v[36:37], v[84:85]
	v_mul_f64 v[36:37], v[4:5], v[14:15]
	v_fma_f64 v[34:35], v[4:5], v[16:17], -v[34:35]
	v_fmac_f64_e32 v[36:37], v[6:7], v[12:13]
	v_add_f64 v[94:95], v[90:91], v[34:35]
	v_mul_f64 v[34:35], v[6:7], v[22:23]
	v_add_f64 v[52:53], v[36:37], v[88:89]
	v_mul_f64 v[36:37], v[4:5], v[18:19]
	v_fma_f64 v[34:35], v[4:5], v[20:21], -v[34:35]
	v_mul_f64 v[4:5], v[4:5], v[22:23]
	v_fmac_f64_e32 v[4:5], v[6:7], v[20:21]
	v_fmac_f64_e32 v[36:37], v[6:7], v[16:17]
	v_add_f64 v[100:101], v[4:5], v[100:101]
	ds_read_b128 v[4:7], v113 offset:3104
	v_add_f64 v[98:99], v[98:99], v[34:35]
	v_add_f64 v[96:97], v[36:37], v[92:93]
	s_waitcnt lgkmcnt(0)
	v_mul_f64 v[34:35], v[6:7], v[10:11]
	v_mul_f64 v[10:11], v[4:5], v[10:11]
	v_fmac_f64_e32 v[10:11], v[6:7], v[8:9]
	v_fma_f64 v[34:35], v[4:5], v[8:9], -v[34:35]
	v_add_f64 v[80:81], v[10:11], v[104:105]
	v_mul_f64 v[8:9], v[6:7], v[14:15]
	v_mul_f64 v[10:11], v[4:5], v[14:15]
	v_fma_f64 v[8:9], v[4:5], v[12:13], -v[8:9]
	v_fmac_f64_e32 v[10:11], v[6:7], v[12:13]
	v_add_f64 v[90:91], v[106:107], v[8:9]
	v_add_f64 v[92:93], v[10:11], v[108:109]
	v_mul_f64 v[8:9], v[6:7], v[18:19]
	v_mul_f64 v[10:11], v[4:5], v[18:19]
	v_fma_f64 v[8:9], v[4:5], v[16:17], -v[8:9]
	v_fmac_f64_e32 v[10:11], v[6:7], v[16:17]
	ds_read_b128 v[16:19], v112 offset:3072
	ds_read_b128 v[12:15], v112 offset:3328
	v_add_f64 v[86:87], v[54:55], v[8:9]
	v_mul_f64 v[8:9], v[6:7], v[22:23]
	v_fma_f64 v[8:9], v[4:5], v[20:21], -v[8:9]
	v_mul_f64 v[4:5], v[4:5], v[22:23]
	v_add_f64 v[88:89], v[10:11], v[56:57]
	v_fmac_f64_e32 v[4:5], v[6:7], v[20:21]
	v_add_f64 v[82:83], v[114:115], v[8:9]
	ds_read_b128 v[8:11], v112 offset:3584
	v_add_f64 v[84:85], v[4:5], v[116:117]
	s_waitcnt lgkmcnt(2)
	v_mul_f64 v[4:5], v[2:3], v[18:19]
	v_mul_f64 v[6:7], v[0:1], v[18:19]
	v_fma_f64 v[4:5], v[0:1], v[16:17], -v[4:5]
	v_fmac_f64_e32 v[6:7], v[2:3], v[16:17]
	v_add_f64 v[54:55], v[118:119], v[4:5]
	v_add_f64 v[56:57], v[6:7], v[120:121]
	s_waitcnt lgkmcnt(1)
	v_mul_f64 v[4:5], v[2:3], v[14:15]
	v_mul_f64 v[6:7], v[0:1], v[14:15]
	v_fma_f64 v[4:5], v[0:1], v[12:13], -v[4:5]
	v_fmac_f64_e32 v[6:7], v[2:3], v[12:13]
	v_add_f64 v[38:39], v[122:123], v[4:5]
	;; [unrolled: 7-line block ×3, first 2 shown]
	v_add_f64 v[34:35], v[126:127], v[4:5]
	v_add_f64 v[36:37], v[6:7], v[128:129]
	ds_read_b128 v[4:7], v112 offset:3840
	s_waitcnt lgkmcnt(0)
	v_mul_f64 v[20:21], v[2:3], v[6:7]
	v_fma_f64 v[20:21], v[0:1], v[4:5], -v[20:21]
	v_mul_f64 v[0:1], v[0:1], v[6:7]
	v_fmac_f64_e32 v[0:1], v[2:3], v[4:5]
	v_add_f64 v[22:23], v[0:1], v[132:133]
	ds_read_b128 v[0:3], v113 offset:1072
	v_add_f64 v[20:21], v[130:131], v[20:21]
	s_waitcnt lgkmcnt(0)
	v_mul_f64 v[66:67], v[2:3], v[18:19]
	v_fma_f64 v[66:67], v[0:1], v[16:17], -v[66:67]
	v_add_f64 v[74:75], v[46:47], v[66:67]
	v_mul_f64 v[46:47], v[2:3], v[14:15]
	v_mul_f64 v[68:69], v[0:1], v[18:19]
	v_fma_f64 v[46:47], v[0:1], v[12:13], -v[46:47]
	v_fmac_f64_e32 v[68:69], v[2:3], v[16:17]
	v_add_f64 v[66:67], v[58:59], v[46:47]
	v_mul_f64 v[46:47], v[2:3], v[10:11]
	v_add_f64 v[76:77], v[68:69], v[50:51]
	v_mul_f64 v[50:51], v[0:1], v[14:15]
	v_fma_f64 v[46:47], v[0:1], v[8:9], -v[46:47]
	v_fmac_f64_e32 v[50:51], v[2:3], v[12:13]
	v_add_f64 v[58:59], v[62:63], v[46:47]
	v_mul_f64 v[46:47], v[2:3], v[6:7]
	v_add_f64 v[68:69], v[50:51], v[60:61]
	v_mul_f64 v[50:51], v[0:1], v[10:11]
	v_fma_f64 v[46:47], v[0:1], v[4:5], -v[46:47]
	v_mul_f64 v[0:1], v[0:1], v[6:7]
	v_fmac_f64_e32 v[50:51], v[2:3], v[8:9]
	v_fmac_f64_e32 v[0:1], v[2:3], v[4:5]
	v_add_f64 v[62:63], v[50:51], v[64:65]
	v_add_f64 v[50:51], v[0:1], v[72:73]
	ds_read_b128 v[0:3], v113 offset:2096
	v_add_f64 v[46:47], v[70:71], v[46:47]
	s_waitcnt lgkmcnt(0)
	v_mul_f64 v[60:61], v[2:3], v[18:19]
	v_fma_f64 v[60:61], v[0:1], v[16:17], -v[60:61]
	v_add_f64 v[70:71], v[42:43], v[60:61]
	v_mul_f64 v[42:43], v[2:3], v[14:15]
	v_mul_f64 v[64:65], v[0:1], v[18:19]
	v_fma_f64 v[42:43], v[0:1], v[12:13], -v[42:43]
	v_fmac_f64_e32 v[64:65], v[2:3], v[16:17]
	v_add_f64 v[60:61], v[48:49], v[42:43]
	v_mul_f64 v[42:43], v[2:3], v[10:11]
	v_add_f64 v[72:73], v[64:65], v[44:45]
	v_mul_f64 v[44:45], v[0:1], v[14:15]
	v_fma_f64 v[42:43], v[0:1], v[8:9], -v[42:43]
	v_fmac_f64_e32 v[44:45], v[2:3], v[12:13]
	v_add_f64 v[48:49], v[94:95], v[42:43]
	v_mul_f64 v[42:43], v[2:3], v[6:7]
	v_add_f64 v[64:65], v[44:45], v[52:53]
	v_mul_f64 v[44:45], v[0:1], v[10:11]
	v_fma_f64 v[42:43], v[0:1], v[4:5], -v[42:43]
	v_mul_f64 v[0:1], v[0:1], v[6:7]
	v_fmac_f64_e32 v[44:45], v[2:3], v[8:9]
	v_fmac_f64_e32 v[0:1], v[2:3], v[4:5]
	v_add_f64 v[52:53], v[44:45], v[96:97]
	v_add_f64 v[44:45], v[0:1], v[100:101]
	ds_read_b128 v[0:3], v113 offset:3120
	v_add_f64 v[42:43], v[98:99], v[42:43]
	s_waitcnt lgkmcnt(0)
	s_barrier
	v_mul_f64 v[94:95], v[2:3], v[18:19]
	v_mul_f64 v[18:19], v[0:1], v[18:19]
	v_fma_f64 v[94:95], v[0:1], v[16:17], -v[94:95]
	v_fmac_f64_e32 v[18:19], v[2:3], v[16:17]
	v_mul_f64 v[16:17], v[2:3], v[14:15]
	v_mul_f64 v[14:15], v[0:1], v[14:15]
	v_fma_f64 v[16:17], v[0:1], v[12:13], -v[16:17]
	v_fmac_f64_e32 v[14:15], v[2:3], v[12:13]
	;; [unrolled: 4-line block ×3, first 2 shown]
	v_mul_f64 v[8:9], v[2:3], v[6:7]
	v_fma_f64 v[8:9], v[0:1], v[4:5], -v[8:9]
	v_mul_f64 v[0:1], v[0:1], v[6:7]
	v_fmac_f64_e32 v[0:1], v[2:3], v[4:5]
	v_add_f64 v[78:79], v[78:79], v[94:95]
	v_add_f64 v[80:81], v[18:19], v[80:81]
	;; [unrolled: 1-line block ×8, first 2 shown]
	s_cbranch_vccnz .LBB269_2
	s_branch .LBB269_4
.LBB269_3:
	v_mov_b64_e32 v[54:55], 0
	v_mov_b64_e32 v[56:57], 0
	v_mov_b64_e32 v[38:39], 0
	v_mov_b64_e32 v[40:41], 0
	v_mov_b64_e32 v[34:35], 0
	v_mov_b64_e32 v[36:37], 0
	v_mov_b64_e32 v[20:21], 0
	v_mov_b64_e32 v[22:23], 0
	v_mov_b64_e32 v[74:75], 0
	v_mov_b64_e32 v[76:77], 0
	v_mov_b64_e32 v[66:67], 0
	v_mov_b64_e32 v[68:69], 0
	v_mov_b64_e32 v[58:59], 0
	v_mov_b64_e32 v[62:63], 0
	v_mov_b64_e32 v[46:47], 0
	v_mov_b64_e32 v[50:51], 0
	v_mov_b64_e32 v[70:71], 0
	v_mov_b64_e32 v[72:73], 0
	v_mov_b64_e32 v[60:61], 0
	v_mov_b64_e32 v[64:65], 0
	v_mov_b64_e32 v[48:49], 0
	v_mov_b64_e32 v[52:53], 0
	v_mov_b64_e32 v[42:43], 0
	v_mov_b64_e32 v[44:45], 0
	v_mov_b64_e32 v[78:79], 0
	v_mov_b64_e32 v[80:81], 0
	v_mov_b64_e32 v[16:17], 0
	v_mov_b64_e32 v[18:19], 0
	v_mov_b64_e32 v[12:13], 0
	v_mov_b64_e32 v[14:15], 0
	v_mov_b64_e32 v[8:9], 0
	v_mov_b64_e32 v[10:11], 0
.LBB269_4:
	s_load_dwordx2 s[0:1], s[0:1], 0x90
	v_lshl_add_u64 v[2:3], s[14:15], 0, v[26:27]
	v_cmp_neq_f64_e64 s[14:15], s[10:11], 0
	v_cmp_neq_f64_e64 s[20:21], s[12:13], 0
	s_mov_b64 s[8:9], 0
	s_waitcnt lgkmcnt(0)
	s_lshl_b64 s[0:1], s[0:1], 4
	s_add_u32 s0, s6, s0
	s_addc_u32 s1, s7, s1
	s_or_b64 s[6:7], s[14:15], s[20:21]
	v_lshl_add_u64 v[0:1], s[2:3], 0, v[24:25]
	s_and_b64 vcc, exec, s[6:7]
	s_cbranch_vccnz .LBB269_6
; %bb.5:
	v_mul_lo_u32 v6, v3, s22
	v_mul_lo_u32 v7, v2, s23
	v_mad_u64_u32 v[4:5], s[2:3], v2, s22, 0
	v_add3_u32 v5, v5, v7, v6
	v_lshl_add_u64 v[24:25], v[4:5], 4, s[0:1]
	v_mul_f64 v[4:5], s[40:41], v[56:57]
	v_mul_f64 v[6:7], s[38:39], v[56:57]
	v_lshlrev_b64 v[26:27], 4, v[0:1]
	v_fma_f64 v[4:5], s[38:39], v[54:55], -v[4:5]
	v_fmac_f64_e32 v[6:7], s[40:41], v[54:55]
	v_lshl_add_u64 v[28:29], v[24:25], 0, v[26:27]
	flat_store_dwordx4 v[28:29], v[4:7]
	s_lshl_b64 s[2:3], s[22:23], 8
	v_lshl_add_u64 v[24:25], v[24:25], 0, s[2:3]
	v_mul_f64 v[4:5], s[40:41], v[40:41]
	v_mul_f64 v[6:7], s[38:39], v[40:41]
	v_fma_f64 v[4:5], s[38:39], v[38:39], -v[4:5]
	v_fmac_f64_e32 v[6:7], s[40:41], v[38:39]
	flat_store_dwordx4 v[28:29], v[4:7] offset:256
	s_nop 1
	v_mul_f64 v[4:5], s[40:41], v[36:37]
	v_mul_f64 v[6:7], s[38:39], v[36:37]
	v_fma_f64 v[4:5], s[38:39], v[34:35], -v[4:5]
	v_fmac_f64_e32 v[6:7], s[40:41], v[34:35]
	flat_store_dwordx4 v[28:29], v[4:7] offset:512
	s_nop 1
	v_mul_f64 v[4:5], s[40:41], v[22:23]
	v_mul_f64 v[6:7], s[38:39], v[22:23]
	v_fma_f64 v[4:5], s[38:39], v[20:21], -v[4:5]
	v_fmac_f64_e32 v[6:7], s[40:41], v[20:21]
	flat_store_dwordx4 v[28:29], v[4:7] offset:768
	v_lshl_add_u64 v[28:29], v[24:25], 0, v[26:27]
	v_lshl_add_u64 v[24:25], v[24:25], 0, s[2:3]
	v_mul_f64 v[4:5], s[40:41], v[76:77]
	v_mul_f64 v[6:7], s[38:39], v[76:77]
	v_fma_f64 v[4:5], s[38:39], v[74:75], -v[4:5]
	v_fmac_f64_e32 v[6:7], s[40:41], v[74:75]
	flat_store_dwordx4 v[28:29], v[4:7]
	s_nop 1
	v_mul_f64 v[4:5], s[40:41], v[68:69]
	v_mul_f64 v[6:7], s[38:39], v[68:69]
	v_fma_f64 v[4:5], s[38:39], v[66:67], -v[4:5]
	v_fmac_f64_e32 v[6:7], s[40:41], v[66:67]
	flat_store_dwordx4 v[28:29], v[4:7] offset:256
	s_nop 1
	v_mul_f64 v[4:5], s[40:41], v[62:63]
	v_mul_f64 v[6:7], s[38:39], v[62:63]
	v_fma_f64 v[4:5], s[38:39], v[58:59], -v[4:5]
	v_fmac_f64_e32 v[6:7], s[40:41], v[58:59]
	flat_store_dwordx4 v[28:29], v[4:7] offset:512
	;; [unrolled: 6-line block ×3, first 2 shown]
	v_lshl_add_u64 v[28:29], v[24:25], 0, v[26:27]
	v_lshl_add_u64 v[24:25], v[24:25], 0, s[2:3]
	v_mul_f64 v[4:5], s[40:41], v[72:73]
	v_mul_f64 v[6:7], s[38:39], v[72:73]
	v_fma_f64 v[4:5], s[38:39], v[70:71], -v[4:5]
	v_fmac_f64_e32 v[6:7], s[40:41], v[70:71]
	flat_store_dwordx4 v[28:29], v[4:7]
	v_lshl_add_u64 v[24:25], v[24:25], 0, v[26:27]
	s_mov_b64 s[2:3], 0x300
	v_mul_f64 v[4:5], s[40:41], v[64:65]
	v_mul_f64 v[6:7], s[38:39], v[64:65]
	v_fma_f64 v[4:5], s[38:39], v[60:61], -v[4:5]
	v_fmac_f64_e32 v[6:7], s[40:41], v[60:61]
	flat_store_dwordx4 v[28:29], v[4:7] offset:256
	s_nop 1
	v_mul_f64 v[4:5], s[40:41], v[52:53]
	v_mul_f64 v[6:7], s[38:39], v[52:53]
	v_fma_f64 v[4:5], s[38:39], v[48:49], -v[4:5]
	v_fmac_f64_e32 v[6:7], s[40:41], v[48:49]
	flat_store_dwordx4 v[28:29], v[4:7] offset:512
	s_nop 1
	;; [unrolled: 6-line block ×3, first 2 shown]
	v_mul_f64 v[4:5], s[40:41], v[80:81]
	v_mul_f64 v[6:7], s[38:39], v[80:81]
	v_fma_f64 v[4:5], s[38:39], v[78:79], -v[4:5]
	v_fmac_f64_e32 v[6:7], s[40:41], v[78:79]
	flat_store_dwordx4 v[24:25], v[4:7]
	s_nop 1
	v_mul_f64 v[4:5], s[40:41], v[18:19]
	v_mul_f64 v[6:7], s[38:39], v[18:19]
	v_fma_f64 v[4:5], s[38:39], v[16:17], -v[4:5]
	v_fmac_f64_e32 v[6:7], s[40:41], v[16:17]
	flat_store_dwordx4 v[24:25], v[4:7] offset:256
	s_nop 1
	v_mul_f64 v[4:5], s[40:41], v[14:15]
	v_mul_f64 v[6:7], s[38:39], v[14:15]
	v_fma_f64 v[4:5], s[38:39], v[12:13], -v[4:5]
	v_fmac_f64_e32 v[6:7], s[40:41], v[12:13]
	flat_store_dwordx4 v[24:25], v[4:7] offset:512
	s_nop 1
	v_mul_f64 v[4:5], s[40:41], v[10:11]
	v_fma_f64 v[26:27], s[38:39], v[8:9], -v[4:5]
	v_mul_f64 v[4:5], s[38:39], v[10:11]
	v_fmac_f64_e32 v[4:5], s[40:41], v[8:9]
	v_lshl_add_u64 v[6:7], v[24:25], 0, s[2:3]
	flat_store_dwordx2 v[24:25], v[26:27] offset:768
	s_andn2_b64 vcc, exec, s[8:9]
	s_cbranch_vccz .LBB269_7
	s_branch .LBB269_8
.LBB269_6:
                                        ; implicit-def: $vgpr4_vgpr5
                                        ; implicit-def: $vgpr6_vgpr7
.LBB269_7:
	s_lshl_b64 s[2:3], s[18:19], 4
	s_add_u32 s2, s4, s2
	s_addc_u32 s3, s5, s3
	v_mul_lo_u32 v6, v3, s16
	v_mul_lo_u32 v7, v2, s17
	v_mad_u64_u32 v[4:5], s[4:5], v2, s16, 0
	v_add3_u32 v5, v5, v7, v6
	v_lshl_add_u64 v[24:25], v[4:5], 4, s[2:3]
	v_lshlrev_b64 v[0:1], 4, v[0:1]
	v_lshl_add_u64 v[26:27], v[24:25], 0, v[0:1]
	flat_load_dwordx4 v[4:7], v[26:27]
	v_mul_lo_u32 v32, v3, s22
	v_mul_lo_u32 v33, v2, s23
	v_mad_u64_u32 v[2:3], s[2:3], v2, s22, 0
	v_add3_u32 v3, v3, v33, v32
	v_mul_f64 v[28:29], s[40:41], v[56:57]
	v_mul_f64 v[30:31], s[38:39], v[56:57]
	v_lshl_add_u64 v[32:33], v[2:3], 4, s[0:1]
	v_fma_f64 v[28:29], s[38:39], v[54:55], -v[28:29]
	v_fmac_f64_e32 v[30:31], s[40:41], v[54:55]
	v_lshl_add_u64 v[54:55], v[32:33], 0, v[0:1]
	s_lshl_b64 s[0:1], s[16:17], 8
	s_lshl_b64 s[2:3], s[22:23], 8
	s_waitcnt vmcnt(0) lgkmcnt(0)
	v_mul_f64 v[2:3], s[12:13], v[6:7]
	v_mul_f64 v[6:7], s[10:11], v[6:7]
	v_fma_f64 v[2:3], s[10:11], v[4:5], -v[2:3]
	v_fmac_f64_e32 v[6:7], s[12:13], v[4:5]
	v_add_f64 v[2:3], v[28:29], v[2:3]
	v_add_f64 v[4:5], v[30:31], v[6:7]
	flat_store_dwordx4 v[54:55], v[2:5]
	flat_load_dwordx4 v[2:5], v[26:27] offset:256
	v_mul_f64 v[6:7], s[40:41], v[40:41]
	v_mul_f64 v[28:29], s[38:39], v[40:41]
	v_fma_f64 v[6:7], s[38:39], v[38:39], -v[6:7]
	v_fmac_f64_e32 v[28:29], s[40:41], v[38:39]
	s_waitcnt vmcnt(0) lgkmcnt(0)
	v_mul_f64 v[30:31], s[12:13], v[4:5]
	v_mul_f64 v[4:5], s[10:11], v[4:5]
	v_fma_f64 v[30:31], s[10:11], v[2:3], -v[30:31]
	v_fmac_f64_e32 v[4:5], s[12:13], v[2:3]
	v_add_f64 v[2:3], v[6:7], v[30:31]
	v_add_f64 v[4:5], v[28:29], v[4:5]
	flat_store_dwordx4 v[54:55], v[2:5] offset:256
	flat_load_dwordx4 v[2:5], v[26:27] offset:512
	v_mul_f64 v[6:7], s[40:41], v[36:37]
	v_mul_f64 v[28:29], s[38:39], v[36:37]
	v_fma_f64 v[6:7], s[38:39], v[34:35], -v[6:7]
	v_fmac_f64_e32 v[28:29], s[40:41], v[34:35]
	s_waitcnt vmcnt(0) lgkmcnt(0)
	v_mul_f64 v[30:31], s[12:13], v[4:5]
	v_mul_f64 v[4:5], s[10:11], v[4:5]
	v_fma_f64 v[30:31], s[10:11], v[2:3], -v[30:31]
	v_fmac_f64_e32 v[4:5], s[12:13], v[2:3]
	v_add_f64 v[2:3], v[6:7], v[30:31]
	v_add_f64 v[4:5], v[28:29], v[4:5]
	flat_store_dwordx4 v[54:55], v[2:5] offset:512
	flat_load_dwordx4 v[2:5], v[26:27] offset:768
	v_mul_f64 v[6:7], s[40:41], v[22:23]
	v_mul_f64 v[22:23], s[38:39], v[22:23]
	v_fma_f64 v[6:7], s[38:39], v[20:21], -v[6:7]
	v_fmac_f64_e32 v[22:23], s[40:41], v[20:21]
	v_lshl_add_u64 v[20:21], v[24:25], 0, s[0:1]
	v_lshl_add_u64 v[24:25], v[20:21], 0, v[0:1]
	;; [unrolled: 1-line block ×3, first 2 shown]
	s_waitcnt vmcnt(0) lgkmcnt(0)
	v_mul_f64 v[26:27], s[12:13], v[4:5]
	v_mul_f64 v[4:5], s[10:11], v[4:5]
	v_fma_f64 v[26:27], s[10:11], v[2:3], -v[26:27]
	v_fmac_f64_e32 v[4:5], s[12:13], v[2:3]
	v_add_f64 v[2:3], v[6:7], v[26:27]
	v_add_f64 v[4:5], v[22:23], v[4:5]
	flat_store_dwordx4 v[54:55], v[2:5] offset:768
	flat_load_dwordx4 v[2:5], v[24:25]
	v_mul_f64 v[6:7], s[40:41], v[76:77]
	v_mul_f64 v[22:23], s[38:39], v[76:77]
	v_fma_f64 v[6:7], s[38:39], v[74:75], -v[6:7]
	v_fmac_f64_e32 v[22:23], s[40:41], v[74:75]
	v_lshl_add_u64 v[26:27], v[32:33], 0, s[2:3]
	v_lshl_add_u64 v[28:29], v[26:27], 0, v[0:1]
	;; [unrolled: 1-line block ×3, first 2 shown]
	s_waitcnt vmcnt(0) lgkmcnt(0)
	v_mul_f64 v[30:31], s[12:13], v[4:5]
	v_mul_f64 v[4:5], s[10:11], v[4:5]
	v_fma_f64 v[30:31], s[10:11], v[2:3], -v[30:31]
	v_fmac_f64_e32 v[4:5], s[12:13], v[2:3]
	v_add_f64 v[2:3], v[6:7], v[30:31]
	v_add_f64 v[4:5], v[22:23], v[4:5]
	flat_store_dwordx4 v[28:29], v[2:5]
	flat_load_dwordx4 v[2:5], v[24:25] offset:256
	v_mul_f64 v[6:7], s[40:41], v[68:69]
	v_mul_f64 v[22:23], s[38:39], v[68:69]
	v_fma_f64 v[6:7], s[38:39], v[66:67], -v[6:7]
	v_fmac_f64_e32 v[22:23], s[40:41], v[66:67]
	s_waitcnt vmcnt(0) lgkmcnt(0)
	v_mul_f64 v[30:31], s[12:13], v[4:5]
	v_mul_f64 v[4:5], s[10:11], v[4:5]
	v_fma_f64 v[30:31], s[10:11], v[2:3], -v[30:31]
	v_fmac_f64_e32 v[4:5], s[12:13], v[2:3]
	v_add_f64 v[2:3], v[6:7], v[30:31]
	v_add_f64 v[4:5], v[22:23], v[4:5]
	flat_store_dwordx4 v[28:29], v[2:5] offset:256
	flat_load_dwordx4 v[2:5], v[24:25] offset:512
	v_mul_f64 v[6:7], s[40:41], v[62:63]
	v_mul_f64 v[22:23], s[38:39], v[62:63]
	v_fma_f64 v[6:7], s[38:39], v[58:59], -v[6:7]
	v_fmac_f64_e32 v[22:23], s[40:41], v[58:59]
	s_waitcnt vmcnt(0) lgkmcnt(0)
	v_mul_f64 v[30:31], s[12:13], v[4:5]
	v_mul_f64 v[4:5], s[10:11], v[4:5]
	v_fma_f64 v[30:31], s[10:11], v[2:3], -v[30:31]
	v_fmac_f64_e32 v[4:5], s[12:13], v[2:3]
	v_add_f64 v[2:3], v[6:7], v[30:31]
	v_add_f64 v[4:5], v[22:23], v[4:5]
	flat_store_dwordx4 v[28:29], v[2:5] offset:512
	flat_load_dwordx4 v[2:5], v[24:25] offset:768
	v_mul_f64 v[6:7], s[40:41], v[50:51]
	v_mul_f64 v[22:23], s[38:39], v[50:51]
	v_fma_f64 v[6:7], s[38:39], v[46:47], -v[6:7]
	v_fmac_f64_e32 v[22:23], s[40:41], v[46:47]
	v_lshl_add_u64 v[24:25], v[20:21], 0, v[0:1]
	v_lshl_add_u64 v[20:21], v[20:21], 0, s[0:1]
	;; [unrolled: 1-line block ×3, first 2 shown]
	s_mov_b64 s[0:1], 0x300
	s_waitcnt vmcnt(0) lgkmcnt(0)
	v_mul_f64 v[30:31], s[12:13], v[4:5]
	v_mul_f64 v[4:5], s[10:11], v[4:5]
	v_fma_f64 v[30:31], s[10:11], v[2:3], -v[30:31]
	v_fmac_f64_e32 v[4:5], s[12:13], v[2:3]
	v_add_f64 v[2:3], v[6:7], v[30:31]
	v_add_f64 v[4:5], v[22:23], v[4:5]
	flat_store_dwordx4 v[28:29], v[2:5] offset:768
	flat_load_dwordx4 v[2:5], v[24:25]
	v_mul_f64 v[6:7], s[40:41], v[72:73]
	v_mul_f64 v[22:23], s[38:39], v[72:73]
	v_fma_f64 v[6:7], s[38:39], v[70:71], -v[6:7]
	v_fmac_f64_e32 v[22:23], s[40:41], v[70:71]
	v_lshl_add_u64 v[28:29], v[26:27], 0, v[0:1]
	s_waitcnt vmcnt(0) lgkmcnt(0)
	v_mul_f64 v[30:31], s[12:13], v[4:5]
	v_mul_f64 v[4:5], s[10:11], v[4:5]
	v_fma_f64 v[30:31], s[10:11], v[2:3], -v[30:31]
	v_fmac_f64_e32 v[4:5], s[12:13], v[2:3]
	v_add_f64 v[2:3], v[6:7], v[30:31]
	v_add_f64 v[4:5], v[22:23], v[4:5]
	flat_store_dwordx4 v[28:29], v[2:5]
	flat_load_dwordx4 v[2:5], v[24:25] offset:256
	v_mul_f64 v[6:7], s[40:41], v[64:65]
	v_mul_f64 v[22:23], s[38:39], v[64:65]
	v_fma_f64 v[6:7], s[38:39], v[60:61], -v[6:7]
	v_fmac_f64_e32 v[22:23], s[40:41], v[60:61]
	s_waitcnt vmcnt(0) lgkmcnt(0)
	v_mul_f64 v[30:31], s[12:13], v[4:5]
	v_mul_f64 v[4:5], s[10:11], v[4:5]
	v_fma_f64 v[30:31], s[10:11], v[2:3], -v[30:31]
	v_fmac_f64_e32 v[4:5], s[12:13], v[2:3]
	v_add_f64 v[2:3], v[6:7], v[30:31]
	v_add_f64 v[4:5], v[22:23], v[4:5]
	flat_store_dwordx4 v[28:29], v[2:5] offset:256
	flat_load_dwordx4 v[2:5], v[24:25] offset:512
	v_mul_f64 v[6:7], s[40:41], v[52:53]
	v_mul_f64 v[22:23], s[38:39], v[52:53]
	v_fma_f64 v[6:7], s[38:39], v[48:49], -v[6:7]
	v_fmac_f64_e32 v[22:23], s[40:41], v[48:49]
	s_waitcnt vmcnt(0) lgkmcnt(0)
	v_mul_f64 v[30:31], s[12:13], v[4:5]
	v_mul_f64 v[4:5], s[10:11], v[4:5]
	v_fma_f64 v[30:31], s[10:11], v[2:3], -v[30:31]
	v_fmac_f64_e32 v[4:5], s[12:13], v[2:3]
	v_add_f64 v[2:3], v[6:7], v[30:31]
	v_add_f64 v[4:5], v[22:23], v[4:5]
	flat_store_dwordx4 v[28:29], v[2:5] offset:512
	;; [unrolled: 13-line block ×3, first 2 shown]
	flat_load_dwordx4 v[2:5], v[20:21]
	v_lshl_add_u64 v[24:25], v[26:27], 0, s[2:3]
	v_mul_f64 v[6:7], s[40:41], v[80:81]
	v_mul_f64 v[22:23], s[38:39], v[80:81]
	v_lshl_add_u64 v[24:25], v[24:25], 0, v[0:1]
	v_fma_f64 v[6:7], s[38:39], v[78:79], -v[6:7]
	v_fmac_f64_e32 v[22:23], s[40:41], v[78:79]
	s_waitcnt vmcnt(0) lgkmcnt(0)
	v_mul_f64 v[0:1], s[12:13], v[4:5]
	v_mul_f64 v[4:5], s[10:11], v[4:5]
	v_fma_f64 v[0:1], s[10:11], v[2:3], -v[0:1]
	v_fmac_f64_e32 v[4:5], s[12:13], v[2:3]
	v_add_f64 v[0:1], v[6:7], v[0:1]
	v_add_f64 v[2:3], v[22:23], v[4:5]
	flat_store_dwordx4 v[24:25], v[0:3]
	flat_load_dwordx4 v[0:3], v[20:21] offset:256
	v_mul_f64 v[4:5], s[40:41], v[18:19]
	v_mul_f64 v[6:7], s[38:39], v[18:19]
	v_fma_f64 v[4:5], s[38:39], v[16:17], -v[4:5]
	v_fmac_f64_e32 v[6:7], s[40:41], v[16:17]
	s_waitcnt vmcnt(0) lgkmcnt(0)
	v_mul_f64 v[16:17], s[12:13], v[2:3]
	v_mul_f64 v[2:3], s[10:11], v[2:3]
	v_fma_f64 v[16:17], s[10:11], v[0:1], -v[16:17]
	v_fmac_f64_e32 v[2:3], s[12:13], v[0:1]
	v_add_f64 v[0:1], v[4:5], v[16:17]
	v_add_f64 v[2:3], v[6:7], v[2:3]
	flat_store_dwordx4 v[24:25], v[0:3] offset:256
	flat_load_dwordx4 v[0:3], v[20:21] offset:512
	v_mul_f64 v[4:5], s[40:41], v[14:15]
	v_mul_f64 v[6:7], s[38:39], v[14:15]
	v_fma_f64 v[4:5], s[38:39], v[12:13], -v[4:5]
	v_fmac_f64_e32 v[6:7], s[40:41], v[12:13]
	s_waitcnt vmcnt(0) lgkmcnt(0)
	v_mul_f64 v[12:13], s[12:13], v[2:3]
	v_mul_f64 v[2:3], s[10:11], v[2:3]
	v_fma_f64 v[12:13], s[10:11], v[0:1], -v[12:13]
	v_fmac_f64_e32 v[2:3], s[12:13], v[0:1]
	v_add_f64 v[0:1], v[4:5], v[12:13]
	v_add_f64 v[2:3], v[6:7], v[2:3]
	flat_store_dwordx4 v[24:25], v[0:3] offset:512
	flat_load_dwordx4 v[0:3], v[20:21] offset:768
	v_mul_f64 v[4:5], s[40:41], v[10:11]
	v_mul_f64 v[6:7], s[38:39], v[10:11]
	v_fma_f64 v[4:5], s[38:39], v[8:9], -v[4:5]
	v_fmac_f64_e32 v[6:7], s[40:41], v[8:9]
	s_waitcnt vmcnt(0) lgkmcnt(0)
	v_mul_f64 v[8:9], s[12:13], v[2:3]
	v_mul_f64 v[2:3], s[10:11], v[2:3]
	v_fma_f64 v[8:9], s[10:11], v[0:1], -v[8:9]
	v_fmac_f64_e32 v[2:3], s[12:13], v[0:1]
	v_add_f64 v[0:1], v[4:5], v[8:9]
	v_add_f64 v[4:5], v[6:7], v[2:3]
	v_lshl_add_u64 v[6:7], v[24:25], 0, s[0:1]
	flat_store_dwordx2 v[24:25], v[0:1] offset:768
.LBB269_8:
	flat_store_dwordx2 v[6:7], v[4:5] offset:8
	s_endpgm
	.section	.rodata,"a",@progbits
	.p2align	6, 0x0
	.amdhsa_kernel _ZN12_GLOBAL__N_127rocblas_gemm_batched_kernelI19rocblas_complex_numIdELi16ELi16ELi64ELi64ELi4ELi64ELi4ELi4ELi64ELc67ELc84EKPKS2_S5_KPS2_EEvlllT_PT11_llSA_llS8_PT12_llPT13_lli
		.amdhsa_group_segment_fixed_size 8192
		.amdhsa_private_segment_fixed_size 0
		.amdhsa_kernarg_size 156
		.amdhsa_user_sgpr_count 2
		.amdhsa_user_sgpr_dispatch_ptr 0
		.amdhsa_user_sgpr_queue_ptr 0
		.amdhsa_user_sgpr_kernarg_segment_ptr 1
		.amdhsa_user_sgpr_dispatch_id 0
		.amdhsa_user_sgpr_kernarg_preload_length 0
		.amdhsa_user_sgpr_kernarg_preload_offset 0
		.amdhsa_user_sgpr_private_segment_size 0
		.amdhsa_uses_dynamic_stack 0
		.amdhsa_enable_private_segment 0
		.amdhsa_system_sgpr_workgroup_id_x 1
		.amdhsa_system_sgpr_workgroup_id_y 1
		.amdhsa_system_sgpr_workgroup_id_z 1
		.amdhsa_system_sgpr_workgroup_info 0
		.amdhsa_system_vgpr_workitem_id 1
		.amdhsa_next_free_vgpr 138
		.amdhsa_next_free_sgpr 52
		.amdhsa_accum_offset 140
		.amdhsa_reserve_vcc 1
		.amdhsa_float_round_mode_32 0
		.amdhsa_float_round_mode_16_64 0
		.amdhsa_float_denorm_mode_32 3
		.amdhsa_float_denorm_mode_16_64 3
		.amdhsa_dx10_clamp 1
		.amdhsa_ieee_mode 1
		.amdhsa_fp16_overflow 0
		.amdhsa_tg_split 0
		.amdhsa_exception_fp_ieee_invalid_op 0
		.amdhsa_exception_fp_denorm_src 0
		.amdhsa_exception_fp_ieee_div_zero 0
		.amdhsa_exception_fp_ieee_overflow 0
		.amdhsa_exception_fp_ieee_underflow 0
		.amdhsa_exception_fp_ieee_inexact 0
		.amdhsa_exception_int_div_zero 0
	.end_amdhsa_kernel
	.section	.text._ZN12_GLOBAL__N_127rocblas_gemm_batched_kernelI19rocblas_complex_numIdELi16ELi16ELi64ELi64ELi4ELi64ELi4ELi4ELi64ELc67ELc84EKPKS2_S5_KPS2_EEvlllT_PT11_llSA_llS8_PT12_llPT13_lli,"axG",@progbits,_ZN12_GLOBAL__N_127rocblas_gemm_batched_kernelI19rocblas_complex_numIdELi16ELi16ELi64ELi64ELi4ELi64ELi4ELi4ELi64ELc67ELc84EKPKS2_S5_KPS2_EEvlllT_PT11_llSA_llS8_PT12_llPT13_lli,comdat
.Lfunc_end269:
	.size	_ZN12_GLOBAL__N_127rocblas_gemm_batched_kernelI19rocblas_complex_numIdELi16ELi16ELi64ELi64ELi4ELi64ELi4ELi4ELi64ELc67ELc84EKPKS2_S5_KPS2_EEvlllT_PT11_llSA_llS8_PT12_llPT13_lli, .Lfunc_end269-_ZN12_GLOBAL__N_127rocblas_gemm_batched_kernelI19rocblas_complex_numIdELi16ELi16ELi64ELi64ELi4ELi64ELi4ELi4ELi64ELc67ELc84EKPKS2_S5_KPS2_EEvlllT_PT11_llSA_llS8_PT12_llPT13_lli
                                        ; -- End function
	.set _ZN12_GLOBAL__N_127rocblas_gemm_batched_kernelI19rocblas_complex_numIdELi16ELi16ELi64ELi64ELi4ELi64ELi4ELi4ELi64ELc67ELc84EKPKS2_S5_KPS2_EEvlllT_PT11_llSA_llS8_PT12_llPT13_lli.num_vgpr, 138
	.set _ZN12_GLOBAL__N_127rocblas_gemm_batched_kernelI19rocblas_complex_numIdELi16ELi16ELi64ELi64ELi4ELi64ELi4ELi4ELi64ELc67ELc84EKPKS2_S5_KPS2_EEvlllT_PT11_llSA_llS8_PT12_llPT13_lli.num_agpr, 0
	.set _ZN12_GLOBAL__N_127rocblas_gemm_batched_kernelI19rocblas_complex_numIdELi16ELi16ELi64ELi64ELi4ELi64ELi4ELi4ELi64ELc67ELc84EKPKS2_S5_KPS2_EEvlllT_PT11_llSA_llS8_PT12_llPT13_lli.numbered_sgpr, 52
	.set _ZN12_GLOBAL__N_127rocblas_gemm_batched_kernelI19rocblas_complex_numIdELi16ELi16ELi64ELi64ELi4ELi64ELi4ELi4ELi64ELc67ELc84EKPKS2_S5_KPS2_EEvlllT_PT11_llSA_llS8_PT12_llPT13_lli.num_named_barrier, 0
	.set _ZN12_GLOBAL__N_127rocblas_gemm_batched_kernelI19rocblas_complex_numIdELi16ELi16ELi64ELi64ELi4ELi64ELi4ELi4ELi64ELc67ELc84EKPKS2_S5_KPS2_EEvlllT_PT11_llSA_llS8_PT12_llPT13_lli.private_seg_size, 0
	.set _ZN12_GLOBAL__N_127rocblas_gemm_batched_kernelI19rocblas_complex_numIdELi16ELi16ELi64ELi64ELi4ELi64ELi4ELi4ELi64ELc67ELc84EKPKS2_S5_KPS2_EEvlllT_PT11_llSA_llS8_PT12_llPT13_lli.uses_vcc, 1
	.set _ZN12_GLOBAL__N_127rocblas_gemm_batched_kernelI19rocblas_complex_numIdELi16ELi16ELi64ELi64ELi4ELi64ELi4ELi4ELi64ELc67ELc84EKPKS2_S5_KPS2_EEvlllT_PT11_llSA_llS8_PT12_llPT13_lli.uses_flat_scratch, 0
	.set _ZN12_GLOBAL__N_127rocblas_gemm_batched_kernelI19rocblas_complex_numIdELi16ELi16ELi64ELi64ELi4ELi64ELi4ELi4ELi64ELc67ELc84EKPKS2_S5_KPS2_EEvlllT_PT11_llSA_llS8_PT12_llPT13_lli.has_dyn_sized_stack, 0
	.set _ZN12_GLOBAL__N_127rocblas_gemm_batched_kernelI19rocblas_complex_numIdELi16ELi16ELi64ELi64ELi4ELi64ELi4ELi4ELi64ELc67ELc84EKPKS2_S5_KPS2_EEvlllT_PT11_llSA_llS8_PT12_llPT13_lli.has_recursion, 0
	.set _ZN12_GLOBAL__N_127rocblas_gemm_batched_kernelI19rocblas_complex_numIdELi16ELi16ELi64ELi64ELi4ELi64ELi4ELi4ELi64ELc67ELc84EKPKS2_S5_KPS2_EEvlllT_PT11_llSA_llS8_PT12_llPT13_lli.has_indirect_call, 0
	.section	.AMDGPU.csdata,"",@progbits
; Kernel info:
; codeLenInByte = 6468
; TotalNumSgprs: 58
; NumVgprs: 138
; NumAgprs: 0
; TotalNumVgprs: 138
; ScratchSize: 0
; MemoryBound: 0
; FloatMode: 240
; IeeeMode: 1
; LDSByteSize: 8192 bytes/workgroup (compile time only)
; SGPRBlocks: 7
; VGPRBlocks: 17
; NumSGPRsForWavesPerEU: 58
; NumVGPRsForWavesPerEU: 138
; AccumOffset: 140
; Occupancy: 3
; WaveLimiterHint : 1
; COMPUTE_PGM_RSRC2:SCRATCH_EN: 0
; COMPUTE_PGM_RSRC2:USER_SGPR: 2
; COMPUTE_PGM_RSRC2:TRAP_HANDLER: 0
; COMPUTE_PGM_RSRC2:TGID_X_EN: 1
; COMPUTE_PGM_RSRC2:TGID_Y_EN: 1
; COMPUTE_PGM_RSRC2:TGID_Z_EN: 1
; COMPUTE_PGM_RSRC2:TIDIG_COMP_CNT: 1
; COMPUTE_PGM_RSRC3_GFX90A:ACCUM_OFFSET: 34
; COMPUTE_PGM_RSRC3_GFX90A:TG_SPLIT: 0
	.section	.text._ZN12_GLOBAL__N_127rocblas_gemm_batched_kernelI19rocblas_complex_numIdELi16ELi16ELi64ELi64ELi4ELi64ELi4ELi4ELi64ELc78ELc67EKPKS2_S5_KPS2_EEvlllT_PT11_llSA_llS8_PT12_llPT13_lli,"axG",@progbits,_ZN12_GLOBAL__N_127rocblas_gemm_batched_kernelI19rocblas_complex_numIdELi16ELi16ELi64ELi64ELi4ELi64ELi4ELi4ELi64ELc78ELc67EKPKS2_S5_KPS2_EEvlllT_PT11_llSA_llS8_PT12_llPT13_lli,comdat
	.globl	_ZN12_GLOBAL__N_127rocblas_gemm_batched_kernelI19rocblas_complex_numIdELi16ELi16ELi64ELi64ELi4ELi64ELi4ELi4ELi64ELc78ELc67EKPKS2_S5_KPS2_EEvlllT_PT11_llSA_llS8_PT12_llPT13_lli ; -- Begin function _ZN12_GLOBAL__N_127rocblas_gemm_batched_kernelI19rocblas_complex_numIdELi16ELi16ELi64ELi64ELi4ELi64ELi4ELi4ELi64ELc78ELc67EKPKS2_S5_KPS2_EEvlllT_PT11_llSA_llS8_PT12_llPT13_lli
	.p2align	8
	.type	_ZN12_GLOBAL__N_127rocblas_gemm_batched_kernelI19rocblas_complex_numIdELi16ELi16ELi64ELi64ELi4ELi64ELi4ELi4ELi64ELc78ELc67EKPKS2_S5_KPS2_EEvlllT_PT11_llSA_llS8_PT12_llPT13_lli,@function
_ZN12_GLOBAL__N_127rocblas_gemm_batched_kernelI19rocblas_complex_numIdELi16ELi16ELi64ELi64ELi4ELi64ELi4ELi4ELi64ELc78ELc67EKPKS2_S5_KPS2_EEvlllT_PT11_llSA_llS8_PT12_llPT13_lli: ; @_ZN12_GLOBAL__N_127rocblas_gemm_batched_kernelI19rocblas_complex_numIdELi16ELi16ELi64ELi64ELi4ELi64ELi4ELi4ELi64ELc78ELc67EKPKS2_S5_KPS2_EEvlllT_PT11_llSA_llS8_PT12_llPT13_lli
; %bb.0:
	s_load_dwordx16 s[36:51], s[0:1], 0x10
	s_load_dwordx16 s[8:23], s[0:1], 0x50
	s_mov_b32 s5, 0
	s_lshl_b64 s[24:25], s[4:5], 3
	s_mov_b32 s26, s3
	v_mov_b32_e32 v27, 0
	s_waitcnt lgkmcnt(0)
	s_add_u32 s4, s14, s24
	s_addc_u32 s5, s15, s25
	s_add_u32 s6, s20, s24
	s_addc_u32 s7, s21, s25
	s_load_dwordx2 s[4:5], s[4:5], 0x0
	s_ashr_i32 s3, s2, 31
	s_load_dwordx2 s[6:7], s[6:7], 0x0
	s_ashr_i32 s27, s26, 31
	v_cmp_lt_i64_e64 s[20:21], s[36:37], 1
	v_bfe_u32 v26, v0, 10, 10
	v_and_b32_e32 v24, 0x3ff, v0
	v_mov_b32_e32 v25, v27
	s_lshl_b64 s[2:3], s[2:3], 6
	s_lshl_b64 s[14:15], s[26:27], 6
	s_and_b64 vcc, exec, s[20:21]
	s_cbranch_vccnz .LBB270_3
; %bb.1:
	v_lshl_add_u32 v6, v26, 4, v24
	v_lshrrev_b32_e32 v0, 2, v6
	v_mov_b32_e32 v1, v27
	v_lshl_add_u64 v[2:3], v[0:1], 0, s[14:15]
	v_and_b32_e32 v1, 3, v24
	v_mad_u64_u32 v[2:3], s[26:27], s50, v1, v[2:3]
	v_mov_b32_e32 v4, v3
	s_add_u32 s20, s42, s24
	v_mad_u64_u32 v[4:5], s[26:27], s51, v1, v[4:5]
	v_lshlrev_b32_e32 v1, 4, v1
	s_addc_u32 s21, s43, s25
	v_lshl_or_b32 v0, v0, 6, v1
	s_load_dwordx2 s[20:21], s[20:21], 0x0
	v_add_u32_e32 v111, 0x1000, v0
	v_mov_b32_e32 v0, 0x1000
	s_add_u32 s24, s48, s24
	v_mov_b32_e32 v3, v4
	v_and_b32_e32 v4, 63, v6
	v_lshrrev_b32_e32 v7, 6, v6
	v_lshl_add_u32 v113, v26, 6, v0
	v_mov_b64_e32 v[0:1], s[2:3]
	s_addc_u32 s25, s49, s25
	v_lshlrev_b32_e32 v6, 4, v4
	v_mad_u64_u32 v[0:1], s[28:29], s44, v7, v[0:1]
	s_load_dwordx2 s[24:25], s[24:25], 0x0
	v_lshl_or_b32 v110, v7, 10, v6
	v_mov_b32_e32 v6, v1
	s_lshl_b64 s[26:27], s[46:47], 4
	v_mad_u64_u32 v[6:7], s[28:29], s45, v7, v[6:7]
	v_mov_b32_e32 v5, v27
	v_mov_b32_e32 v1, v6
	s_waitcnt lgkmcnt(0)
	s_add_u32 s20, s20, s26
	v_lshl_add_u64 v[0:1], v[0:1], 0, v[4:5]
	s_addc_u32 s21, s21, s27
	v_lshl_add_u64 v[28:29], v[0:1], 4, s[20:21]
	s_lshl_b64 s[20:21], s[44:45], 6
	s_lshl_b64 s[8:9], s[8:9], 4
	s_add_u32 s8, s24, s8
	s_addc_u32 s9, s25, s9
	v_lshlrev_b32_e32 v112, 4, v24
	v_lshl_add_u64 v[30:31], v[2:3], 4, s[8:9]
	s_lshl_b64 s[8:9], s[50:51], 6
	s_mov_b64 s[24:25], 0
	v_mov_b64_e32 v[10:11], 0
	v_mov_b64_e32 v[32:33], s[36:37]
	;; [unrolled: 1-line block ×33, first 2 shown]
.LBB270_2:                              ; =>This Inner Loop Header: Depth=1
	flat_load_dwordx4 v[0:3], v[28:29]
	s_add_u32 s24, s24, 4
	s_addc_u32 s25, s25, 0
	v_cmp_lt_i64_e32 vcc, s[24:25], v[32:33]
	v_lshl_add_u64 v[28:29], v[28:29], 0, s[20:21]
	s_and_b64 vcc, exec, vcc
	s_waitcnt vmcnt(0) lgkmcnt(0)
	ds_write2_b64 v110, v[0:1], v[2:3] offset1:1
	flat_load_dwordx4 v[0:3], v[30:31]
	v_lshl_add_u64 v[30:31], v[30:31], 0, s[8:9]
	s_waitcnt vmcnt(0) lgkmcnt(0)
	v_xor_b32_e32 v3, 0x80000000, v3
	ds_write_b128 v111, v[0:3]
	s_waitcnt lgkmcnt(0)
	s_barrier
	ds_read_b128 v[82:85], v113
	ds_read_b128 v[114:117], v113 offset:16
	ds_read_b128 v[4:7], v113 offset:32
	;; [unrolled: 1-line block ×3, first 2 shown]
	ds_read_b128 v[118:121], v112
	s_waitcnt lgkmcnt(0)
	v_mul_f64 v[86:87], v[84:85], v[120:121]
	v_mul_f64 v[88:89], v[82:83], v[120:121]
	v_fma_f64 v[86:87], v[82:83], v[118:119], -v[86:87]
	v_fmac_f64_e32 v[88:89], v[84:85], v[118:119]
	v_add_f64 v[122:123], v[54:55], v[86:87]
	v_add_f64 v[124:125], v[88:89], v[56:57]
	ds_read_b128 v[54:57], v112 offset:256
	s_waitcnt lgkmcnt(0)
	v_mul_f64 v[86:87], v[84:85], v[56:57]
	v_mul_f64 v[88:89], v[82:83], v[56:57]
	v_fma_f64 v[86:87], v[82:83], v[54:55], -v[86:87]
	v_fmac_f64_e32 v[88:89], v[84:85], v[54:55]
	v_add_f64 v[126:127], v[38:39], v[86:87]
	v_add_f64 v[128:129], v[88:89], v[40:41]
	ds_read_b128 v[38:41], v112 offset:512
	;; [unrolled: 8-line block ×3, first 2 shown]
	s_waitcnt lgkmcnt(0)
	v_mul_f64 v[86:87], v[84:85], v[36:37]
	v_fma_f64 v[86:87], v[82:83], v[34:35], -v[86:87]
	v_mul_f64 v[82:83], v[82:83], v[36:37]
	v_fmac_f64_e32 v[82:83], v[84:85], v[34:35]
	v_add_f64 v[134:135], v[20:21], v[86:87]
	v_add_f64 v[136:137], v[82:83], v[22:23]
	ds_read_b128 v[20:23], v113 offset:1024
	s_waitcnt lgkmcnt(0)
	v_mul_f64 v[82:83], v[22:23], v[120:121]
	v_fma_f64 v[82:83], v[20:21], v[118:119], -v[82:83]
	v_add_f64 v[74:75], v[74:75], v[82:83]
	v_mul_f64 v[82:83], v[22:23], v[56:57]
	v_mul_f64 v[84:85], v[20:21], v[120:121]
	v_fma_f64 v[82:83], v[20:21], v[54:55], -v[82:83]
	v_fmac_f64_e32 v[84:85], v[22:23], v[118:119]
	v_add_f64 v[98:99], v[66:67], v[82:83]
	v_mul_f64 v[66:67], v[22:23], v[40:41]
	v_add_f64 v[76:77], v[84:85], v[76:77]
	v_mul_f64 v[84:85], v[20:21], v[56:57]
	v_fma_f64 v[66:67], v[20:21], v[38:39], -v[66:67]
	v_fmac_f64_e32 v[84:85], v[22:23], v[54:55]
	v_add_f64 v[102:103], v[58:59], v[66:67]
	v_mul_f64 v[58:59], v[22:23], v[36:37]
	v_add_f64 v[100:101], v[84:85], v[68:69]
	v_mul_f64 v[68:69], v[20:21], v[40:41]
	v_fma_f64 v[58:59], v[20:21], v[34:35], -v[58:59]
	v_mul_f64 v[20:21], v[20:21], v[36:37]
	v_fmac_f64_e32 v[20:21], v[22:23], v[34:35]
	v_fmac_f64_e32 v[68:69], v[22:23], v[38:39]
	v_add_f64 v[108:109], v[20:21], v[50:51]
	ds_read_b128 v[20:23], v113 offset:2048
	v_add_f64 v[106:107], v[46:47], v[58:59]
	v_add_f64 v[104:105], v[68:69], v[62:63]
	s_waitcnt lgkmcnt(0)
	v_mul_f64 v[46:47], v[22:23], v[120:121]
	v_fma_f64 v[46:47], v[20:21], v[118:119], -v[46:47]
	v_add_f64 v[82:83], v[70:71], v[46:47]
	v_mul_f64 v[46:47], v[22:23], v[56:57]
	v_mul_f64 v[50:51], v[20:21], v[120:121]
	v_fma_f64 v[46:47], v[20:21], v[54:55], -v[46:47]
	v_fmac_f64_e32 v[50:51], v[22:23], v[118:119]
	v_add_f64 v[86:87], v[60:61], v[46:47]
	v_mul_f64 v[46:47], v[22:23], v[40:41]
	v_add_f64 v[84:85], v[50:51], v[72:73]
	v_mul_f64 v[50:51], v[20:21], v[56:57]
	v_fma_f64 v[46:47], v[20:21], v[38:39], -v[46:47]
	v_fmac_f64_e32 v[50:51], v[22:23], v[54:55]
	v_add_f64 v[90:91], v[48:49], v[46:47]
	v_mul_f64 v[46:47], v[22:23], v[36:37]
	v_add_f64 v[88:89], v[50:51], v[64:65]
	v_mul_f64 v[50:51], v[20:21], v[40:41]
	v_fma_f64 v[46:47], v[20:21], v[34:35], -v[46:47]
	v_mul_f64 v[20:21], v[20:21], v[36:37]
	v_fmac_f64_e32 v[20:21], v[22:23], v[34:35]
	v_fmac_f64_e32 v[50:51], v[22:23], v[38:39]
	v_add_f64 v[96:97], v[20:21], v[44:45]
	ds_read_b128 v[20:23], v113 offset:3072
	v_add_f64 v[94:95], v[42:43], v[46:47]
	v_add_f64 v[92:93], v[50:51], v[52:53]
	s_waitcnt lgkmcnt(0)
	v_mul_f64 v[42:43], v[22:23], v[120:121]
	v_mul_f64 v[44:45], v[20:21], v[120:121]
	v_fma_f64 v[42:43], v[20:21], v[118:119], -v[42:43]
	v_fmac_f64_e32 v[44:45], v[22:23], v[118:119]
	v_add_f64 v[62:63], v[78:79], v[42:43]
	v_add_f64 v[64:65], v[44:45], v[80:81]
	v_mul_f64 v[42:43], v[22:23], v[56:57]
	v_mul_f64 v[44:45], v[20:21], v[56:57]
	v_fma_f64 v[42:43], v[20:21], v[54:55], -v[42:43]
	v_fmac_f64_e32 v[44:45], v[22:23], v[54:55]
	v_add_f64 v[58:59], v[16:17], v[42:43]
	v_add_f64 v[60:61], v[44:45], v[18:19]
	v_mul_f64 v[16:17], v[22:23], v[40:41]
	v_mul_f64 v[18:19], v[20:21], v[40:41]
	v_fma_f64 v[16:17], v[20:21], v[38:39], -v[16:17]
	v_fmac_f64_e32 v[18:19], v[22:23], v[38:39]
	v_add_f64 v[54:55], v[12:13], v[16:17]
	v_add_f64 v[56:57], v[18:19], v[14:15]
	v_mul_f64 v[12:13], v[22:23], v[36:37]
	v_mul_f64 v[14:15], v[20:21], v[36:37]
	v_fma_f64 v[12:13], v[20:21], v[34:35], -v[12:13]
	v_fmac_f64_e32 v[14:15], v[22:23], v[34:35]
	ds_read_b128 v[20:23], v112 offset:1024
	ds_read_b128 v[16:19], v112 offset:1280
	v_add_f64 v[50:51], v[8:9], v[12:13]
	v_add_f64 v[52:53], v[14:15], v[10:11]
	ds_read_b128 v[12:15], v112 offset:1536
	ds_read_b128 v[78:81], v113 offset:1040
	s_waitcnt lgkmcnt(3)
	v_mul_f64 v[8:9], v[116:117], v[22:23]
	v_mul_f64 v[10:11], v[114:115], v[22:23]
	v_fma_f64 v[8:9], v[114:115], v[20:21], -v[8:9]
	v_fmac_f64_e32 v[10:11], v[116:117], v[20:21]
	v_add_f64 v[46:47], v[122:123], v[8:9]
	v_add_f64 v[48:49], v[10:11], v[124:125]
	s_waitcnt lgkmcnt(2)
	v_mul_f64 v[8:9], v[116:117], v[18:19]
	v_mul_f64 v[10:11], v[114:115], v[18:19]
	v_fma_f64 v[8:9], v[114:115], v[16:17], -v[8:9]
	v_fmac_f64_e32 v[10:11], v[116:117], v[16:17]
	v_add_f64 v[42:43], v[126:127], v[8:9]
	v_add_f64 v[44:45], v[10:11], v[128:129]
	;; [unrolled: 7-line block ×3, first 2 shown]
	ds_read_b128 v[8:11], v112 offset:1792
	s_waitcnt lgkmcnt(1)
	v_mul_f64 v[70:71], v[80:81], v[18:19]
	v_mul_f64 v[72:73], v[78:79], v[18:19]
	v_mul_f64 v[66:67], v[80:81], v[22:23]
	v_mul_f64 v[68:69], v[78:79], v[22:23]
	v_fma_f64 v[70:71], v[78:79], v[16:17], -v[70:71]
	v_fmac_f64_e32 v[72:73], v[80:81], v[16:17]
	v_fma_f64 v[66:67], v[78:79], v[20:21], -v[66:67]
	v_fmac_f64_e32 v[68:69], v[80:81], v[20:21]
	v_add_f64 v[70:71], v[98:99], v[70:71]
	v_add_f64 v[72:73], v[72:73], v[100:101]
	s_waitcnt lgkmcnt(0)
	v_mul_f64 v[98:99], v[80:81], v[10:11]
	v_mul_f64 v[100:101], v[78:79], v[10:11]
	v_add_f64 v[66:67], v[74:75], v[66:67]
	v_add_f64 v[68:69], v[68:69], v[76:77]
	v_mul_f64 v[74:75], v[80:81], v[14:15]
	v_mul_f64 v[76:77], v[78:79], v[14:15]
	v_fma_f64 v[98:99], v[78:79], v[8:9], -v[98:99]
	v_fmac_f64_e32 v[100:101], v[80:81], v[8:9]
	v_fma_f64 v[74:75], v[78:79], v[12:13], -v[74:75]
	v_fmac_f64_e32 v[76:77], v[80:81], v[12:13]
	v_add_f64 v[78:79], v[106:107], v[98:99]
	v_add_f64 v[80:81], v[100:101], v[108:109]
	ds_read_b128 v[98:101], v113 offset:2064
	v_add_f64 v[74:75], v[102:103], v[74:75]
	v_add_f64 v[76:77], v[76:77], v[104:105]
	v_mul_f64 v[34:35], v[116:117], v[10:11]
	v_mul_f64 v[36:37], v[114:115], v[10:11]
	s_waitcnt lgkmcnt(0)
	v_mul_f64 v[102:103], v[100:101], v[22:23]
	v_mul_f64 v[104:105], v[98:99], v[22:23]
	v_fma_f64 v[102:103], v[98:99], v[20:21], -v[102:103]
	v_fmac_f64_e32 v[104:105], v[100:101], v[20:21]
	v_add_f64 v[82:83], v[82:83], v[102:103]
	v_add_f64 v[84:85], v[104:105], v[84:85]
	v_mul_f64 v[102:103], v[100:101], v[18:19]
	v_mul_f64 v[104:105], v[98:99], v[18:19]
	v_fma_f64 v[102:103], v[98:99], v[16:17], -v[102:103]
	v_fmac_f64_e32 v[104:105], v[100:101], v[16:17]
	v_add_f64 v[86:87], v[86:87], v[102:103]
	v_add_f64 v[88:89], v[104:105], v[88:89]
	v_mul_f64 v[102:103], v[100:101], v[14:15]
	v_mul_f64 v[104:105], v[98:99], v[14:15]
	v_fma_f64 v[102:103], v[98:99], v[12:13], -v[102:103]
	v_fmac_f64_e32 v[104:105], v[100:101], v[12:13]
	v_add_f64 v[90:91], v[90:91], v[102:103]
	v_add_f64 v[92:93], v[104:105], v[92:93]
	v_mul_f64 v[102:103], v[100:101], v[10:11]
	v_mul_f64 v[104:105], v[98:99], v[10:11]
	v_fma_f64 v[102:103], v[98:99], v[8:9], -v[102:103]
	v_fmac_f64_e32 v[104:105], v[100:101], v[8:9]
	v_add_f64 v[98:99], v[94:95], v[102:103]
	v_add_f64 v[100:101], v[104:105], v[96:97]
	ds_read_b128 v[94:97], v113 offset:3088
	v_fma_f64 v[34:35], v[114:115], v[8:9], -v[34:35]
	v_fmac_f64_e32 v[36:37], v[116:117], v[8:9]
	v_add_f64 v[36:37], v[36:37], v[136:137]
	v_add_f64 v[34:35], v[134:135], v[34:35]
	s_waitcnt lgkmcnt(0)
	v_mul_f64 v[102:103], v[96:97], v[22:23]
	v_mul_f64 v[22:23], v[94:95], v[22:23]
	v_fma_f64 v[102:103], v[94:95], v[20:21], -v[102:103]
	v_fmac_f64_e32 v[22:23], v[96:97], v[20:21]
	v_mul_f64 v[20:21], v[96:97], v[18:19]
	v_mul_f64 v[18:19], v[94:95], v[18:19]
	v_fma_f64 v[20:21], v[94:95], v[16:17], -v[20:21]
	v_fmac_f64_e32 v[18:19], v[96:97], v[16:17]
	;; [unrolled: 4-line block ×3, first 2 shown]
	v_mul_f64 v[12:13], v[96:97], v[10:11]
	v_mul_f64 v[10:11], v[94:95], v[10:11]
	v_fmac_f64_e32 v[10:11], v[96:97], v[8:9]
	v_fma_f64 v[12:13], v[94:95], v[8:9], -v[12:13]
	v_add_f64 v[116:117], v[10:11], v[52:53]
	ds_read_b128 v[8:11], v112 offset:2048
	v_add_f64 v[56:57], v[14:15], v[56:57]
	v_add_f64 v[114:115], v[50:51], v[12:13]
	;; [unrolled: 1-line block ×4, first 2 shown]
	s_waitcnt lgkmcnt(0)
	v_mul_f64 v[12:13], v[6:7], v[10:11]
	v_mul_f64 v[14:15], v[4:5], v[10:11]
	v_fma_f64 v[12:13], v[4:5], v[8:9], -v[12:13]
	v_fmac_f64_e32 v[14:15], v[6:7], v[8:9]
	v_add_f64 v[118:119], v[46:47], v[12:13]
	v_add_f64 v[120:121], v[14:15], v[48:49]
	ds_read_b128 v[12:15], v112 offset:2304
	v_add_f64 v[104:105], v[22:23], v[64:65]
	v_add_f64 v[106:107], v[58:59], v[20:21]
	;; [unrolled: 1-line block ×3, first 2 shown]
	s_waitcnt lgkmcnt(0)
	v_mul_f64 v[16:17], v[6:7], v[14:15]
	v_mul_f64 v[18:19], v[4:5], v[14:15]
	v_fma_f64 v[16:17], v[4:5], v[12:13], -v[16:17]
	v_fmac_f64_e32 v[18:19], v[6:7], v[12:13]
	v_add_f64 v[122:123], v[42:43], v[16:17]
	v_add_f64 v[124:125], v[18:19], v[44:45]
	ds_read_b128 v[16:19], v112 offset:2560
	s_waitcnt lgkmcnt(0)
	v_mul_f64 v[20:21], v[6:7], v[18:19]
	v_mul_f64 v[22:23], v[4:5], v[18:19]
	v_fma_f64 v[20:21], v[4:5], v[16:17], -v[20:21]
	v_fmac_f64_e32 v[22:23], v[6:7], v[16:17]
	v_add_f64 v[126:127], v[38:39], v[20:21]
	v_add_f64 v[128:129], v[22:23], v[40:41]
	ds_read_b128 v[20:23], v112 offset:2816
	s_waitcnt lgkmcnt(0)
	v_mul_f64 v[38:39], v[6:7], v[22:23]
	v_fma_f64 v[38:39], v[4:5], v[20:21], -v[38:39]
	v_mul_f64 v[4:5], v[4:5], v[22:23]
	v_fmac_f64_e32 v[4:5], v[6:7], v[20:21]
	v_add_f64 v[132:133], v[4:5], v[36:37]
	ds_read_b128 v[4:7], v113 offset:1056
	v_add_f64 v[130:131], v[34:35], v[38:39]
	s_waitcnt lgkmcnt(0)
	v_mul_f64 v[34:35], v[6:7], v[10:11]
	v_fma_f64 v[34:35], v[4:5], v[8:9], -v[34:35]
	v_add_f64 v[46:47], v[66:67], v[34:35]
	v_mul_f64 v[34:35], v[6:7], v[14:15]
	v_mul_f64 v[36:37], v[4:5], v[10:11]
	v_fma_f64 v[34:35], v[4:5], v[12:13], -v[34:35]
	v_fmac_f64_e32 v[36:37], v[6:7], v[8:9]
	v_add_f64 v[58:59], v[70:71], v[34:35]
	v_mul_f64 v[34:35], v[6:7], v[18:19]
	v_add_f64 v[50:51], v[36:37], v[68:69]
	v_mul_f64 v[36:37], v[4:5], v[14:15]
	v_fma_f64 v[34:35], v[4:5], v[16:17], -v[34:35]
	v_fmac_f64_e32 v[36:37], v[6:7], v[12:13]
	v_add_f64 v[62:63], v[74:75], v[34:35]
	v_mul_f64 v[34:35], v[6:7], v[22:23]
	v_add_f64 v[60:61], v[36:37], v[72:73]
	v_mul_f64 v[36:37], v[4:5], v[18:19]
	v_fma_f64 v[34:35], v[4:5], v[20:21], -v[34:35]
	v_mul_f64 v[4:5], v[4:5], v[22:23]
	v_fmac_f64_e32 v[4:5], v[6:7], v[20:21]
	v_fmac_f64_e32 v[36:37], v[6:7], v[16:17]
	v_add_f64 v[72:73], v[4:5], v[80:81]
	ds_read_b128 v[4:7], v113 offset:2080
	v_add_f64 v[70:71], v[78:79], v[34:35]
	v_add_f64 v[64:65], v[36:37], v[76:77]
	s_waitcnt lgkmcnt(0)
	v_mul_f64 v[34:35], v[6:7], v[10:11]
	v_fma_f64 v[34:35], v[4:5], v[8:9], -v[34:35]
	v_add_f64 v[42:43], v[82:83], v[34:35]
	v_mul_f64 v[34:35], v[6:7], v[14:15]
	v_mul_f64 v[36:37], v[4:5], v[10:11]
	v_fma_f64 v[34:35], v[4:5], v[12:13], -v[34:35]
	v_fmac_f64_e32 v[36:37], v[6:7], v[8:9]
	v_add_f64 v[48:49], v[86:87], v[34:35]
	v_mul_f64 v[34:35], v[6:7], v[18:19]
	v_add_f64 v[44:45], v[36:37], v[84:85]
	v_mul_f64 v[36:37], v[4:5], v[14:15]
	v_fma_f64 v[34:35], v[4:5], v[16:17], -v[34:35]
	v_fmac_f64_e32 v[36:37], v[6:7], v[12:13]
	v_add_f64 v[94:95], v[90:91], v[34:35]
	v_mul_f64 v[34:35], v[6:7], v[22:23]
	v_add_f64 v[52:53], v[36:37], v[88:89]
	v_mul_f64 v[36:37], v[4:5], v[18:19]
	v_fma_f64 v[34:35], v[4:5], v[20:21], -v[34:35]
	v_mul_f64 v[4:5], v[4:5], v[22:23]
	v_fmac_f64_e32 v[4:5], v[6:7], v[20:21]
	v_fmac_f64_e32 v[36:37], v[6:7], v[16:17]
	v_add_f64 v[100:101], v[4:5], v[100:101]
	ds_read_b128 v[4:7], v113 offset:3104
	v_add_f64 v[98:99], v[98:99], v[34:35]
	v_add_f64 v[96:97], v[36:37], v[92:93]
	s_waitcnt lgkmcnt(0)
	v_mul_f64 v[34:35], v[6:7], v[10:11]
	v_mul_f64 v[10:11], v[4:5], v[10:11]
	v_fmac_f64_e32 v[10:11], v[6:7], v[8:9]
	v_fma_f64 v[34:35], v[4:5], v[8:9], -v[34:35]
	v_add_f64 v[80:81], v[10:11], v[104:105]
	v_mul_f64 v[8:9], v[6:7], v[14:15]
	v_mul_f64 v[10:11], v[4:5], v[14:15]
	v_fma_f64 v[8:9], v[4:5], v[12:13], -v[8:9]
	v_fmac_f64_e32 v[10:11], v[6:7], v[12:13]
	v_add_f64 v[90:91], v[106:107], v[8:9]
	v_add_f64 v[92:93], v[10:11], v[108:109]
	v_mul_f64 v[8:9], v[6:7], v[18:19]
	v_mul_f64 v[10:11], v[4:5], v[18:19]
	v_fma_f64 v[8:9], v[4:5], v[16:17], -v[8:9]
	v_fmac_f64_e32 v[10:11], v[6:7], v[16:17]
	ds_read_b128 v[16:19], v112 offset:3072
	ds_read_b128 v[12:15], v112 offset:3328
	v_add_f64 v[86:87], v[54:55], v[8:9]
	v_mul_f64 v[8:9], v[6:7], v[22:23]
	v_fma_f64 v[8:9], v[4:5], v[20:21], -v[8:9]
	v_mul_f64 v[4:5], v[4:5], v[22:23]
	v_add_f64 v[88:89], v[10:11], v[56:57]
	v_fmac_f64_e32 v[4:5], v[6:7], v[20:21]
	v_add_f64 v[82:83], v[114:115], v[8:9]
	ds_read_b128 v[8:11], v112 offset:3584
	v_add_f64 v[84:85], v[4:5], v[116:117]
	s_waitcnt lgkmcnt(2)
	v_mul_f64 v[4:5], v[2:3], v[18:19]
	v_mul_f64 v[6:7], v[0:1], v[18:19]
	v_fma_f64 v[4:5], v[0:1], v[16:17], -v[4:5]
	v_fmac_f64_e32 v[6:7], v[2:3], v[16:17]
	v_add_f64 v[54:55], v[118:119], v[4:5]
	v_add_f64 v[56:57], v[6:7], v[120:121]
	s_waitcnt lgkmcnt(1)
	v_mul_f64 v[4:5], v[2:3], v[14:15]
	v_mul_f64 v[6:7], v[0:1], v[14:15]
	v_fma_f64 v[4:5], v[0:1], v[12:13], -v[4:5]
	v_fmac_f64_e32 v[6:7], v[2:3], v[12:13]
	v_add_f64 v[38:39], v[122:123], v[4:5]
	;; [unrolled: 7-line block ×3, first 2 shown]
	v_add_f64 v[34:35], v[126:127], v[4:5]
	v_add_f64 v[36:37], v[6:7], v[128:129]
	ds_read_b128 v[4:7], v112 offset:3840
	s_waitcnt lgkmcnt(0)
	v_mul_f64 v[20:21], v[2:3], v[6:7]
	v_fma_f64 v[20:21], v[0:1], v[4:5], -v[20:21]
	v_mul_f64 v[0:1], v[0:1], v[6:7]
	v_fmac_f64_e32 v[0:1], v[2:3], v[4:5]
	v_add_f64 v[22:23], v[0:1], v[132:133]
	ds_read_b128 v[0:3], v113 offset:1072
	v_add_f64 v[20:21], v[130:131], v[20:21]
	s_waitcnt lgkmcnt(0)
	v_mul_f64 v[66:67], v[2:3], v[18:19]
	v_fma_f64 v[66:67], v[0:1], v[16:17], -v[66:67]
	v_add_f64 v[74:75], v[46:47], v[66:67]
	v_mul_f64 v[46:47], v[2:3], v[14:15]
	v_mul_f64 v[68:69], v[0:1], v[18:19]
	v_fma_f64 v[46:47], v[0:1], v[12:13], -v[46:47]
	v_fmac_f64_e32 v[68:69], v[2:3], v[16:17]
	v_add_f64 v[66:67], v[58:59], v[46:47]
	v_mul_f64 v[46:47], v[2:3], v[10:11]
	v_add_f64 v[76:77], v[68:69], v[50:51]
	v_mul_f64 v[50:51], v[0:1], v[14:15]
	v_fma_f64 v[46:47], v[0:1], v[8:9], -v[46:47]
	v_fmac_f64_e32 v[50:51], v[2:3], v[12:13]
	v_add_f64 v[58:59], v[62:63], v[46:47]
	v_mul_f64 v[46:47], v[2:3], v[6:7]
	v_add_f64 v[68:69], v[50:51], v[60:61]
	v_mul_f64 v[50:51], v[0:1], v[10:11]
	v_fma_f64 v[46:47], v[0:1], v[4:5], -v[46:47]
	v_mul_f64 v[0:1], v[0:1], v[6:7]
	v_fmac_f64_e32 v[50:51], v[2:3], v[8:9]
	v_fmac_f64_e32 v[0:1], v[2:3], v[4:5]
	v_add_f64 v[62:63], v[50:51], v[64:65]
	v_add_f64 v[50:51], v[0:1], v[72:73]
	ds_read_b128 v[0:3], v113 offset:2096
	v_add_f64 v[46:47], v[70:71], v[46:47]
	s_waitcnt lgkmcnt(0)
	v_mul_f64 v[60:61], v[2:3], v[18:19]
	v_fma_f64 v[60:61], v[0:1], v[16:17], -v[60:61]
	v_add_f64 v[70:71], v[42:43], v[60:61]
	v_mul_f64 v[42:43], v[2:3], v[14:15]
	v_mul_f64 v[64:65], v[0:1], v[18:19]
	v_fma_f64 v[42:43], v[0:1], v[12:13], -v[42:43]
	v_fmac_f64_e32 v[64:65], v[2:3], v[16:17]
	v_add_f64 v[60:61], v[48:49], v[42:43]
	v_mul_f64 v[42:43], v[2:3], v[10:11]
	v_add_f64 v[72:73], v[64:65], v[44:45]
	v_mul_f64 v[44:45], v[0:1], v[14:15]
	v_fma_f64 v[42:43], v[0:1], v[8:9], -v[42:43]
	v_fmac_f64_e32 v[44:45], v[2:3], v[12:13]
	v_add_f64 v[48:49], v[94:95], v[42:43]
	v_mul_f64 v[42:43], v[2:3], v[6:7]
	v_add_f64 v[64:65], v[44:45], v[52:53]
	v_mul_f64 v[44:45], v[0:1], v[10:11]
	v_fma_f64 v[42:43], v[0:1], v[4:5], -v[42:43]
	v_mul_f64 v[0:1], v[0:1], v[6:7]
	v_fmac_f64_e32 v[44:45], v[2:3], v[8:9]
	v_fmac_f64_e32 v[0:1], v[2:3], v[4:5]
	v_add_f64 v[52:53], v[44:45], v[96:97]
	v_add_f64 v[44:45], v[0:1], v[100:101]
	ds_read_b128 v[0:3], v113 offset:3120
	v_add_f64 v[42:43], v[98:99], v[42:43]
	s_waitcnt lgkmcnt(0)
	s_barrier
	v_mul_f64 v[94:95], v[2:3], v[18:19]
	v_mul_f64 v[18:19], v[0:1], v[18:19]
	v_fma_f64 v[94:95], v[0:1], v[16:17], -v[94:95]
	v_fmac_f64_e32 v[18:19], v[2:3], v[16:17]
	v_mul_f64 v[16:17], v[2:3], v[14:15]
	v_mul_f64 v[14:15], v[0:1], v[14:15]
	v_fma_f64 v[16:17], v[0:1], v[12:13], -v[16:17]
	v_fmac_f64_e32 v[14:15], v[2:3], v[12:13]
	;; [unrolled: 4-line block ×3, first 2 shown]
	v_mul_f64 v[8:9], v[2:3], v[6:7]
	v_fma_f64 v[8:9], v[0:1], v[4:5], -v[8:9]
	v_mul_f64 v[0:1], v[0:1], v[6:7]
	v_fmac_f64_e32 v[0:1], v[2:3], v[4:5]
	v_add_f64 v[78:79], v[78:79], v[94:95]
	v_add_f64 v[80:81], v[18:19], v[80:81]
	;; [unrolled: 1-line block ×8, first 2 shown]
	s_cbranch_vccnz .LBB270_2
	s_branch .LBB270_4
.LBB270_3:
	v_mov_b64_e32 v[54:55], 0
	v_mov_b64_e32 v[56:57], 0
	;; [unrolled: 1-line block ×32, first 2 shown]
.LBB270_4:
	s_load_dwordx2 s[0:1], s[0:1], 0x90
	v_lshl_add_u64 v[2:3], s[14:15], 0, v[26:27]
	v_cmp_neq_f64_e64 s[14:15], s[10:11], 0
	v_cmp_neq_f64_e64 s[20:21], s[12:13], 0
	s_mov_b64 s[8:9], 0
	s_waitcnt lgkmcnt(0)
	s_lshl_b64 s[0:1], s[0:1], 4
	s_add_u32 s0, s6, s0
	s_addc_u32 s1, s7, s1
	s_or_b64 s[6:7], s[14:15], s[20:21]
	v_lshl_add_u64 v[0:1], s[2:3], 0, v[24:25]
	s_and_b64 vcc, exec, s[6:7]
	s_cbranch_vccnz .LBB270_6
; %bb.5:
	v_mul_lo_u32 v6, v3, s22
	v_mul_lo_u32 v7, v2, s23
	v_mad_u64_u32 v[4:5], s[2:3], v2, s22, 0
	v_add3_u32 v5, v5, v7, v6
	v_lshl_add_u64 v[24:25], v[4:5], 4, s[0:1]
	v_mul_f64 v[4:5], s[40:41], v[56:57]
	v_mul_f64 v[6:7], s[38:39], v[56:57]
	v_lshlrev_b64 v[26:27], 4, v[0:1]
	v_fma_f64 v[4:5], s[38:39], v[54:55], -v[4:5]
	v_fmac_f64_e32 v[6:7], s[40:41], v[54:55]
	v_lshl_add_u64 v[28:29], v[24:25], 0, v[26:27]
	flat_store_dwordx4 v[28:29], v[4:7]
	s_lshl_b64 s[2:3], s[22:23], 8
	v_lshl_add_u64 v[24:25], v[24:25], 0, s[2:3]
	v_mul_f64 v[4:5], s[40:41], v[40:41]
	v_mul_f64 v[6:7], s[38:39], v[40:41]
	v_fma_f64 v[4:5], s[38:39], v[38:39], -v[4:5]
	v_fmac_f64_e32 v[6:7], s[40:41], v[38:39]
	flat_store_dwordx4 v[28:29], v[4:7] offset:256
	s_nop 1
	v_mul_f64 v[4:5], s[40:41], v[36:37]
	v_mul_f64 v[6:7], s[38:39], v[36:37]
	v_fma_f64 v[4:5], s[38:39], v[34:35], -v[4:5]
	v_fmac_f64_e32 v[6:7], s[40:41], v[34:35]
	flat_store_dwordx4 v[28:29], v[4:7] offset:512
	s_nop 1
	v_mul_f64 v[4:5], s[40:41], v[22:23]
	v_mul_f64 v[6:7], s[38:39], v[22:23]
	v_fma_f64 v[4:5], s[38:39], v[20:21], -v[4:5]
	v_fmac_f64_e32 v[6:7], s[40:41], v[20:21]
	flat_store_dwordx4 v[28:29], v[4:7] offset:768
	v_lshl_add_u64 v[28:29], v[24:25], 0, v[26:27]
	v_lshl_add_u64 v[24:25], v[24:25], 0, s[2:3]
	v_mul_f64 v[4:5], s[40:41], v[76:77]
	v_mul_f64 v[6:7], s[38:39], v[76:77]
	v_fma_f64 v[4:5], s[38:39], v[74:75], -v[4:5]
	v_fmac_f64_e32 v[6:7], s[40:41], v[74:75]
	flat_store_dwordx4 v[28:29], v[4:7]
	s_nop 1
	v_mul_f64 v[4:5], s[40:41], v[68:69]
	v_mul_f64 v[6:7], s[38:39], v[68:69]
	v_fma_f64 v[4:5], s[38:39], v[66:67], -v[4:5]
	v_fmac_f64_e32 v[6:7], s[40:41], v[66:67]
	flat_store_dwordx4 v[28:29], v[4:7] offset:256
	s_nop 1
	v_mul_f64 v[4:5], s[40:41], v[62:63]
	v_mul_f64 v[6:7], s[38:39], v[62:63]
	v_fma_f64 v[4:5], s[38:39], v[58:59], -v[4:5]
	v_fmac_f64_e32 v[6:7], s[40:41], v[58:59]
	flat_store_dwordx4 v[28:29], v[4:7] offset:512
	;; [unrolled: 6-line block ×3, first 2 shown]
	v_lshl_add_u64 v[28:29], v[24:25], 0, v[26:27]
	v_lshl_add_u64 v[24:25], v[24:25], 0, s[2:3]
	v_mul_f64 v[4:5], s[40:41], v[72:73]
	v_mul_f64 v[6:7], s[38:39], v[72:73]
	v_fma_f64 v[4:5], s[38:39], v[70:71], -v[4:5]
	v_fmac_f64_e32 v[6:7], s[40:41], v[70:71]
	flat_store_dwordx4 v[28:29], v[4:7]
	v_lshl_add_u64 v[24:25], v[24:25], 0, v[26:27]
	s_mov_b64 s[2:3], 0x300
	v_mul_f64 v[4:5], s[40:41], v[64:65]
	v_mul_f64 v[6:7], s[38:39], v[64:65]
	v_fma_f64 v[4:5], s[38:39], v[60:61], -v[4:5]
	v_fmac_f64_e32 v[6:7], s[40:41], v[60:61]
	flat_store_dwordx4 v[28:29], v[4:7] offset:256
	s_nop 1
	v_mul_f64 v[4:5], s[40:41], v[52:53]
	v_mul_f64 v[6:7], s[38:39], v[52:53]
	v_fma_f64 v[4:5], s[38:39], v[48:49], -v[4:5]
	v_fmac_f64_e32 v[6:7], s[40:41], v[48:49]
	flat_store_dwordx4 v[28:29], v[4:7] offset:512
	s_nop 1
	;; [unrolled: 6-line block ×3, first 2 shown]
	v_mul_f64 v[4:5], s[40:41], v[80:81]
	v_mul_f64 v[6:7], s[38:39], v[80:81]
	v_fma_f64 v[4:5], s[38:39], v[78:79], -v[4:5]
	v_fmac_f64_e32 v[6:7], s[40:41], v[78:79]
	flat_store_dwordx4 v[24:25], v[4:7]
	s_nop 1
	v_mul_f64 v[4:5], s[40:41], v[18:19]
	v_mul_f64 v[6:7], s[38:39], v[18:19]
	v_fma_f64 v[4:5], s[38:39], v[16:17], -v[4:5]
	v_fmac_f64_e32 v[6:7], s[40:41], v[16:17]
	flat_store_dwordx4 v[24:25], v[4:7] offset:256
	s_nop 1
	v_mul_f64 v[4:5], s[40:41], v[14:15]
	v_mul_f64 v[6:7], s[38:39], v[14:15]
	v_fma_f64 v[4:5], s[38:39], v[12:13], -v[4:5]
	v_fmac_f64_e32 v[6:7], s[40:41], v[12:13]
	flat_store_dwordx4 v[24:25], v[4:7] offset:512
	s_nop 1
	v_mul_f64 v[4:5], s[40:41], v[10:11]
	v_fma_f64 v[26:27], s[38:39], v[8:9], -v[4:5]
	v_mul_f64 v[4:5], s[38:39], v[10:11]
	v_fmac_f64_e32 v[4:5], s[40:41], v[8:9]
	v_lshl_add_u64 v[6:7], v[24:25], 0, s[2:3]
	flat_store_dwordx2 v[24:25], v[26:27] offset:768
	s_andn2_b64 vcc, exec, s[8:9]
	s_cbranch_vccz .LBB270_7
	s_branch .LBB270_8
.LBB270_6:
                                        ; implicit-def: $vgpr4_vgpr5
                                        ; implicit-def: $vgpr6_vgpr7
.LBB270_7:
	s_lshl_b64 s[2:3], s[18:19], 4
	s_add_u32 s2, s4, s2
	s_addc_u32 s3, s5, s3
	v_mul_lo_u32 v6, v3, s16
	v_mul_lo_u32 v7, v2, s17
	v_mad_u64_u32 v[4:5], s[4:5], v2, s16, 0
	v_add3_u32 v5, v5, v7, v6
	v_lshl_add_u64 v[24:25], v[4:5], 4, s[2:3]
	v_lshlrev_b64 v[0:1], 4, v[0:1]
	v_lshl_add_u64 v[26:27], v[24:25], 0, v[0:1]
	flat_load_dwordx4 v[4:7], v[26:27]
	v_mul_lo_u32 v32, v3, s22
	v_mul_lo_u32 v33, v2, s23
	v_mad_u64_u32 v[2:3], s[2:3], v2, s22, 0
	v_add3_u32 v3, v3, v33, v32
	v_mul_f64 v[28:29], s[40:41], v[56:57]
	v_mul_f64 v[30:31], s[38:39], v[56:57]
	v_lshl_add_u64 v[32:33], v[2:3], 4, s[0:1]
	v_fma_f64 v[28:29], s[38:39], v[54:55], -v[28:29]
	v_fmac_f64_e32 v[30:31], s[40:41], v[54:55]
	v_lshl_add_u64 v[54:55], v[32:33], 0, v[0:1]
	s_lshl_b64 s[0:1], s[16:17], 8
	s_lshl_b64 s[2:3], s[22:23], 8
	s_waitcnt vmcnt(0) lgkmcnt(0)
	v_mul_f64 v[2:3], s[12:13], v[6:7]
	v_mul_f64 v[6:7], s[10:11], v[6:7]
	v_fma_f64 v[2:3], s[10:11], v[4:5], -v[2:3]
	v_fmac_f64_e32 v[6:7], s[12:13], v[4:5]
	v_add_f64 v[2:3], v[28:29], v[2:3]
	v_add_f64 v[4:5], v[30:31], v[6:7]
	flat_store_dwordx4 v[54:55], v[2:5]
	flat_load_dwordx4 v[2:5], v[26:27] offset:256
	v_mul_f64 v[6:7], s[40:41], v[40:41]
	v_mul_f64 v[28:29], s[38:39], v[40:41]
	v_fma_f64 v[6:7], s[38:39], v[38:39], -v[6:7]
	v_fmac_f64_e32 v[28:29], s[40:41], v[38:39]
	s_waitcnt vmcnt(0) lgkmcnt(0)
	v_mul_f64 v[30:31], s[12:13], v[4:5]
	v_mul_f64 v[4:5], s[10:11], v[4:5]
	v_fma_f64 v[30:31], s[10:11], v[2:3], -v[30:31]
	v_fmac_f64_e32 v[4:5], s[12:13], v[2:3]
	v_add_f64 v[2:3], v[6:7], v[30:31]
	v_add_f64 v[4:5], v[28:29], v[4:5]
	flat_store_dwordx4 v[54:55], v[2:5] offset:256
	flat_load_dwordx4 v[2:5], v[26:27] offset:512
	v_mul_f64 v[6:7], s[40:41], v[36:37]
	v_mul_f64 v[28:29], s[38:39], v[36:37]
	v_fma_f64 v[6:7], s[38:39], v[34:35], -v[6:7]
	v_fmac_f64_e32 v[28:29], s[40:41], v[34:35]
	s_waitcnt vmcnt(0) lgkmcnt(0)
	v_mul_f64 v[30:31], s[12:13], v[4:5]
	v_mul_f64 v[4:5], s[10:11], v[4:5]
	v_fma_f64 v[30:31], s[10:11], v[2:3], -v[30:31]
	v_fmac_f64_e32 v[4:5], s[12:13], v[2:3]
	v_add_f64 v[2:3], v[6:7], v[30:31]
	v_add_f64 v[4:5], v[28:29], v[4:5]
	flat_store_dwordx4 v[54:55], v[2:5] offset:512
	flat_load_dwordx4 v[2:5], v[26:27] offset:768
	v_mul_f64 v[6:7], s[40:41], v[22:23]
	v_mul_f64 v[22:23], s[38:39], v[22:23]
	v_fma_f64 v[6:7], s[38:39], v[20:21], -v[6:7]
	v_fmac_f64_e32 v[22:23], s[40:41], v[20:21]
	v_lshl_add_u64 v[20:21], v[24:25], 0, s[0:1]
	v_lshl_add_u64 v[24:25], v[20:21], 0, v[0:1]
	;; [unrolled: 1-line block ×3, first 2 shown]
	s_waitcnt vmcnt(0) lgkmcnt(0)
	v_mul_f64 v[26:27], s[12:13], v[4:5]
	v_mul_f64 v[4:5], s[10:11], v[4:5]
	v_fma_f64 v[26:27], s[10:11], v[2:3], -v[26:27]
	v_fmac_f64_e32 v[4:5], s[12:13], v[2:3]
	v_add_f64 v[2:3], v[6:7], v[26:27]
	v_add_f64 v[4:5], v[22:23], v[4:5]
	flat_store_dwordx4 v[54:55], v[2:5] offset:768
	flat_load_dwordx4 v[2:5], v[24:25]
	v_mul_f64 v[6:7], s[40:41], v[76:77]
	v_mul_f64 v[22:23], s[38:39], v[76:77]
	v_fma_f64 v[6:7], s[38:39], v[74:75], -v[6:7]
	v_fmac_f64_e32 v[22:23], s[40:41], v[74:75]
	v_lshl_add_u64 v[26:27], v[32:33], 0, s[2:3]
	v_lshl_add_u64 v[28:29], v[26:27], 0, v[0:1]
	;; [unrolled: 1-line block ×3, first 2 shown]
	s_waitcnt vmcnt(0) lgkmcnt(0)
	v_mul_f64 v[30:31], s[12:13], v[4:5]
	v_mul_f64 v[4:5], s[10:11], v[4:5]
	v_fma_f64 v[30:31], s[10:11], v[2:3], -v[30:31]
	v_fmac_f64_e32 v[4:5], s[12:13], v[2:3]
	v_add_f64 v[2:3], v[6:7], v[30:31]
	v_add_f64 v[4:5], v[22:23], v[4:5]
	flat_store_dwordx4 v[28:29], v[2:5]
	flat_load_dwordx4 v[2:5], v[24:25] offset:256
	v_mul_f64 v[6:7], s[40:41], v[68:69]
	v_mul_f64 v[22:23], s[38:39], v[68:69]
	v_fma_f64 v[6:7], s[38:39], v[66:67], -v[6:7]
	v_fmac_f64_e32 v[22:23], s[40:41], v[66:67]
	s_waitcnt vmcnt(0) lgkmcnt(0)
	v_mul_f64 v[30:31], s[12:13], v[4:5]
	v_mul_f64 v[4:5], s[10:11], v[4:5]
	v_fma_f64 v[30:31], s[10:11], v[2:3], -v[30:31]
	v_fmac_f64_e32 v[4:5], s[12:13], v[2:3]
	v_add_f64 v[2:3], v[6:7], v[30:31]
	v_add_f64 v[4:5], v[22:23], v[4:5]
	flat_store_dwordx4 v[28:29], v[2:5] offset:256
	flat_load_dwordx4 v[2:5], v[24:25] offset:512
	v_mul_f64 v[6:7], s[40:41], v[62:63]
	v_mul_f64 v[22:23], s[38:39], v[62:63]
	v_fma_f64 v[6:7], s[38:39], v[58:59], -v[6:7]
	v_fmac_f64_e32 v[22:23], s[40:41], v[58:59]
	s_waitcnt vmcnt(0) lgkmcnt(0)
	v_mul_f64 v[30:31], s[12:13], v[4:5]
	v_mul_f64 v[4:5], s[10:11], v[4:5]
	v_fma_f64 v[30:31], s[10:11], v[2:3], -v[30:31]
	v_fmac_f64_e32 v[4:5], s[12:13], v[2:3]
	v_add_f64 v[2:3], v[6:7], v[30:31]
	v_add_f64 v[4:5], v[22:23], v[4:5]
	flat_store_dwordx4 v[28:29], v[2:5] offset:512
	flat_load_dwordx4 v[2:5], v[24:25] offset:768
	v_mul_f64 v[6:7], s[40:41], v[50:51]
	v_mul_f64 v[22:23], s[38:39], v[50:51]
	v_fma_f64 v[6:7], s[38:39], v[46:47], -v[6:7]
	v_fmac_f64_e32 v[22:23], s[40:41], v[46:47]
	v_lshl_add_u64 v[24:25], v[20:21], 0, v[0:1]
	v_lshl_add_u64 v[20:21], v[20:21], 0, s[0:1]
	;; [unrolled: 1-line block ×3, first 2 shown]
	s_mov_b64 s[0:1], 0x300
	s_waitcnt vmcnt(0) lgkmcnt(0)
	v_mul_f64 v[30:31], s[12:13], v[4:5]
	v_mul_f64 v[4:5], s[10:11], v[4:5]
	v_fma_f64 v[30:31], s[10:11], v[2:3], -v[30:31]
	v_fmac_f64_e32 v[4:5], s[12:13], v[2:3]
	v_add_f64 v[2:3], v[6:7], v[30:31]
	v_add_f64 v[4:5], v[22:23], v[4:5]
	flat_store_dwordx4 v[28:29], v[2:5] offset:768
	flat_load_dwordx4 v[2:5], v[24:25]
	v_mul_f64 v[6:7], s[40:41], v[72:73]
	v_mul_f64 v[22:23], s[38:39], v[72:73]
	v_fma_f64 v[6:7], s[38:39], v[70:71], -v[6:7]
	v_fmac_f64_e32 v[22:23], s[40:41], v[70:71]
	v_lshl_add_u64 v[28:29], v[26:27], 0, v[0:1]
	s_waitcnt vmcnt(0) lgkmcnt(0)
	v_mul_f64 v[30:31], s[12:13], v[4:5]
	v_mul_f64 v[4:5], s[10:11], v[4:5]
	v_fma_f64 v[30:31], s[10:11], v[2:3], -v[30:31]
	v_fmac_f64_e32 v[4:5], s[12:13], v[2:3]
	v_add_f64 v[2:3], v[6:7], v[30:31]
	v_add_f64 v[4:5], v[22:23], v[4:5]
	flat_store_dwordx4 v[28:29], v[2:5]
	flat_load_dwordx4 v[2:5], v[24:25] offset:256
	v_mul_f64 v[6:7], s[40:41], v[64:65]
	v_mul_f64 v[22:23], s[38:39], v[64:65]
	v_fma_f64 v[6:7], s[38:39], v[60:61], -v[6:7]
	v_fmac_f64_e32 v[22:23], s[40:41], v[60:61]
	s_waitcnt vmcnt(0) lgkmcnt(0)
	v_mul_f64 v[30:31], s[12:13], v[4:5]
	v_mul_f64 v[4:5], s[10:11], v[4:5]
	v_fma_f64 v[30:31], s[10:11], v[2:3], -v[30:31]
	v_fmac_f64_e32 v[4:5], s[12:13], v[2:3]
	v_add_f64 v[2:3], v[6:7], v[30:31]
	v_add_f64 v[4:5], v[22:23], v[4:5]
	flat_store_dwordx4 v[28:29], v[2:5] offset:256
	flat_load_dwordx4 v[2:5], v[24:25] offset:512
	v_mul_f64 v[6:7], s[40:41], v[52:53]
	v_mul_f64 v[22:23], s[38:39], v[52:53]
	v_fma_f64 v[6:7], s[38:39], v[48:49], -v[6:7]
	v_fmac_f64_e32 v[22:23], s[40:41], v[48:49]
	s_waitcnt vmcnt(0) lgkmcnt(0)
	v_mul_f64 v[30:31], s[12:13], v[4:5]
	v_mul_f64 v[4:5], s[10:11], v[4:5]
	v_fma_f64 v[30:31], s[10:11], v[2:3], -v[30:31]
	v_fmac_f64_e32 v[4:5], s[12:13], v[2:3]
	v_add_f64 v[2:3], v[6:7], v[30:31]
	v_add_f64 v[4:5], v[22:23], v[4:5]
	flat_store_dwordx4 v[28:29], v[2:5] offset:512
	;; [unrolled: 13-line block ×3, first 2 shown]
	flat_load_dwordx4 v[2:5], v[20:21]
	v_lshl_add_u64 v[24:25], v[26:27], 0, s[2:3]
	v_mul_f64 v[6:7], s[40:41], v[80:81]
	v_mul_f64 v[22:23], s[38:39], v[80:81]
	v_lshl_add_u64 v[24:25], v[24:25], 0, v[0:1]
	v_fma_f64 v[6:7], s[38:39], v[78:79], -v[6:7]
	v_fmac_f64_e32 v[22:23], s[40:41], v[78:79]
	s_waitcnt vmcnt(0) lgkmcnt(0)
	v_mul_f64 v[0:1], s[12:13], v[4:5]
	v_mul_f64 v[4:5], s[10:11], v[4:5]
	v_fma_f64 v[0:1], s[10:11], v[2:3], -v[0:1]
	v_fmac_f64_e32 v[4:5], s[12:13], v[2:3]
	v_add_f64 v[0:1], v[6:7], v[0:1]
	v_add_f64 v[2:3], v[22:23], v[4:5]
	flat_store_dwordx4 v[24:25], v[0:3]
	flat_load_dwordx4 v[0:3], v[20:21] offset:256
	v_mul_f64 v[4:5], s[40:41], v[18:19]
	v_mul_f64 v[6:7], s[38:39], v[18:19]
	v_fma_f64 v[4:5], s[38:39], v[16:17], -v[4:5]
	v_fmac_f64_e32 v[6:7], s[40:41], v[16:17]
	s_waitcnt vmcnt(0) lgkmcnt(0)
	v_mul_f64 v[16:17], s[12:13], v[2:3]
	v_mul_f64 v[2:3], s[10:11], v[2:3]
	v_fma_f64 v[16:17], s[10:11], v[0:1], -v[16:17]
	v_fmac_f64_e32 v[2:3], s[12:13], v[0:1]
	v_add_f64 v[0:1], v[4:5], v[16:17]
	v_add_f64 v[2:3], v[6:7], v[2:3]
	flat_store_dwordx4 v[24:25], v[0:3] offset:256
	flat_load_dwordx4 v[0:3], v[20:21] offset:512
	v_mul_f64 v[4:5], s[40:41], v[14:15]
	v_mul_f64 v[6:7], s[38:39], v[14:15]
	v_fma_f64 v[4:5], s[38:39], v[12:13], -v[4:5]
	v_fmac_f64_e32 v[6:7], s[40:41], v[12:13]
	s_waitcnt vmcnt(0) lgkmcnt(0)
	v_mul_f64 v[12:13], s[12:13], v[2:3]
	v_mul_f64 v[2:3], s[10:11], v[2:3]
	v_fma_f64 v[12:13], s[10:11], v[0:1], -v[12:13]
	v_fmac_f64_e32 v[2:3], s[12:13], v[0:1]
	v_add_f64 v[0:1], v[4:5], v[12:13]
	v_add_f64 v[2:3], v[6:7], v[2:3]
	flat_store_dwordx4 v[24:25], v[0:3] offset:512
	flat_load_dwordx4 v[0:3], v[20:21] offset:768
	v_mul_f64 v[4:5], s[40:41], v[10:11]
	v_mul_f64 v[6:7], s[38:39], v[10:11]
	v_fma_f64 v[4:5], s[38:39], v[8:9], -v[4:5]
	v_fmac_f64_e32 v[6:7], s[40:41], v[8:9]
	s_waitcnt vmcnt(0) lgkmcnt(0)
	v_mul_f64 v[8:9], s[12:13], v[2:3]
	v_mul_f64 v[2:3], s[10:11], v[2:3]
	v_fma_f64 v[8:9], s[10:11], v[0:1], -v[8:9]
	v_fmac_f64_e32 v[2:3], s[12:13], v[0:1]
	v_add_f64 v[0:1], v[4:5], v[8:9]
	v_add_f64 v[4:5], v[6:7], v[2:3]
	v_lshl_add_u64 v[6:7], v[24:25], 0, s[0:1]
	flat_store_dwordx2 v[24:25], v[0:1] offset:768
.LBB270_8:
	flat_store_dwordx2 v[6:7], v[4:5] offset:8
	s_endpgm
	.section	.rodata,"a",@progbits
	.p2align	6, 0x0
	.amdhsa_kernel _ZN12_GLOBAL__N_127rocblas_gemm_batched_kernelI19rocblas_complex_numIdELi16ELi16ELi64ELi64ELi4ELi64ELi4ELi4ELi64ELc78ELc67EKPKS2_S5_KPS2_EEvlllT_PT11_llSA_llS8_PT12_llPT13_lli
		.amdhsa_group_segment_fixed_size 8192
		.amdhsa_private_segment_fixed_size 0
		.amdhsa_kernarg_size 156
		.amdhsa_user_sgpr_count 2
		.amdhsa_user_sgpr_dispatch_ptr 0
		.amdhsa_user_sgpr_queue_ptr 0
		.amdhsa_user_sgpr_kernarg_segment_ptr 1
		.amdhsa_user_sgpr_dispatch_id 0
		.amdhsa_user_sgpr_kernarg_preload_length 0
		.amdhsa_user_sgpr_kernarg_preload_offset 0
		.amdhsa_user_sgpr_private_segment_size 0
		.amdhsa_uses_dynamic_stack 0
		.amdhsa_enable_private_segment 0
		.amdhsa_system_sgpr_workgroup_id_x 1
		.amdhsa_system_sgpr_workgroup_id_y 1
		.amdhsa_system_sgpr_workgroup_id_z 1
		.amdhsa_system_sgpr_workgroup_info 0
		.amdhsa_system_vgpr_workitem_id 1
		.amdhsa_next_free_vgpr 138
		.amdhsa_next_free_sgpr 52
		.amdhsa_accum_offset 140
		.amdhsa_reserve_vcc 1
		.amdhsa_float_round_mode_32 0
		.amdhsa_float_round_mode_16_64 0
		.amdhsa_float_denorm_mode_32 3
		.amdhsa_float_denorm_mode_16_64 3
		.amdhsa_dx10_clamp 1
		.amdhsa_ieee_mode 1
		.amdhsa_fp16_overflow 0
		.amdhsa_tg_split 0
		.amdhsa_exception_fp_ieee_invalid_op 0
		.amdhsa_exception_fp_denorm_src 0
		.amdhsa_exception_fp_ieee_div_zero 0
		.amdhsa_exception_fp_ieee_overflow 0
		.amdhsa_exception_fp_ieee_underflow 0
		.amdhsa_exception_fp_ieee_inexact 0
		.amdhsa_exception_int_div_zero 0
	.end_amdhsa_kernel
	.section	.text._ZN12_GLOBAL__N_127rocblas_gemm_batched_kernelI19rocblas_complex_numIdELi16ELi16ELi64ELi64ELi4ELi64ELi4ELi4ELi64ELc78ELc67EKPKS2_S5_KPS2_EEvlllT_PT11_llSA_llS8_PT12_llPT13_lli,"axG",@progbits,_ZN12_GLOBAL__N_127rocblas_gemm_batched_kernelI19rocblas_complex_numIdELi16ELi16ELi64ELi64ELi4ELi64ELi4ELi4ELi64ELc78ELc67EKPKS2_S5_KPS2_EEvlllT_PT11_llSA_llS8_PT12_llPT13_lli,comdat
.Lfunc_end270:
	.size	_ZN12_GLOBAL__N_127rocblas_gemm_batched_kernelI19rocblas_complex_numIdELi16ELi16ELi64ELi64ELi4ELi64ELi4ELi4ELi64ELc78ELc67EKPKS2_S5_KPS2_EEvlllT_PT11_llSA_llS8_PT12_llPT13_lli, .Lfunc_end270-_ZN12_GLOBAL__N_127rocblas_gemm_batched_kernelI19rocblas_complex_numIdELi16ELi16ELi64ELi64ELi4ELi64ELi4ELi4ELi64ELc78ELc67EKPKS2_S5_KPS2_EEvlllT_PT11_llSA_llS8_PT12_llPT13_lli
                                        ; -- End function
	.set _ZN12_GLOBAL__N_127rocblas_gemm_batched_kernelI19rocblas_complex_numIdELi16ELi16ELi64ELi64ELi4ELi64ELi4ELi4ELi64ELc78ELc67EKPKS2_S5_KPS2_EEvlllT_PT11_llSA_llS8_PT12_llPT13_lli.num_vgpr, 138
	.set _ZN12_GLOBAL__N_127rocblas_gemm_batched_kernelI19rocblas_complex_numIdELi16ELi16ELi64ELi64ELi4ELi64ELi4ELi4ELi64ELc78ELc67EKPKS2_S5_KPS2_EEvlllT_PT11_llSA_llS8_PT12_llPT13_lli.num_agpr, 0
	.set _ZN12_GLOBAL__N_127rocblas_gemm_batched_kernelI19rocblas_complex_numIdELi16ELi16ELi64ELi64ELi4ELi64ELi4ELi4ELi64ELc78ELc67EKPKS2_S5_KPS2_EEvlllT_PT11_llSA_llS8_PT12_llPT13_lli.numbered_sgpr, 52
	.set _ZN12_GLOBAL__N_127rocblas_gemm_batched_kernelI19rocblas_complex_numIdELi16ELi16ELi64ELi64ELi4ELi64ELi4ELi4ELi64ELc78ELc67EKPKS2_S5_KPS2_EEvlllT_PT11_llSA_llS8_PT12_llPT13_lli.num_named_barrier, 0
	.set _ZN12_GLOBAL__N_127rocblas_gemm_batched_kernelI19rocblas_complex_numIdELi16ELi16ELi64ELi64ELi4ELi64ELi4ELi4ELi64ELc78ELc67EKPKS2_S5_KPS2_EEvlllT_PT11_llSA_llS8_PT12_llPT13_lli.private_seg_size, 0
	.set _ZN12_GLOBAL__N_127rocblas_gemm_batched_kernelI19rocblas_complex_numIdELi16ELi16ELi64ELi64ELi4ELi64ELi4ELi4ELi64ELc78ELc67EKPKS2_S5_KPS2_EEvlllT_PT11_llSA_llS8_PT12_llPT13_lli.uses_vcc, 1
	.set _ZN12_GLOBAL__N_127rocblas_gemm_batched_kernelI19rocblas_complex_numIdELi16ELi16ELi64ELi64ELi4ELi64ELi4ELi4ELi64ELc78ELc67EKPKS2_S5_KPS2_EEvlllT_PT11_llSA_llS8_PT12_llPT13_lli.uses_flat_scratch, 0
	.set _ZN12_GLOBAL__N_127rocblas_gemm_batched_kernelI19rocblas_complex_numIdELi16ELi16ELi64ELi64ELi4ELi64ELi4ELi4ELi64ELc78ELc67EKPKS2_S5_KPS2_EEvlllT_PT11_llSA_llS8_PT12_llPT13_lli.has_dyn_sized_stack, 0
	.set _ZN12_GLOBAL__N_127rocblas_gemm_batched_kernelI19rocblas_complex_numIdELi16ELi16ELi64ELi64ELi4ELi64ELi4ELi4ELi64ELc78ELc67EKPKS2_S5_KPS2_EEvlllT_PT11_llSA_llS8_PT12_llPT13_lli.has_recursion, 0
	.set _ZN12_GLOBAL__N_127rocblas_gemm_batched_kernelI19rocblas_complex_numIdELi16ELi16ELi64ELi64ELi4ELi64ELi4ELi4ELi64ELc78ELc67EKPKS2_S5_KPS2_EEvlllT_PT11_llSA_llS8_PT12_llPT13_lli.has_indirect_call, 0
	.section	.AMDGPU.csdata,"",@progbits
; Kernel info:
; codeLenInByte = 6452
; TotalNumSgprs: 58
; NumVgprs: 138
; NumAgprs: 0
; TotalNumVgprs: 138
; ScratchSize: 0
; MemoryBound: 0
; FloatMode: 240
; IeeeMode: 1
; LDSByteSize: 8192 bytes/workgroup (compile time only)
; SGPRBlocks: 7
; VGPRBlocks: 17
; NumSGPRsForWavesPerEU: 58
; NumVGPRsForWavesPerEU: 138
; AccumOffset: 140
; Occupancy: 3
; WaveLimiterHint : 1
; COMPUTE_PGM_RSRC2:SCRATCH_EN: 0
; COMPUTE_PGM_RSRC2:USER_SGPR: 2
; COMPUTE_PGM_RSRC2:TRAP_HANDLER: 0
; COMPUTE_PGM_RSRC2:TGID_X_EN: 1
; COMPUTE_PGM_RSRC2:TGID_Y_EN: 1
; COMPUTE_PGM_RSRC2:TGID_Z_EN: 1
; COMPUTE_PGM_RSRC2:TIDIG_COMP_CNT: 1
; COMPUTE_PGM_RSRC3_GFX90A:ACCUM_OFFSET: 34
; COMPUTE_PGM_RSRC3_GFX90A:TG_SPLIT: 0
	.section	.text._ZN12_GLOBAL__N_127rocblas_gemm_batched_kernelI19rocblas_complex_numIdELi16ELi16ELi64ELi64ELi4ELi64ELi4ELi4ELi64ELc84ELc67EKPKS2_S5_KPS2_EEvlllT_PT11_llSA_llS8_PT12_llPT13_lli,"axG",@progbits,_ZN12_GLOBAL__N_127rocblas_gemm_batched_kernelI19rocblas_complex_numIdELi16ELi16ELi64ELi64ELi4ELi64ELi4ELi4ELi64ELc84ELc67EKPKS2_S5_KPS2_EEvlllT_PT11_llSA_llS8_PT12_llPT13_lli,comdat
	.globl	_ZN12_GLOBAL__N_127rocblas_gemm_batched_kernelI19rocblas_complex_numIdELi16ELi16ELi64ELi64ELi4ELi64ELi4ELi4ELi64ELc84ELc67EKPKS2_S5_KPS2_EEvlllT_PT11_llSA_llS8_PT12_llPT13_lli ; -- Begin function _ZN12_GLOBAL__N_127rocblas_gemm_batched_kernelI19rocblas_complex_numIdELi16ELi16ELi64ELi64ELi4ELi64ELi4ELi4ELi64ELc84ELc67EKPKS2_S5_KPS2_EEvlllT_PT11_llSA_llS8_PT12_llPT13_lli
	.p2align	8
	.type	_ZN12_GLOBAL__N_127rocblas_gemm_batched_kernelI19rocblas_complex_numIdELi16ELi16ELi64ELi64ELi4ELi64ELi4ELi4ELi64ELc84ELc67EKPKS2_S5_KPS2_EEvlllT_PT11_llSA_llS8_PT12_llPT13_lli,@function
_ZN12_GLOBAL__N_127rocblas_gemm_batched_kernelI19rocblas_complex_numIdELi16ELi16ELi64ELi64ELi4ELi64ELi4ELi4ELi64ELc84ELc67EKPKS2_S5_KPS2_EEvlllT_PT11_llSA_llS8_PT12_llPT13_lli: ; @_ZN12_GLOBAL__N_127rocblas_gemm_batched_kernelI19rocblas_complex_numIdELi16ELi16ELi64ELi64ELi4ELi64ELi4ELi4ELi64ELc84ELc67EKPKS2_S5_KPS2_EEvlllT_PT11_llSA_llS8_PT12_llPT13_lli
; %bb.0:
	s_load_dwordx16 s[36:51], s[0:1], 0x10
	s_load_dwordx16 s[8:23], s[0:1], 0x50
	s_mov_b32 s5, 0
	s_lshl_b64 s[24:25], s[4:5], 3
	s_mov_b32 s26, s3
	v_mov_b32_e32 v27, 0
	s_waitcnt lgkmcnt(0)
	s_add_u32 s4, s14, s24
	s_addc_u32 s5, s15, s25
	s_add_u32 s6, s20, s24
	s_addc_u32 s7, s21, s25
	s_load_dwordx2 s[4:5], s[4:5], 0x0
	s_ashr_i32 s3, s2, 31
	s_load_dwordx2 s[6:7], s[6:7], 0x0
	s_ashr_i32 s27, s26, 31
	v_cmp_lt_i64_e64 s[20:21], s[36:37], 1
	v_bfe_u32 v26, v0, 10, 10
	v_and_b32_e32 v24, 0x3ff, v0
	v_mov_b32_e32 v25, v27
	s_lshl_b64 s[2:3], s[2:3], 6
	s_lshl_b64 s[14:15], s[26:27], 6
	s_and_b64 vcc, exec, s[20:21]
	s_cbranch_vccnz .LBB271_3
; %bb.1:
	v_lshl_add_u32 v6, v26, 4, v24
	v_lshrrev_b32_e32 v0, 2, v6
	v_mov_b32_e32 v1, v27
	s_add_u32 s20, s42, s24
	v_lshl_add_u64 v[2:3], v[0:1], 0, s[14:15]
	v_and_b32_e32 v1, 3, v24
	s_addc_u32 s21, s43, s25
	v_mad_u64_u32 v[2:3], s[26:27], s50, v1, v[2:3]
	s_add_u32 s24, s48, s24
	v_mov_b32_e32 v4, v3
	s_addc_u32 s25, s49, s25
	v_mad_u64_u32 v[4:5], s[26:27], s51, v1, v[4:5]
	v_lshlrev_b32_e32 v1, 4, v1
	s_load_dwordx2 s[24:25], s[24:25], 0x0
	v_lshl_or_b32 v0, v0, 6, v1
	v_mov_b32_e32 v3, v4
	v_and_b32_e32 v4, 63, v6
	v_mov_b32_e32 v5, v27
	v_add_u32_e32 v111, 0x1000, v0
	v_mov_b32_e32 v0, 0x1000
	s_load_dwordx2 s[20:21], s[20:21], 0x0
	v_lshl_add_u32 v113, v26, 6, v0
	v_lshl_add_u64 v[0:1], s[2:3], 0, v[4:5]
	v_lshlrev_b32_e32 v7, 4, v4
	v_mul_lo_u32 v4, s45, v0
	v_mul_lo_u32 v5, s44, v1
	v_mad_u64_u32 v[0:1], s[26:27], s44, v0, 0
	v_lshrrev_b32_e32 v6, 6, v6
	v_add3_u32 v1, v1, v5, v4
	s_lshl_b64 s[26:27], s[46:47], 4
	s_lshl_b64 s[8:9], s[8:9], 4
	v_lshl_add_u64 v[0:1], v[0:1], 4, s[26:27]
	v_lshlrev_b32_e32 v4, 4, v6
	v_mov_b32_e32 v5, v27
	s_waitcnt lgkmcnt(0)
	s_add_u32 s8, s24, s8
	v_lshl_add_u64 v[0:1], v[0:1], 0, v[4:5]
	s_addc_u32 s9, s25, s9
	v_lshl_or_b32 v110, v6, 10, v7
	v_lshlrev_b32_e32 v112, 4, v24
	v_lshl_add_u64 v[28:29], s[20:21], 0, v[0:1]
	v_lshl_add_u64 v[30:31], v[2:3], 4, s[8:9]
	s_lshl_b64 s[8:9], s[50:51], 6
	s_mov_b64 s[20:21], 0
	v_mov_b64_e32 v[10:11], 0
	v_mov_b64_e32 v[32:33], s[36:37]
	;; [unrolled: 1-line block ×33, first 2 shown]
.LBB271_2:                              ; =>This Inner Loop Header: Depth=1
	flat_load_dwordx4 v[0:3], v[28:29]
	s_add_u32 s20, s20, 4
	s_addc_u32 s21, s21, 0
	v_cmp_lt_i64_e32 vcc, s[20:21], v[32:33]
	v_lshl_add_u64 v[28:29], v[28:29], 0, 64
	s_and_b64 vcc, exec, vcc
	s_waitcnt vmcnt(0) lgkmcnt(0)
	ds_write2_b64 v110, v[0:1], v[2:3] offset1:1
	flat_load_dwordx4 v[0:3], v[30:31]
	v_lshl_add_u64 v[30:31], v[30:31], 0, s[8:9]
	s_waitcnt vmcnt(0) lgkmcnt(0)
	v_xor_b32_e32 v3, 0x80000000, v3
	ds_write_b128 v111, v[0:3]
	s_waitcnt lgkmcnt(0)
	s_barrier
	ds_read_b128 v[82:85], v113
	ds_read_b128 v[114:117], v113 offset:16
	ds_read_b128 v[4:7], v113 offset:32
	;; [unrolled: 1-line block ×3, first 2 shown]
	ds_read_b128 v[118:121], v112
	s_waitcnt lgkmcnt(0)
	v_mul_f64 v[86:87], v[84:85], v[120:121]
	v_mul_f64 v[88:89], v[82:83], v[120:121]
	v_fma_f64 v[86:87], v[82:83], v[118:119], -v[86:87]
	v_fmac_f64_e32 v[88:89], v[84:85], v[118:119]
	v_add_f64 v[122:123], v[54:55], v[86:87]
	v_add_f64 v[124:125], v[88:89], v[56:57]
	ds_read_b128 v[54:57], v112 offset:256
	s_waitcnt lgkmcnt(0)
	v_mul_f64 v[86:87], v[84:85], v[56:57]
	v_mul_f64 v[88:89], v[82:83], v[56:57]
	v_fma_f64 v[86:87], v[82:83], v[54:55], -v[86:87]
	v_fmac_f64_e32 v[88:89], v[84:85], v[54:55]
	v_add_f64 v[126:127], v[38:39], v[86:87]
	v_add_f64 v[128:129], v[88:89], v[40:41]
	ds_read_b128 v[38:41], v112 offset:512
	;; [unrolled: 8-line block ×3, first 2 shown]
	s_waitcnt lgkmcnt(0)
	v_mul_f64 v[86:87], v[84:85], v[36:37]
	v_fma_f64 v[86:87], v[82:83], v[34:35], -v[86:87]
	v_mul_f64 v[82:83], v[82:83], v[36:37]
	v_fmac_f64_e32 v[82:83], v[84:85], v[34:35]
	v_add_f64 v[134:135], v[20:21], v[86:87]
	v_add_f64 v[136:137], v[82:83], v[22:23]
	ds_read_b128 v[20:23], v113 offset:1024
	s_waitcnt lgkmcnt(0)
	v_mul_f64 v[82:83], v[22:23], v[120:121]
	v_fma_f64 v[82:83], v[20:21], v[118:119], -v[82:83]
	v_add_f64 v[74:75], v[74:75], v[82:83]
	v_mul_f64 v[82:83], v[22:23], v[56:57]
	v_mul_f64 v[84:85], v[20:21], v[120:121]
	v_fma_f64 v[82:83], v[20:21], v[54:55], -v[82:83]
	v_fmac_f64_e32 v[84:85], v[22:23], v[118:119]
	v_add_f64 v[98:99], v[66:67], v[82:83]
	v_mul_f64 v[66:67], v[22:23], v[40:41]
	v_add_f64 v[76:77], v[84:85], v[76:77]
	v_mul_f64 v[84:85], v[20:21], v[56:57]
	v_fma_f64 v[66:67], v[20:21], v[38:39], -v[66:67]
	v_fmac_f64_e32 v[84:85], v[22:23], v[54:55]
	v_add_f64 v[102:103], v[58:59], v[66:67]
	v_mul_f64 v[58:59], v[22:23], v[36:37]
	v_add_f64 v[100:101], v[84:85], v[68:69]
	v_mul_f64 v[68:69], v[20:21], v[40:41]
	v_fma_f64 v[58:59], v[20:21], v[34:35], -v[58:59]
	v_mul_f64 v[20:21], v[20:21], v[36:37]
	v_fmac_f64_e32 v[20:21], v[22:23], v[34:35]
	v_fmac_f64_e32 v[68:69], v[22:23], v[38:39]
	v_add_f64 v[108:109], v[20:21], v[50:51]
	ds_read_b128 v[20:23], v113 offset:2048
	v_add_f64 v[106:107], v[46:47], v[58:59]
	v_add_f64 v[104:105], v[68:69], v[62:63]
	s_waitcnt lgkmcnt(0)
	v_mul_f64 v[46:47], v[22:23], v[120:121]
	v_fma_f64 v[46:47], v[20:21], v[118:119], -v[46:47]
	v_add_f64 v[82:83], v[70:71], v[46:47]
	v_mul_f64 v[46:47], v[22:23], v[56:57]
	v_mul_f64 v[50:51], v[20:21], v[120:121]
	v_fma_f64 v[46:47], v[20:21], v[54:55], -v[46:47]
	v_fmac_f64_e32 v[50:51], v[22:23], v[118:119]
	v_add_f64 v[86:87], v[60:61], v[46:47]
	v_mul_f64 v[46:47], v[22:23], v[40:41]
	v_add_f64 v[84:85], v[50:51], v[72:73]
	v_mul_f64 v[50:51], v[20:21], v[56:57]
	v_fma_f64 v[46:47], v[20:21], v[38:39], -v[46:47]
	v_fmac_f64_e32 v[50:51], v[22:23], v[54:55]
	v_add_f64 v[90:91], v[48:49], v[46:47]
	v_mul_f64 v[46:47], v[22:23], v[36:37]
	v_add_f64 v[88:89], v[50:51], v[64:65]
	v_mul_f64 v[50:51], v[20:21], v[40:41]
	v_fma_f64 v[46:47], v[20:21], v[34:35], -v[46:47]
	v_mul_f64 v[20:21], v[20:21], v[36:37]
	v_fmac_f64_e32 v[20:21], v[22:23], v[34:35]
	v_fmac_f64_e32 v[50:51], v[22:23], v[38:39]
	v_add_f64 v[96:97], v[20:21], v[44:45]
	ds_read_b128 v[20:23], v113 offset:3072
	v_add_f64 v[94:95], v[42:43], v[46:47]
	v_add_f64 v[92:93], v[50:51], v[52:53]
	s_waitcnt lgkmcnt(0)
	v_mul_f64 v[42:43], v[22:23], v[120:121]
	v_mul_f64 v[44:45], v[20:21], v[120:121]
	v_fma_f64 v[42:43], v[20:21], v[118:119], -v[42:43]
	v_fmac_f64_e32 v[44:45], v[22:23], v[118:119]
	v_add_f64 v[62:63], v[78:79], v[42:43]
	v_add_f64 v[64:65], v[44:45], v[80:81]
	v_mul_f64 v[42:43], v[22:23], v[56:57]
	v_mul_f64 v[44:45], v[20:21], v[56:57]
	v_fma_f64 v[42:43], v[20:21], v[54:55], -v[42:43]
	v_fmac_f64_e32 v[44:45], v[22:23], v[54:55]
	v_add_f64 v[58:59], v[16:17], v[42:43]
	v_add_f64 v[60:61], v[44:45], v[18:19]
	;; [unrolled: 6-line block ×3, first 2 shown]
	v_mul_f64 v[12:13], v[22:23], v[36:37]
	v_mul_f64 v[14:15], v[20:21], v[36:37]
	v_fma_f64 v[12:13], v[20:21], v[34:35], -v[12:13]
	v_fmac_f64_e32 v[14:15], v[22:23], v[34:35]
	ds_read_b128 v[20:23], v112 offset:1024
	ds_read_b128 v[16:19], v112 offset:1280
	v_add_f64 v[50:51], v[8:9], v[12:13]
	v_add_f64 v[52:53], v[14:15], v[10:11]
	ds_read_b128 v[12:15], v112 offset:1536
	ds_read_b128 v[78:81], v113 offset:1040
	s_waitcnt lgkmcnt(3)
	v_mul_f64 v[8:9], v[116:117], v[22:23]
	v_mul_f64 v[10:11], v[114:115], v[22:23]
	v_fma_f64 v[8:9], v[114:115], v[20:21], -v[8:9]
	v_fmac_f64_e32 v[10:11], v[116:117], v[20:21]
	v_add_f64 v[46:47], v[122:123], v[8:9]
	v_add_f64 v[48:49], v[10:11], v[124:125]
	s_waitcnt lgkmcnt(2)
	v_mul_f64 v[8:9], v[116:117], v[18:19]
	v_mul_f64 v[10:11], v[114:115], v[18:19]
	v_fma_f64 v[8:9], v[114:115], v[16:17], -v[8:9]
	v_fmac_f64_e32 v[10:11], v[116:117], v[16:17]
	v_add_f64 v[42:43], v[126:127], v[8:9]
	v_add_f64 v[44:45], v[10:11], v[128:129]
	;; [unrolled: 7-line block ×3, first 2 shown]
	ds_read_b128 v[8:11], v112 offset:1792
	s_waitcnt lgkmcnt(1)
	v_mul_f64 v[70:71], v[80:81], v[18:19]
	v_mul_f64 v[72:73], v[78:79], v[18:19]
	;; [unrolled: 1-line block ×4, first 2 shown]
	v_fma_f64 v[70:71], v[78:79], v[16:17], -v[70:71]
	v_fmac_f64_e32 v[72:73], v[80:81], v[16:17]
	v_fma_f64 v[66:67], v[78:79], v[20:21], -v[66:67]
	v_fmac_f64_e32 v[68:69], v[80:81], v[20:21]
	v_add_f64 v[70:71], v[98:99], v[70:71]
	v_add_f64 v[72:73], v[72:73], v[100:101]
	s_waitcnt lgkmcnt(0)
	v_mul_f64 v[98:99], v[80:81], v[10:11]
	v_mul_f64 v[100:101], v[78:79], v[10:11]
	v_add_f64 v[66:67], v[74:75], v[66:67]
	v_add_f64 v[68:69], v[68:69], v[76:77]
	v_mul_f64 v[74:75], v[80:81], v[14:15]
	v_mul_f64 v[76:77], v[78:79], v[14:15]
	v_fma_f64 v[98:99], v[78:79], v[8:9], -v[98:99]
	v_fmac_f64_e32 v[100:101], v[80:81], v[8:9]
	v_fma_f64 v[74:75], v[78:79], v[12:13], -v[74:75]
	v_fmac_f64_e32 v[76:77], v[80:81], v[12:13]
	v_add_f64 v[78:79], v[106:107], v[98:99]
	v_add_f64 v[80:81], v[100:101], v[108:109]
	ds_read_b128 v[98:101], v113 offset:2064
	v_add_f64 v[74:75], v[102:103], v[74:75]
	v_add_f64 v[76:77], v[76:77], v[104:105]
	v_mul_f64 v[34:35], v[116:117], v[10:11]
	v_mul_f64 v[36:37], v[114:115], v[10:11]
	s_waitcnt lgkmcnt(0)
	v_mul_f64 v[102:103], v[100:101], v[22:23]
	v_mul_f64 v[104:105], v[98:99], v[22:23]
	v_fma_f64 v[102:103], v[98:99], v[20:21], -v[102:103]
	v_fmac_f64_e32 v[104:105], v[100:101], v[20:21]
	v_add_f64 v[82:83], v[82:83], v[102:103]
	v_add_f64 v[84:85], v[104:105], v[84:85]
	v_mul_f64 v[102:103], v[100:101], v[18:19]
	v_mul_f64 v[104:105], v[98:99], v[18:19]
	v_fma_f64 v[102:103], v[98:99], v[16:17], -v[102:103]
	v_fmac_f64_e32 v[104:105], v[100:101], v[16:17]
	v_add_f64 v[86:87], v[86:87], v[102:103]
	v_add_f64 v[88:89], v[104:105], v[88:89]
	;; [unrolled: 6-line block ×4, first 2 shown]
	ds_read_b128 v[94:97], v113 offset:3088
	v_fma_f64 v[34:35], v[114:115], v[8:9], -v[34:35]
	v_fmac_f64_e32 v[36:37], v[116:117], v[8:9]
	v_add_f64 v[36:37], v[36:37], v[136:137]
	v_add_f64 v[34:35], v[134:135], v[34:35]
	s_waitcnt lgkmcnt(0)
	v_mul_f64 v[102:103], v[96:97], v[22:23]
	v_mul_f64 v[22:23], v[94:95], v[22:23]
	v_fma_f64 v[102:103], v[94:95], v[20:21], -v[102:103]
	v_fmac_f64_e32 v[22:23], v[96:97], v[20:21]
	v_mul_f64 v[20:21], v[96:97], v[18:19]
	v_mul_f64 v[18:19], v[94:95], v[18:19]
	v_fma_f64 v[20:21], v[94:95], v[16:17], -v[20:21]
	v_fmac_f64_e32 v[18:19], v[96:97], v[16:17]
	;; [unrolled: 4-line block ×3, first 2 shown]
	v_mul_f64 v[12:13], v[96:97], v[10:11]
	v_mul_f64 v[10:11], v[94:95], v[10:11]
	v_fmac_f64_e32 v[10:11], v[96:97], v[8:9]
	v_fma_f64 v[12:13], v[94:95], v[8:9], -v[12:13]
	v_add_f64 v[116:117], v[10:11], v[52:53]
	ds_read_b128 v[8:11], v112 offset:2048
	v_add_f64 v[56:57], v[14:15], v[56:57]
	v_add_f64 v[114:115], v[50:51], v[12:13]
	;; [unrolled: 1-line block ×4, first 2 shown]
	s_waitcnt lgkmcnt(0)
	v_mul_f64 v[12:13], v[6:7], v[10:11]
	v_mul_f64 v[14:15], v[4:5], v[10:11]
	v_fma_f64 v[12:13], v[4:5], v[8:9], -v[12:13]
	v_fmac_f64_e32 v[14:15], v[6:7], v[8:9]
	v_add_f64 v[118:119], v[46:47], v[12:13]
	v_add_f64 v[120:121], v[14:15], v[48:49]
	ds_read_b128 v[12:15], v112 offset:2304
	v_add_f64 v[104:105], v[22:23], v[64:65]
	v_add_f64 v[106:107], v[58:59], v[20:21]
	;; [unrolled: 1-line block ×3, first 2 shown]
	s_waitcnt lgkmcnt(0)
	v_mul_f64 v[16:17], v[6:7], v[14:15]
	v_mul_f64 v[18:19], v[4:5], v[14:15]
	v_fma_f64 v[16:17], v[4:5], v[12:13], -v[16:17]
	v_fmac_f64_e32 v[18:19], v[6:7], v[12:13]
	v_add_f64 v[122:123], v[42:43], v[16:17]
	v_add_f64 v[124:125], v[18:19], v[44:45]
	ds_read_b128 v[16:19], v112 offset:2560
	s_waitcnt lgkmcnt(0)
	v_mul_f64 v[20:21], v[6:7], v[18:19]
	v_mul_f64 v[22:23], v[4:5], v[18:19]
	v_fma_f64 v[20:21], v[4:5], v[16:17], -v[20:21]
	v_fmac_f64_e32 v[22:23], v[6:7], v[16:17]
	v_add_f64 v[126:127], v[38:39], v[20:21]
	v_add_f64 v[128:129], v[22:23], v[40:41]
	ds_read_b128 v[20:23], v112 offset:2816
	s_waitcnt lgkmcnt(0)
	v_mul_f64 v[38:39], v[6:7], v[22:23]
	v_fma_f64 v[38:39], v[4:5], v[20:21], -v[38:39]
	v_mul_f64 v[4:5], v[4:5], v[22:23]
	v_fmac_f64_e32 v[4:5], v[6:7], v[20:21]
	v_add_f64 v[132:133], v[4:5], v[36:37]
	ds_read_b128 v[4:7], v113 offset:1056
	v_add_f64 v[130:131], v[34:35], v[38:39]
	s_waitcnt lgkmcnt(0)
	v_mul_f64 v[34:35], v[6:7], v[10:11]
	v_fma_f64 v[34:35], v[4:5], v[8:9], -v[34:35]
	v_add_f64 v[46:47], v[66:67], v[34:35]
	v_mul_f64 v[34:35], v[6:7], v[14:15]
	v_mul_f64 v[36:37], v[4:5], v[10:11]
	v_fma_f64 v[34:35], v[4:5], v[12:13], -v[34:35]
	v_fmac_f64_e32 v[36:37], v[6:7], v[8:9]
	v_add_f64 v[58:59], v[70:71], v[34:35]
	v_mul_f64 v[34:35], v[6:7], v[18:19]
	v_add_f64 v[50:51], v[36:37], v[68:69]
	v_mul_f64 v[36:37], v[4:5], v[14:15]
	v_fma_f64 v[34:35], v[4:5], v[16:17], -v[34:35]
	v_fmac_f64_e32 v[36:37], v[6:7], v[12:13]
	v_add_f64 v[62:63], v[74:75], v[34:35]
	v_mul_f64 v[34:35], v[6:7], v[22:23]
	v_add_f64 v[60:61], v[36:37], v[72:73]
	v_mul_f64 v[36:37], v[4:5], v[18:19]
	v_fma_f64 v[34:35], v[4:5], v[20:21], -v[34:35]
	v_mul_f64 v[4:5], v[4:5], v[22:23]
	v_fmac_f64_e32 v[4:5], v[6:7], v[20:21]
	v_fmac_f64_e32 v[36:37], v[6:7], v[16:17]
	v_add_f64 v[72:73], v[4:5], v[80:81]
	ds_read_b128 v[4:7], v113 offset:2080
	v_add_f64 v[70:71], v[78:79], v[34:35]
	v_add_f64 v[64:65], v[36:37], v[76:77]
	s_waitcnt lgkmcnt(0)
	v_mul_f64 v[34:35], v[6:7], v[10:11]
	v_fma_f64 v[34:35], v[4:5], v[8:9], -v[34:35]
	v_add_f64 v[42:43], v[82:83], v[34:35]
	v_mul_f64 v[34:35], v[6:7], v[14:15]
	v_mul_f64 v[36:37], v[4:5], v[10:11]
	v_fma_f64 v[34:35], v[4:5], v[12:13], -v[34:35]
	v_fmac_f64_e32 v[36:37], v[6:7], v[8:9]
	v_add_f64 v[48:49], v[86:87], v[34:35]
	v_mul_f64 v[34:35], v[6:7], v[18:19]
	v_add_f64 v[44:45], v[36:37], v[84:85]
	v_mul_f64 v[36:37], v[4:5], v[14:15]
	v_fma_f64 v[34:35], v[4:5], v[16:17], -v[34:35]
	v_fmac_f64_e32 v[36:37], v[6:7], v[12:13]
	v_add_f64 v[94:95], v[90:91], v[34:35]
	v_mul_f64 v[34:35], v[6:7], v[22:23]
	v_add_f64 v[52:53], v[36:37], v[88:89]
	v_mul_f64 v[36:37], v[4:5], v[18:19]
	v_fma_f64 v[34:35], v[4:5], v[20:21], -v[34:35]
	v_mul_f64 v[4:5], v[4:5], v[22:23]
	v_fmac_f64_e32 v[4:5], v[6:7], v[20:21]
	v_fmac_f64_e32 v[36:37], v[6:7], v[16:17]
	v_add_f64 v[100:101], v[4:5], v[100:101]
	ds_read_b128 v[4:7], v113 offset:3104
	v_add_f64 v[98:99], v[98:99], v[34:35]
	v_add_f64 v[96:97], v[36:37], v[92:93]
	s_waitcnt lgkmcnt(0)
	v_mul_f64 v[34:35], v[6:7], v[10:11]
	v_mul_f64 v[10:11], v[4:5], v[10:11]
	v_fmac_f64_e32 v[10:11], v[6:7], v[8:9]
	v_fma_f64 v[34:35], v[4:5], v[8:9], -v[34:35]
	v_add_f64 v[80:81], v[10:11], v[104:105]
	v_mul_f64 v[8:9], v[6:7], v[14:15]
	v_mul_f64 v[10:11], v[4:5], v[14:15]
	v_fma_f64 v[8:9], v[4:5], v[12:13], -v[8:9]
	v_fmac_f64_e32 v[10:11], v[6:7], v[12:13]
	v_add_f64 v[90:91], v[106:107], v[8:9]
	v_add_f64 v[92:93], v[10:11], v[108:109]
	v_mul_f64 v[8:9], v[6:7], v[18:19]
	v_mul_f64 v[10:11], v[4:5], v[18:19]
	v_fma_f64 v[8:9], v[4:5], v[16:17], -v[8:9]
	v_fmac_f64_e32 v[10:11], v[6:7], v[16:17]
	ds_read_b128 v[16:19], v112 offset:3072
	ds_read_b128 v[12:15], v112 offset:3328
	v_add_f64 v[86:87], v[54:55], v[8:9]
	v_mul_f64 v[8:9], v[6:7], v[22:23]
	v_fma_f64 v[8:9], v[4:5], v[20:21], -v[8:9]
	v_mul_f64 v[4:5], v[4:5], v[22:23]
	v_add_f64 v[88:89], v[10:11], v[56:57]
	v_fmac_f64_e32 v[4:5], v[6:7], v[20:21]
	v_add_f64 v[82:83], v[114:115], v[8:9]
	ds_read_b128 v[8:11], v112 offset:3584
	v_add_f64 v[84:85], v[4:5], v[116:117]
	s_waitcnt lgkmcnt(2)
	v_mul_f64 v[4:5], v[2:3], v[18:19]
	v_mul_f64 v[6:7], v[0:1], v[18:19]
	v_fma_f64 v[4:5], v[0:1], v[16:17], -v[4:5]
	v_fmac_f64_e32 v[6:7], v[2:3], v[16:17]
	v_add_f64 v[54:55], v[118:119], v[4:5]
	v_add_f64 v[56:57], v[6:7], v[120:121]
	s_waitcnt lgkmcnt(1)
	v_mul_f64 v[4:5], v[2:3], v[14:15]
	v_mul_f64 v[6:7], v[0:1], v[14:15]
	v_fma_f64 v[4:5], v[0:1], v[12:13], -v[4:5]
	v_fmac_f64_e32 v[6:7], v[2:3], v[12:13]
	v_add_f64 v[38:39], v[122:123], v[4:5]
	;; [unrolled: 7-line block ×3, first 2 shown]
	v_add_f64 v[34:35], v[126:127], v[4:5]
	v_add_f64 v[36:37], v[6:7], v[128:129]
	ds_read_b128 v[4:7], v112 offset:3840
	s_waitcnt lgkmcnt(0)
	v_mul_f64 v[20:21], v[2:3], v[6:7]
	v_fma_f64 v[20:21], v[0:1], v[4:5], -v[20:21]
	v_mul_f64 v[0:1], v[0:1], v[6:7]
	v_fmac_f64_e32 v[0:1], v[2:3], v[4:5]
	v_add_f64 v[22:23], v[0:1], v[132:133]
	ds_read_b128 v[0:3], v113 offset:1072
	v_add_f64 v[20:21], v[130:131], v[20:21]
	s_waitcnt lgkmcnt(0)
	v_mul_f64 v[66:67], v[2:3], v[18:19]
	v_fma_f64 v[66:67], v[0:1], v[16:17], -v[66:67]
	v_add_f64 v[74:75], v[46:47], v[66:67]
	v_mul_f64 v[46:47], v[2:3], v[14:15]
	v_mul_f64 v[68:69], v[0:1], v[18:19]
	v_fma_f64 v[46:47], v[0:1], v[12:13], -v[46:47]
	v_fmac_f64_e32 v[68:69], v[2:3], v[16:17]
	v_add_f64 v[66:67], v[58:59], v[46:47]
	v_mul_f64 v[46:47], v[2:3], v[10:11]
	v_add_f64 v[76:77], v[68:69], v[50:51]
	v_mul_f64 v[50:51], v[0:1], v[14:15]
	v_fma_f64 v[46:47], v[0:1], v[8:9], -v[46:47]
	v_fmac_f64_e32 v[50:51], v[2:3], v[12:13]
	v_add_f64 v[58:59], v[62:63], v[46:47]
	v_mul_f64 v[46:47], v[2:3], v[6:7]
	v_add_f64 v[68:69], v[50:51], v[60:61]
	v_mul_f64 v[50:51], v[0:1], v[10:11]
	v_fma_f64 v[46:47], v[0:1], v[4:5], -v[46:47]
	v_mul_f64 v[0:1], v[0:1], v[6:7]
	v_fmac_f64_e32 v[50:51], v[2:3], v[8:9]
	v_fmac_f64_e32 v[0:1], v[2:3], v[4:5]
	v_add_f64 v[62:63], v[50:51], v[64:65]
	v_add_f64 v[50:51], v[0:1], v[72:73]
	ds_read_b128 v[0:3], v113 offset:2096
	v_add_f64 v[46:47], v[70:71], v[46:47]
	s_waitcnt lgkmcnt(0)
	v_mul_f64 v[60:61], v[2:3], v[18:19]
	v_fma_f64 v[60:61], v[0:1], v[16:17], -v[60:61]
	v_add_f64 v[70:71], v[42:43], v[60:61]
	v_mul_f64 v[42:43], v[2:3], v[14:15]
	v_mul_f64 v[64:65], v[0:1], v[18:19]
	v_fma_f64 v[42:43], v[0:1], v[12:13], -v[42:43]
	v_fmac_f64_e32 v[64:65], v[2:3], v[16:17]
	v_add_f64 v[60:61], v[48:49], v[42:43]
	v_mul_f64 v[42:43], v[2:3], v[10:11]
	v_add_f64 v[72:73], v[64:65], v[44:45]
	v_mul_f64 v[44:45], v[0:1], v[14:15]
	v_fma_f64 v[42:43], v[0:1], v[8:9], -v[42:43]
	v_fmac_f64_e32 v[44:45], v[2:3], v[12:13]
	v_add_f64 v[48:49], v[94:95], v[42:43]
	v_mul_f64 v[42:43], v[2:3], v[6:7]
	v_add_f64 v[64:65], v[44:45], v[52:53]
	v_mul_f64 v[44:45], v[0:1], v[10:11]
	v_fma_f64 v[42:43], v[0:1], v[4:5], -v[42:43]
	v_mul_f64 v[0:1], v[0:1], v[6:7]
	v_fmac_f64_e32 v[44:45], v[2:3], v[8:9]
	v_fmac_f64_e32 v[0:1], v[2:3], v[4:5]
	v_add_f64 v[52:53], v[44:45], v[96:97]
	v_add_f64 v[44:45], v[0:1], v[100:101]
	ds_read_b128 v[0:3], v113 offset:3120
	v_add_f64 v[42:43], v[98:99], v[42:43]
	s_waitcnt lgkmcnt(0)
	s_barrier
	v_mul_f64 v[94:95], v[2:3], v[18:19]
	v_mul_f64 v[18:19], v[0:1], v[18:19]
	v_fma_f64 v[94:95], v[0:1], v[16:17], -v[94:95]
	v_fmac_f64_e32 v[18:19], v[2:3], v[16:17]
	v_mul_f64 v[16:17], v[2:3], v[14:15]
	v_mul_f64 v[14:15], v[0:1], v[14:15]
	v_fma_f64 v[16:17], v[0:1], v[12:13], -v[16:17]
	v_fmac_f64_e32 v[14:15], v[2:3], v[12:13]
	;; [unrolled: 4-line block ×3, first 2 shown]
	v_mul_f64 v[8:9], v[2:3], v[6:7]
	v_fma_f64 v[8:9], v[0:1], v[4:5], -v[8:9]
	v_mul_f64 v[0:1], v[0:1], v[6:7]
	v_fmac_f64_e32 v[0:1], v[2:3], v[4:5]
	v_add_f64 v[78:79], v[78:79], v[94:95]
	v_add_f64 v[80:81], v[18:19], v[80:81]
	;; [unrolled: 1-line block ×8, first 2 shown]
	s_cbranch_vccnz .LBB271_2
	s_branch .LBB271_4
.LBB271_3:
	v_mov_b64_e32 v[54:55], 0
	v_mov_b64_e32 v[56:57], 0
	v_mov_b64_e32 v[38:39], 0
	v_mov_b64_e32 v[40:41], 0
	v_mov_b64_e32 v[34:35], 0
	v_mov_b64_e32 v[36:37], 0
	v_mov_b64_e32 v[20:21], 0
	v_mov_b64_e32 v[22:23], 0
	v_mov_b64_e32 v[74:75], 0
	v_mov_b64_e32 v[76:77], 0
	v_mov_b64_e32 v[66:67], 0
	v_mov_b64_e32 v[68:69], 0
	v_mov_b64_e32 v[58:59], 0
	v_mov_b64_e32 v[62:63], 0
	v_mov_b64_e32 v[46:47], 0
	v_mov_b64_e32 v[50:51], 0
	v_mov_b64_e32 v[70:71], 0
	v_mov_b64_e32 v[72:73], 0
	v_mov_b64_e32 v[60:61], 0
	v_mov_b64_e32 v[64:65], 0
	v_mov_b64_e32 v[48:49], 0
	v_mov_b64_e32 v[52:53], 0
	v_mov_b64_e32 v[42:43], 0
	v_mov_b64_e32 v[44:45], 0
	v_mov_b64_e32 v[78:79], 0
	v_mov_b64_e32 v[80:81], 0
	v_mov_b64_e32 v[16:17], 0
	v_mov_b64_e32 v[18:19], 0
	v_mov_b64_e32 v[12:13], 0
	v_mov_b64_e32 v[14:15], 0
	v_mov_b64_e32 v[8:9], 0
	v_mov_b64_e32 v[10:11], 0
.LBB271_4:
	s_load_dwordx2 s[0:1], s[0:1], 0x90
	v_lshl_add_u64 v[2:3], s[14:15], 0, v[26:27]
	v_cmp_neq_f64_e64 s[14:15], s[10:11], 0
	v_cmp_neq_f64_e64 s[20:21], s[12:13], 0
	s_mov_b64 s[8:9], 0
	s_waitcnt lgkmcnt(0)
	s_lshl_b64 s[0:1], s[0:1], 4
	s_add_u32 s0, s6, s0
	s_addc_u32 s1, s7, s1
	s_or_b64 s[6:7], s[14:15], s[20:21]
	v_lshl_add_u64 v[0:1], s[2:3], 0, v[24:25]
	s_and_b64 vcc, exec, s[6:7]
	s_cbranch_vccnz .LBB271_6
; %bb.5:
	v_mul_lo_u32 v6, v3, s22
	v_mul_lo_u32 v7, v2, s23
	v_mad_u64_u32 v[4:5], s[2:3], v2, s22, 0
	v_add3_u32 v5, v5, v7, v6
	v_lshl_add_u64 v[24:25], v[4:5], 4, s[0:1]
	v_mul_f64 v[4:5], s[40:41], v[56:57]
	v_mul_f64 v[6:7], s[38:39], v[56:57]
	v_lshlrev_b64 v[26:27], 4, v[0:1]
	v_fma_f64 v[4:5], s[38:39], v[54:55], -v[4:5]
	v_fmac_f64_e32 v[6:7], s[40:41], v[54:55]
	v_lshl_add_u64 v[28:29], v[24:25], 0, v[26:27]
	flat_store_dwordx4 v[28:29], v[4:7]
	s_lshl_b64 s[2:3], s[22:23], 8
	v_lshl_add_u64 v[24:25], v[24:25], 0, s[2:3]
	v_mul_f64 v[4:5], s[40:41], v[40:41]
	v_mul_f64 v[6:7], s[38:39], v[40:41]
	v_fma_f64 v[4:5], s[38:39], v[38:39], -v[4:5]
	v_fmac_f64_e32 v[6:7], s[40:41], v[38:39]
	flat_store_dwordx4 v[28:29], v[4:7] offset:256
	s_nop 1
	v_mul_f64 v[4:5], s[40:41], v[36:37]
	v_mul_f64 v[6:7], s[38:39], v[36:37]
	v_fma_f64 v[4:5], s[38:39], v[34:35], -v[4:5]
	v_fmac_f64_e32 v[6:7], s[40:41], v[34:35]
	flat_store_dwordx4 v[28:29], v[4:7] offset:512
	s_nop 1
	v_mul_f64 v[4:5], s[40:41], v[22:23]
	v_mul_f64 v[6:7], s[38:39], v[22:23]
	v_fma_f64 v[4:5], s[38:39], v[20:21], -v[4:5]
	v_fmac_f64_e32 v[6:7], s[40:41], v[20:21]
	flat_store_dwordx4 v[28:29], v[4:7] offset:768
	v_lshl_add_u64 v[28:29], v[24:25], 0, v[26:27]
	v_lshl_add_u64 v[24:25], v[24:25], 0, s[2:3]
	v_mul_f64 v[4:5], s[40:41], v[76:77]
	v_mul_f64 v[6:7], s[38:39], v[76:77]
	v_fma_f64 v[4:5], s[38:39], v[74:75], -v[4:5]
	v_fmac_f64_e32 v[6:7], s[40:41], v[74:75]
	flat_store_dwordx4 v[28:29], v[4:7]
	s_nop 1
	v_mul_f64 v[4:5], s[40:41], v[68:69]
	v_mul_f64 v[6:7], s[38:39], v[68:69]
	v_fma_f64 v[4:5], s[38:39], v[66:67], -v[4:5]
	v_fmac_f64_e32 v[6:7], s[40:41], v[66:67]
	flat_store_dwordx4 v[28:29], v[4:7] offset:256
	s_nop 1
	v_mul_f64 v[4:5], s[40:41], v[62:63]
	v_mul_f64 v[6:7], s[38:39], v[62:63]
	v_fma_f64 v[4:5], s[38:39], v[58:59], -v[4:5]
	v_fmac_f64_e32 v[6:7], s[40:41], v[58:59]
	flat_store_dwordx4 v[28:29], v[4:7] offset:512
	;; [unrolled: 6-line block ×3, first 2 shown]
	v_lshl_add_u64 v[28:29], v[24:25], 0, v[26:27]
	v_lshl_add_u64 v[24:25], v[24:25], 0, s[2:3]
	v_mul_f64 v[4:5], s[40:41], v[72:73]
	v_mul_f64 v[6:7], s[38:39], v[72:73]
	v_fma_f64 v[4:5], s[38:39], v[70:71], -v[4:5]
	v_fmac_f64_e32 v[6:7], s[40:41], v[70:71]
	flat_store_dwordx4 v[28:29], v[4:7]
	v_lshl_add_u64 v[24:25], v[24:25], 0, v[26:27]
	s_mov_b64 s[2:3], 0x300
	v_mul_f64 v[4:5], s[40:41], v[64:65]
	v_mul_f64 v[6:7], s[38:39], v[64:65]
	v_fma_f64 v[4:5], s[38:39], v[60:61], -v[4:5]
	v_fmac_f64_e32 v[6:7], s[40:41], v[60:61]
	flat_store_dwordx4 v[28:29], v[4:7] offset:256
	s_nop 1
	v_mul_f64 v[4:5], s[40:41], v[52:53]
	v_mul_f64 v[6:7], s[38:39], v[52:53]
	v_fma_f64 v[4:5], s[38:39], v[48:49], -v[4:5]
	v_fmac_f64_e32 v[6:7], s[40:41], v[48:49]
	flat_store_dwordx4 v[28:29], v[4:7] offset:512
	s_nop 1
	;; [unrolled: 6-line block ×3, first 2 shown]
	v_mul_f64 v[4:5], s[40:41], v[80:81]
	v_mul_f64 v[6:7], s[38:39], v[80:81]
	v_fma_f64 v[4:5], s[38:39], v[78:79], -v[4:5]
	v_fmac_f64_e32 v[6:7], s[40:41], v[78:79]
	flat_store_dwordx4 v[24:25], v[4:7]
	s_nop 1
	v_mul_f64 v[4:5], s[40:41], v[18:19]
	v_mul_f64 v[6:7], s[38:39], v[18:19]
	v_fma_f64 v[4:5], s[38:39], v[16:17], -v[4:5]
	v_fmac_f64_e32 v[6:7], s[40:41], v[16:17]
	flat_store_dwordx4 v[24:25], v[4:7] offset:256
	s_nop 1
	v_mul_f64 v[4:5], s[40:41], v[14:15]
	v_mul_f64 v[6:7], s[38:39], v[14:15]
	v_fma_f64 v[4:5], s[38:39], v[12:13], -v[4:5]
	v_fmac_f64_e32 v[6:7], s[40:41], v[12:13]
	flat_store_dwordx4 v[24:25], v[4:7] offset:512
	s_nop 1
	v_mul_f64 v[4:5], s[40:41], v[10:11]
	v_fma_f64 v[26:27], s[38:39], v[8:9], -v[4:5]
	v_mul_f64 v[4:5], s[38:39], v[10:11]
	v_fmac_f64_e32 v[4:5], s[40:41], v[8:9]
	v_lshl_add_u64 v[6:7], v[24:25], 0, s[2:3]
	flat_store_dwordx2 v[24:25], v[26:27] offset:768
	s_andn2_b64 vcc, exec, s[8:9]
	s_cbranch_vccz .LBB271_7
	s_branch .LBB271_8
.LBB271_6:
                                        ; implicit-def: $vgpr4_vgpr5
                                        ; implicit-def: $vgpr6_vgpr7
.LBB271_7:
	s_lshl_b64 s[2:3], s[18:19], 4
	s_add_u32 s2, s4, s2
	s_addc_u32 s3, s5, s3
	v_mul_lo_u32 v6, v3, s16
	v_mul_lo_u32 v7, v2, s17
	v_mad_u64_u32 v[4:5], s[4:5], v2, s16, 0
	v_add3_u32 v5, v5, v7, v6
	v_lshl_add_u64 v[24:25], v[4:5], 4, s[2:3]
	v_lshlrev_b64 v[0:1], 4, v[0:1]
	v_lshl_add_u64 v[26:27], v[24:25], 0, v[0:1]
	flat_load_dwordx4 v[4:7], v[26:27]
	v_mul_lo_u32 v32, v3, s22
	v_mul_lo_u32 v33, v2, s23
	v_mad_u64_u32 v[2:3], s[2:3], v2, s22, 0
	v_add3_u32 v3, v3, v33, v32
	v_mul_f64 v[28:29], s[40:41], v[56:57]
	v_mul_f64 v[30:31], s[38:39], v[56:57]
	v_lshl_add_u64 v[32:33], v[2:3], 4, s[0:1]
	v_fma_f64 v[28:29], s[38:39], v[54:55], -v[28:29]
	v_fmac_f64_e32 v[30:31], s[40:41], v[54:55]
	v_lshl_add_u64 v[54:55], v[32:33], 0, v[0:1]
	s_lshl_b64 s[0:1], s[16:17], 8
	s_lshl_b64 s[2:3], s[22:23], 8
	s_waitcnt vmcnt(0) lgkmcnt(0)
	v_mul_f64 v[2:3], s[12:13], v[6:7]
	v_mul_f64 v[6:7], s[10:11], v[6:7]
	v_fma_f64 v[2:3], s[10:11], v[4:5], -v[2:3]
	v_fmac_f64_e32 v[6:7], s[12:13], v[4:5]
	v_add_f64 v[2:3], v[28:29], v[2:3]
	v_add_f64 v[4:5], v[30:31], v[6:7]
	flat_store_dwordx4 v[54:55], v[2:5]
	flat_load_dwordx4 v[2:5], v[26:27] offset:256
	v_mul_f64 v[6:7], s[40:41], v[40:41]
	v_mul_f64 v[28:29], s[38:39], v[40:41]
	v_fma_f64 v[6:7], s[38:39], v[38:39], -v[6:7]
	v_fmac_f64_e32 v[28:29], s[40:41], v[38:39]
	s_waitcnt vmcnt(0) lgkmcnt(0)
	v_mul_f64 v[30:31], s[12:13], v[4:5]
	v_mul_f64 v[4:5], s[10:11], v[4:5]
	v_fma_f64 v[30:31], s[10:11], v[2:3], -v[30:31]
	v_fmac_f64_e32 v[4:5], s[12:13], v[2:3]
	v_add_f64 v[2:3], v[6:7], v[30:31]
	v_add_f64 v[4:5], v[28:29], v[4:5]
	flat_store_dwordx4 v[54:55], v[2:5] offset:256
	flat_load_dwordx4 v[2:5], v[26:27] offset:512
	v_mul_f64 v[6:7], s[40:41], v[36:37]
	v_mul_f64 v[28:29], s[38:39], v[36:37]
	v_fma_f64 v[6:7], s[38:39], v[34:35], -v[6:7]
	v_fmac_f64_e32 v[28:29], s[40:41], v[34:35]
	s_waitcnt vmcnt(0) lgkmcnt(0)
	v_mul_f64 v[30:31], s[12:13], v[4:5]
	v_mul_f64 v[4:5], s[10:11], v[4:5]
	v_fma_f64 v[30:31], s[10:11], v[2:3], -v[30:31]
	v_fmac_f64_e32 v[4:5], s[12:13], v[2:3]
	v_add_f64 v[2:3], v[6:7], v[30:31]
	v_add_f64 v[4:5], v[28:29], v[4:5]
	flat_store_dwordx4 v[54:55], v[2:5] offset:512
	flat_load_dwordx4 v[2:5], v[26:27] offset:768
	v_mul_f64 v[6:7], s[40:41], v[22:23]
	v_mul_f64 v[22:23], s[38:39], v[22:23]
	v_fma_f64 v[6:7], s[38:39], v[20:21], -v[6:7]
	v_fmac_f64_e32 v[22:23], s[40:41], v[20:21]
	v_lshl_add_u64 v[20:21], v[24:25], 0, s[0:1]
	v_lshl_add_u64 v[24:25], v[20:21], 0, v[0:1]
	;; [unrolled: 1-line block ×3, first 2 shown]
	s_waitcnt vmcnt(0) lgkmcnt(0)
	v_mul_f64 v[26:27], s[12:13], v[4:5]
	v_mul_f64 v[4:5], s[10:11], v[4:5]
	v_fma_f64 v[26:27], s[10:11], v[2:3], -v[26:27]
	v_fmac_f64_e32 v[4:5], s[12:13], v[2:3]
	v_add_f64 v[2:3], v[6:7], v[26:27]
	v_add_f64 v[4:5], v[22:23], v[4:5]
	flat_store_dwordx4 v[54:55], v[2:5] offset:768
	flat_load_dwordx4 v[2:5], v[24:25]
	v_mul_f64 v[6:7], s[40:41], v[76:77]
	v_mul_f64 v[22:23], s[38:39], v[76:77]
	v_fma_f64 v[6:7], s[38:39], v[74:75], -v[6:7]
	v_fmac_f64_e32 v[22:23], s[40:41], v[74:75]
	v_lshl_add_u64 v[26:27], v[32:33], 0, s[2:3]
	v_lshl_add_u64 v[28:29], v[26:27], 0, v[0:1]
	;; [unrolled: 1-line block ×3, first 2 shown]
	s_waitcnt vmcnt(0) lgkmcnt(0)
	v_mul_f64 v[30:31], s[12:13], v[4:5]
	v_mul_f64 v[4:5], s[10:11], v[4:5]
	v_fma_f64 v[30:31], s[10:11], v[2:3], -v[30:31]
	v_fmac_f64_e32 v[4:5], s[12:13], v[2:3]
	v_add_f64 v[2:3], v[6:7], v[30:31]
	v_add_f64 v[4:5], v[22:23], v[4:5]
	flat_store_dwordx4 v[28:29], v[2:5]
	flat_load_dwordx4 v[2:5], v[24:25] offset:256
	v_mul_f64 v[6:7], s[40:41], v[68:69]
	v_mul_f64 v[22:23], s[38:39], v[68:69]
	v_fma_f64 v[6:7], s[38:39], v[66:67], -v[6:7]
	v_fmac_f64_e32 v[22:23], s[40:41], v[66:67]
	s_waitcnt vmcnt(0) lgkmcnt(0)
	v_mul_f64 v[30:31], s[12:13], v[4:5]
	v_mul_f64 v[4:5], s[10:11], v[4:5]
	v_fma_f64 v[30:31], s[10:11], v[2:3], -v[30:31]
	v_fmac_f64_e32 v[4:5], s[12:13], v[2:3]
	v_add_f64 v[2:3], v[6:7], v[30:31]
	v_add_f64 v[4:5], v[22:23], v[4:5]
	flat_store_dwordx4 v[28:29], v[2:5] offset:256
	flat_load_dwordx4 v[2:5], v[24:25] offset:512
	v_mul_f64 v[6:7], s[40:41], v[62:63]
	v_mul_f64 v[22:23], s[38:39], v[62:63]
	v_fma_f64 v[6:7], s[38:39], v[58:59], -v[6:7]
	v_fmac_f64_e32 v[22:23], s[40:41], v[58:59]
	s_waitcnt vmcnt(0) lgkmcnt(0)
	v_mul_f64 v[30:31], s[12:13], v[4:5]
	v_mul_f64 v[4:5], s[10:11], v[4:5]
	v_fma_f64 v[30:31], s[10:11], v[2:3], -v[30:31]
	v_fmac_f64_e32 v[4:5], s[12:13], v[2:3]
	v_add_f64 v[2:3], v[6:7], v[30:31]
	v_add_f64 v[4:5], v[22:23], v[4:5]
	flat_store_dwordx4 v[28:29], v[2:5] offset:512
	flat_load_dwordx4 v[2:5], v[24:25] offset:768
	v_mul_f64 v[6:7], s[40:41], v[50:51]
	v_mul_f64 v[22:23], s[38:39], v[50:51]
	v_fma_f64 v[6:7], s[38:39], v[46:47], -v[6:7]
	v_fmac_f64_e32 v[22:23], s[40:41], v[46:47]
	v_lshl_add_u64 v[24:25], v[20:21], 0, v[0:1]
	v_lshl_add_u64 v[20:21], v[20:21], 0, s[0:1]
	;; [unrolled: 1-line block ×3, first 2 shown]
	s_mov_b64 s[0:1], 0x300
	s_waitcnt vmcnt(0) lgkmcnt(0)
	v_mul_f64 v[30:31], s[12:13], v[4:5]
	v_mul_f64 v[4:5], s[10:11], v[4:5]
	v_fma_f64 v[30:31], s[10:11], v[2:3], -v[30:31]
	v_fmac_f64_e32 v[4:5], s[12:13], v[2:3]
	v_add_f64 v[2:3], v[6:7], v[30:31]
	v_add_f64 v[4:5], v[22:23], v[4:5]
	flat_store_dwordx4 v[28:29], v[2:5] offset:768
	flat_load_dwordx4 v[2:5], v[24:25]
	v_mul_f64 v[6:7], s[40:41], v[72:73]
	v_mul_f64 v[22:23], s[38:39], v[72:73]
	v_fma_f64 v[6:7], s[38:39], v[70:71], -v[6:7]
	v_fmac_f64_e32 v[22:23], s[40:41], v[70:71]
	v_lshl_add_u64 v[28:29], v[26:27], 0, v[0:1]
	s_waitcnt vmcnt(0) lgkmcnt(0)
	v_mul_f64 v[30:31], s[12:13], v[4:5]
	v_mul_f64 v[4:5], s[10:11], v[4:5]
	v_fma_f64 v[30:31], s[10:11], v[2:3], -v[30:31]
	v_fmac_f64_e32 v[4:5], s[12:13], v[2:3]
	v_add_f64 v[2:3], v[6:7], v[30:31]
	v_add_f64 v[4:5], v[22:23], v[4:5]
	flat_store_dwordx4 v[28:29], v[2:5]
	flat_load_dwordx4 v[2:5], v[24:25] offset:256
	v_mul_f64 v[6:7], s[40:41], v[64:65]
	v_mul_f64 v[22:23], s[38:39], v[64:65]
	v_fma_f64 v[6:7], s[38:39], v[60:61], -v[6:7]
	v_fmac_f64_e32 v[22:23], s[40:41], v[60:61]
	s_waitcnt vmcnt(0) lgkmcnt(0)
	v_mul_f64 v[30:31], s[12:13], v[4:5]
	v_mul_f64 v[4:5], s[10:11], v[4:5]
	v_fma_f64 v[30:31], s[10:11], v[2:3], -v[30:31]
	v_fmac_f64_e32 v[4:5], s[12:13], v[2:3]
	v_add_f64 v[2:3], v[6:7], v[30:31]
	v_add_f64 v[4:5], v[22:23], v[4:5]
	flat_store_dwordx4 v[28:29], v[2:5] offset:256
	flat_load_dwordx4 v[2:5], v[24:25] offset:512
	v_mul_f64 v[6:7], s[40:41], v[52:53]
	v_mul_f64 v[22:23], s[38:39], v[52:53]
	v_fma_f64 v[6:7], s[38:39], v[48:49], -v[6:7]
	v_fmac_f64_e32 v[22:23], s[40:41], v[48:49]
	s_waitcnt vmcnt(0) lgkmcnt(0)
	v_mul_f64 v[30:31], s[12:13], v[4:5]
	v_mul_f64 v[4:5], s[10:11], v[4:5]
	v_fma_f64 v[30:31], s[10:11], v[2:3], -v[30:31]
	v_fmac_f64_e32 v[4:5], s[12:13], v[2:3]
	v_add_f64 v[2:3], v[6:7], v[30:31]
	v_add_f64 v[4:5], v[22:23], v[4:5]
	flat_store_dwordx4 v[28:29], v[2:5] offset:512
	;; [unrolled: 13-line block ×3, first 2 shown]
	flat_load_dwordx4 v[2:5], v[20:21]
	v_lshl_add_u64 v[24:25], v[26:27], 0, s[2:3]
	v_mul_f64 v[6:7], s[40:41], v[80:81]
	v_mul_f64 v[22:23], s[38:39], v[80:81]
	v_lshl_add_u64 v[24:25], v[24:25], 0, v[0:1]
	v_fma_f64 v[6:7], s[38:39], v[78:79], -v[6:7]
	v_fmac_f64_e32 v[22:23], s[40:41], v[78:79]
	s_waitcnt vmcnt(0) lgkmcnt(0)
	v_mul_f64 v[0:1], s[12:13], v[4:5]
	v_mul_f64 v[4:5], s[10:11], v[4:5]
	v_fma_f64 v[0:1], s[10:11], v[2:3], -v[0:1]
	v_fmac_f64_e32 v[4:5], s[12:13], v[2:3]
	v_add_f64 v[0:1], v[6:7], v[0:1]
	v_add_f64 v[2:3], v[22:23], v[4:5]
	flat_store_dwordx4 v[24:25], v[0:3]
	flat_load_dwordx4 v[0:3], v[20:21] offset:256
	v_mul_f64 v[4:5], s[40:41], v[18:19]
	v_mul_f64 v[6:7], s[38:39], v[18:19]
	v_fma_f64 v[4:5], s[38:39], v[16:17], -v[4:5]
	v_fmac_f64_e32 v[6:7], s[40:41], v[16:17]
	s_waitcnt vmcnt(0) lgkmcnt(0)
	v_mul_f64 v[16:17], s[12:13], v[2:3]
	v_mul_f64 v[2:3], s[10:11], v[2:3]
	v_fma_f64 v[16:17], s[10:11], v[0:1], -v[16:17]
	v_fmac_f64_e32 v[2:3], s[12:13], v[0:1]
	v_add_f64 v[0:1], v[4:5], v[16:17]
	v_add_f64 v[2:3], v[6:7], v[2:3]
	flat_store_dwordx4 v[24:25], v[0:3] offset:256
	flat_load_dwordx4 v[0:3], v[20:21] offset:512
	v_mul_f64 v[4:5], s[40:41], v[14:15]
	v_mul_f64 v[6:7], s[38:39], v[14:15]
	v_fma_f64 v[4:5], s[38:39], v[12:13], -v[4:5]
	v_fmac_f64_e32 v[6:7], s[40:41], v[12:13]
	s_waitcnt vmcnt(0) lgkmcnt(0)
	v_mul_f64 v[12:13], s[12:13], v[2:3]
	v_mul_f64 v[2:3], s[10:11], v[2:3]
	v_fma_f64 v[12:13], s[10:11], v[0:1], -v[12:13]
	v_fmac_f64_e32 v[2:3], s[12:13], v[0:1]
	v_add_f64 v[0:1], v[4:5], v[12:13]
	v_add_f64 v[2:3], v[6:7], v[2:3]
	flat_store_dwordx4 v[24:25], v[0:3] offset:512
	flat_load_dwordx4 v[0:3], v[20:21] offset:768
	v_mul_f64 v[4:5], s[40:41], v[10:11]
	v_mul_f64 v[6:7], s[38:39], v[10:11]
	v_fma_f64 v[4:5], s[38:39], v[8:9], -v[4:5]
	v_fmac_f64_e32 v[6:7], s[40:41], v[8:9]
	s_waitcnt vmcnt(0) lgkmcnt(0)
	v_mul_f64 v[8:9], s[12:13], v[2:3]
	v_mul_f64 v[2:3], s[10:11], v[2:3]
	v_fma_f64 v[8:9], s[10:11], v[0:1], -v[8:9]
	v_fmac_f64_e32 v[2:3], s[12:13], v[0:1]
	v_add_f64 v[0:1], v[4:5], v[8:9]
	v_add_f64 v[4:5], v[6:7], v[2:3]
	v_lshl_add_u64 v[6:7], v[24:25], 0, s[0:1]
	flat_store_dwordx2 v[24:25], v[0:1] offset:768
.LBB271_8:
	flat_store_dwordx2 v[6:7], v[4:5] offset:8
	s_endpgm
	.section	.rodata,"a",@progbits
	.p2align	6, 0x0
	.amdhsa_kernel _ZN12_GLOBAL__N_127rocblas_gemm_batched_kernelI19rocblas_complex_numIdELi16ELi16ELi64ELi64ELi4ELi64ELi4ELi4ELi64ELc84ELc67EKPKS2_S5_KPS2_EEvlllT_PT11_llSA_llS8_PT12_llPT13_lli
		.amdhsa_group_segment_fixed_size 8192
		.amdhsa_private_segment_fixed_size 0
		.amdhsa_kernarg_size 156
		.amdhsa_user_sgpr_count 2
		.amdhsa_user_sgpr_dispatch_ptr 0
		.amdhsa_user_sgpr_queue_ptr 0
		.amdhsa_user_sgpr_kernarg_segment_ptr 1
		.amdhsa_user_sgpr_dispatch_id 0
		.amdhsa_user_sgpr_kernarg_preload_length 0
		.amdhsa_user_sgpr_kernarg_preload_offset 0
		.amdhsa_user_sgpr_private_segment_size 0
		.amdhsa_uses_dynamic_stack 0
		.amdhsa_enable_private_segment 0
		.amdhsa_system_sgpr_workgroup_id_x 1
		.amdhsa_system_sgpr_workgroup_id_y 1
		.amdhsa_system_sgpr_workgroup_id_z 1
		.amdhsa_system_sgpr_workgroup_info 0
		.amdhsa_system_vgpr_workitem_id 1
		.amdhsa_next_free_vgpr 138
		.amdhsa_next_free_sgpr 52
		.amdhsa_accum_offset 140
		.amdhsa_reserve_vcc 1
		.amdhsa_float_round_mode_32 0
		.amdhsa_float_round_mode_16_64 0
		.amdhsa_float_denorm_mode_32 3
		.amdhsa_float_denorm_mode_16_64 3
		.amdhsa_dx10_clamp 1
		.amdhsa_ieee_mode 1
		.amdhsa_fp16_overflow 0
		.amdhsa_tg_split 0
		.amdhsa_exception_fp_ieee_invalid_op 0
		.amdhsa_exception_fp_denorm_src 0
		.amdhsa_exception_fp_ieee_div_zero 0
		.amdhsa_exception_fp_ieee_overflow 0
		.amdhsa_exception_fp_ieee_underflow 0
		.amdhsa_exception_fp_ieee_inexact 0
		.amdhsa_exception_int_div_zero 0
	.end_amdhsa_kernel
	.section	.text._ZN12_GLOBAL__N_127rocblas_gemm_batched_kernelI19rocblas_complex_numIdELi16ELi16ELi64ELi64ELi4ELi64ELi4ELi4ELi64ELc84ELc67EKPKS2_S5_KPS2_EEvlllT_PT11_llSA_llS8_PT12_llPT13_lli,"axG",@progbits,_ZN12_GLOBAL__N_127rocblas_gemm_batched_kernelI19rocblas_complex_numIdELi16ELi16ELi64ELi64ELi4ELi64ELi4ELi4ELi64ELc84ELc67EKPKS2_S5_KPS2_EEvlllT_PT11_llSA_llS8_PT12_llPT13_lli,comdat
.Lfunc_end271:
	.size	_ZN12_GLOBAL__N_127rocblas_gemm_batched_kernelI19rocblas_complex_numIdELi16ELi16ELi64ELi64ELi4ELi64ELi4ELi4ELi64ELc84ELc67EKPKS2_S5_KPS2_EEvlllT_PT11_llSA_llS8_PT12_llPT13_lli, .Lfunc_end271-_ZN12_GLOBAL__N_127rocblas_gemm_batched_kernelI19rocblas_complex_numIdELi16ELi16ELi64ELi64ELi4ELi64ELi4ELi4ELi64ELc84ELc67EKPKS2_S5_KPS2_EEvlllT_PT11_llSA_llS8_PT12_llPT13_lli
                                        ; -- End function
	.set _ZN12_GLOBAL__N_127rocblas_gemm_batched_kernelI19rocblas_complex_numIdELi16ELi16ELi64ELi64ELi4ELi64ELi4ELi4ELi64ELc84ELc67EKPKS2_S5_KPS2_EEvlllT_PT11_llSA_llS8_PT12_llPT13_lli.num_vgpr, 138
	.set _ZN12_GLOBAL__N_127rocblas_gemm_batched_kernelI19rocblas_complex_numIdELi16ELi16ELi64ELi64ELi4ELi64ELi4ELi4ELi64ELc84ELc67EKPKS2_S5_KPS2_EEvlllT_PT11_llSA_llS8_PT12_llPT13_lli.num_agpr, 0
	.set _ZN12_GLOBAL__N_127rocblas_gemm_batched_kernelI19rocblas_complex_numIdELi16ELi16ELi64ELi64ELi4ELi64ELi4ELi4ELi64ELc84ELc67EKPKS2_S5_KPS2_EEvlllT_PT11_llSA_llS8_PT12_llPT13_lli.numbered_sgpr, 52
	.set _ZN12_GLOBAL__N_127rocblas_gemm_batched_kernelI19rocblas_complex_numIdELi16ELi16ELi64ELi64ELi4ELi64ELi4ELi4ELi64ELc84ELc67EKPKS2_S5_KPS2_EEvlllT_PT11_llSA_llS8_PT12_llPT13_lli.num_named_barrier, 0
	.set _ZN12_GLOBAL__N_127rocblas_gemm_batched_kernelI19rocblas_complex_numIdELi16ELi16ELi64ELi64ELi4ELi64ELi4ELi4ELi64ELc84ELc67EKPKS2_S5_KPS2_EEvlllT_PT11_llSA_llS8_PT12_llPT13_lli.private_seg_size, 0
	.set _ZN12_GLOBAL__N_127rocblas_gemm_batched_kernelI19rocblas_complex_numIdELi16ELi16ELi64ELi64ELi4ELi64ELi4ELi4ELi64ELc84ELc67EKPKS2_S5_KPS2_EEvlllT_PT11_llSA_llS8_PT12_llPT13_lli.uses_vcc, 1
	.set _ZN12_GLOBAL__N_127rocblas_gemm_batched_kernelI19rocblas_complex_numIdELi16ELi16ELi64ELi64ELi4ELi64ELi4ELi4ELi64ELc84ELc67EKPKS2_S5_KPS2_EEvlllT_PT11_llSA_llS8_PT12_llPT13_lli.uses_flat_scratch, 0
	.set _ZN12_GLOBAL__N_127rocblas_gemm_batched_kernelI19rocblas_complex_numIdELi16ELi16ELi64ELi64ELi4ELi64ELi4ELi4ELi64ELc84ELc67EKPKS2_S5_KPS2_EEvlllT_PT11_llSA_llS8_PT12_llPT13_lli.has_dyn_sized_stack, 0
	.set _ZN12_GLOBAL__N_127rocblas_gemm_batched_kernelI19rocblas_complex_numIdELi16ELi16ELi64ELi64ELi4ELi64ELi4ELi4ELi64ELc84ELc67EKPKS2_S5_KPS2_EEvlllT_PT11_llSA_llS8_PT12_llPT13_lli.has_recursion, 0
	.set _ZN12_GLOBAL__N_127rocblas_gemm_batched_kernelI19rocblas_complex_numIdELi16ELi16ELi64ELi64ELi4ELi64ELi4ELi4ELi64ELc84ELc67EKPKS2_S5_KPS2_EEvlllT_PT11_llSA_llS8_PT12_llPT13_lli.has_indirect_call, 0
	.section	.AMDGPU.csdata,"",@progbits
; Kernel info:
; codeLenInByte = 6468
; TotalNumSgprs: 58
; NumVgprs: 138
; NumAgprs: 0
; TotalNumVgprs: 138
; ScratchSize: 0
; MemoryBound: 0
; FloatMode: 240
; IeeeMode: 1
; LDSByteSize: 8192 bytes/workgroup (compile time only)
; SGPRBlocks: 7
; VGPRBlocks: 17
; NumSGPRsForWavesPerEU: 58
; NumVGPRsForWavesPerEU: 138
; AccumOffset: 140
; Occupancy: 3
; WaveLimiterHint : 1
; COMPUTE_PGM_RSRC2:SCRATCH_EN: 0
; COMPUTE_PGM_RSRC2:USER_SGPR: 2
; COMPUTE_PGM_RSRC2:TRAP_HANDLER: 0
; COMPUTE_PGM_RSRC2:TGID_X_EN: 1
; COMPUTE_PGM_RSRC2:TGID_Y_EN: 1
; COMPUTE_PGM_RSRC2:TGID_Z_EN: 1
; COMPUTE_PGM_RSRC2:TIDIG_COMP_CNT: 1
; COMPUTE_PGM_RSRC3_GFX90A:ACCUM_OFFSET: 34
; COMPUTE_PGM_RSRC3_GFX90A:TG_SPLIT: 0
	.section	.text._ZN12_GLOBAL__N_127rocblas_gemm_batched_kernelI19rocblas_complex_numIdELi16ELi16ELi32ELi32ELi8ELi32ELi8ELi8ELi32ELc78ELc78EKPKS2_S5_KPS2_EEvlllT_PT11_llSA_llS8_PT12_llPT13_lli,"axG",@progbits,_ZN12_GLOBAL__N_127rocblas_gemm_batched_kernelI19rocblas_complex_numIdELi16ELi16ELi32ELi32ELi8ELi32ELi8ELi8ELi32ELc78ELc78EKPKS2_S5_KPS2_EEvlllT_PT11_llSA_llS8_PT12_llPT13_lli,comdat
	.globl	_ZN12_GLOBAL__N_127rocblas_gemm_batched_kernelI19rocblas_complex_numIdELi16ELi16ELi32ELi32ELi8ELi32ELi8ELi8ELi32ELc78ELc78EKPKS2_S5_KPS2_EEvlllT_PT11_llSA_llS8_PT12_llPT13_lli ; -- Begin function _ZN12_GLOBAL__N_127rocblas_gemm_batched_kernelI19rocblas_complex_numIdELi16ELi16ELi32ELi32ELi8ELi32ELi8ELi8ELi32ELc78ELc78EKPKS2_S5_KPS2_EEvlllT_PT11_llSA_llS8_PT12_llPT13_lli
	.p2align	8
	.type	_ZN12_GLOBAL__N_127rocblas_gemm_batched_kernelI19rocblas_complex_numIdELi16ELi16ELi32ELi32ELi8ELi32ELi8ELi8ELi32ELc78ELc78EKPKS2_S5_KPS2_EEvlllT_PT11_llSA_llS8_PT12_llPT13_lli,@function
_ZN12_GLOBAL__N_127rocblas_gemm_batched_kernelI19rocblas_complex_numIdELi16ELi16ELi32ELi32ELi8ELi32ELi8ELi8ELi32ELc78ELc78EKPKS2_S5_KPS2_EEvlllT_PT11_llSA_llS8_PT12_llPT13_lli: ; @_ZN12_GLOBAL__N_127rocblas_gemm_batched_kernelI19rocblas_complex_numIdELi16ELi16ELi32ELi32ELi8ELi32ELi8ELi8ELi32ELc78ELc78EKPKS2_S5_KPS2_EEvlllT_PT11_llSA_llS8_PT12_llPT13_lli
; %bb.0:
	s_load_dwordx16 s[36:51], s[0:1], 0x10
	s_load_dwordx16 s[8:23], s[0:1], 0x50
	s_mov_b32 s5, 0
	s_lshl_b64 s[24:25], s[4:5], 3
	s_mov_b32 s26, s3
	v_mov_b32_e32 v3, 0
	s_waitcnt lgkmcnt(0)
	s_add_u32 s4, s14, s24
	s_addc_u32 s5, s15, s25
	s_add_u32 s6, s20, s24
	s_addc_u32 s7, s21, s25
	s_load_dwordx2 s[4:5], s[4:5], 0x0
	s_ashr_i32 s3, s2, 31
	s_load_dwordx2 s[6:7], s[6:7], 0x0
	s_ashr_i32 s27, s26, 31
	v_cmp_lt_i64_e64 s[20:21], s[36:37], 1
	v_bfe_u32 v2, v0, 10, 10
	v_and_b32_e32 v0, 0x3ff, v0
	v_mov_b32_e32 v1, v3
	s_lshl_b64 s[2:3], s[2:3], 5
	s_lshl_b64 s[14:15], s[26:27], 5
	s_and_b64 vcc, exec, s[20:21]
	s_cbranch_vccnz .LBB272_3
; %bb.1:
	v_lshl_add_u32 v10, v2, 4, v0
	v_lshrrev_b32_e32 v4, 3, v10
	v_mov_b32_e32 v5, v3
	v_and_b32_e32 v8, 31, v10
	v_lshl_add_u64 v[6:7], v[4:5], 0, s[14:15]
	v_and_b32_e32 v5, 7, v0
	v_lshrrev_b32_e32 v11, 5, v10
	v_lshlrev_b32_e32 v10, 4, v8
	s_add_u32 s20, s42, s24
	v_lshl_or_b32 v26, v11, 9, v10
	v_lshlrev_b32_e32 v10, 4, v5
	s_addc_u32 s21, s43, s25
	v_lshl_or_b32 v4, v4, 7, v10
	s_load_dwordx2 s[20:21], s[20:21], 0x0
	v_add_u32_e32 v27, 0x1000, v4
	v_mov_b32_e32 v4, 0x1000
	v_lshl_add_u32 v29, v2, 7, v4
	v_mov_b64_e32 v[4:5], s[2:3]
	v_mad_u64_u32 v[4:5], s[28:29], s44, v11, v[4:5]
	s_add_u32 s24, s48, s24
	v_mov_b32_e32 v12, v5
	s_addc_u32 s25, s49, s25
	s_lshl_b64 s[26:27], s[46:47], 4
	v_mad_u64_u32 v[12:13], s[28:29], s45, v11, v[12:13]
	s_load_dwordx2 s[24:25], s[24:25], 0x0
	v_mov_b32_e32 v9, v3
	v_mov_b32_e32 v5, v12
	s_waitcnt lgkmcnt(0)
	s_add_u32 s20, s20, s26
	v_lshl_add_u64 v[4:5], v[4:5], 0, v[8:9]
	s_addc_u32 s21, s21, s27
	v_mul_lo_u32 v8, s51, v6
	v_mul_lo_u32 v9, s50, v7
	v_mad_u64_u32 v[6:7], s[26:27], s50, v6, 0
	v_add3_u32 v7, v7, v9, v8
	s_lshl_b64 s[8:9], s[8:9], 4
	v_lshl_add_u64 v[6:7], v[6:7], 4, s[8:9]
	v_mov_b32_e32 v11, v3
	v_lshl_add_u64 v[6:7], v[6:7], 0, v[10:11]
	v_lshlrev_b32_e32 v28, 4, v0
	v_lshl_add_u64 v[4:5], v[4:5], 4, s[20:21]
	s_lshl_b64 s[20:21], s[44:45], 7
	v_lshl_add_u64 v[6:7], s[24:25], 0, v[6:7]
	s_mov_b64 s[8:9], 0
	v_mov_b64_e32 v[12:13], 0
	s_mov_b64 s[24:25], 0x80
	v_mov_b64_e32 v[8:9], s[36:37]
	v_mov_b64_e32 v[10:11], 0
	;; [unrolled: 1-line block ×8, first 2 shown]
.LBB272_2:                              ; =>This Inner Loop Header: Depth=1
	flat_load_dwordx4 v[30:33], v[4:5]
	s_add_u32 s8, s8, 8
	s_addc_u32 s9, s9, 0
	v_cmp_lt_i64_e32 vcc, s[8:9], v[8:9]
	v_lshl_add_u64 v[4:5], v[4:5], 0, s[20:21]
	s_and_b64 vcc, exec, vcc
	s_waitcnt vmcnt(0) lgkmcnt(0)
	ds_write2_b64 v26, v[30:31], v[32:33] offset1:1
	flat_load_dwordx4 v[30:33], v[6:7]
	v_lshl_add_u64 v[6:7], v[6:7], 0, s[24:25]
	s_waitcnt vmcnt(0) lgkmcnt(0)
	ds_write2_b64 v27, v[30:31], v[32:33] offset1:1
	s_waitcnt lgkmcnt(0)
	s_barrier
	ds_read_b128 v[30:33], v29
	ds_read_b128 v[34:37], v29 offset:16
	ds_read_b128 v[38:41], v29 offset:32
	;; [unrolled: 1-line block ×3, first 2 shown]
	ds_read_b128 v[46:49], v28
	s_waitcnt lgkmcnt(0)
	v_mul_f64 v[50:51], v[32:33], v[48:49]
	v_mul_f64 v[52:53], v[30:31], v[48:49]
	v_fma_f64 v[50:51], v[30:31], v[46:47], -v[50:51]
	v_fmac_f64_e32 v[52:53], v[32:33], v[46:47]
	v_add_f64 v[50:51], v[22:23], v[50:51]
	v_add_f64 v[52:53], v[52:53], v[24:25]
	ds_read_b128 v[22:25], v28 offset:256
	s_waitcnt lgkmcnt(0)
	v_mul_f64 v[54:55], v[32:33], v[24:25]
	v_fma_f64 v[54:55], v[30:31], v[22:23], -v[54:55]
	v_mul_f64 v[30:31], v[30:31], v[24:25]
	v_fmac_f64_e32 v[30:31], v[32:33], v[22:23]
	v_add_f64 v[32:33], v[14:15], v[54:55]
	v_add_f64 v[30:31], v[30:31], v[16:17]
	ds_read_b128 v[14:17], v29 offset:2048
	s_waitcnt lgkmcnt(0)
	v_mul_f64 v[54:55], v[16:17], v[48:49]
	v_fma_f64 v[54:55], v[14:15], v[46:47], -v[54:55]
	v_mul_f64 v[48:49], v[14:15], v[48:49]
	v_fmac_f64_e32 v[48:49], v[16:17], v[46:47]
	v_add_f64 v[46:47], v[18:19], v[54:55]
	v_mul_f64 v[18:19], v[16:17], v[24:25]
	v_fma_f64 v[18:19], v[14:15], v[22:23], -v[18:19]
	v_mul_f64 v[14:15], v[14:15], v[24:25]
	v_fmac_f64_e32 v[14:15], v[16:17], v[22:23]
	v_add_f64 v[22:23], v[10:11], v[18:19]
	v_add_f64 v[24:25], v[14:15], v[12:13]
	ds_read_b128 v[10:13], v28 offset:512
	v_add_f64 v[48:49], v[48:49], v[20:21]
	s_waitcnt lgkmcnt(0)
	v_mul_f64 v[14:15], v[36:37], v[12:13]
	v_mul_f64 v[16:17], v[34:35], v[12:13]
	v_fma_f64 v[14:15], v[34:35], v[10:11], -v[14:15]
	v_fmac_f64_e32 v[16:17], v[36:37], v[10:11]
	v_add_f64 v[50:51], v[50:51], v[14:15]
	v_add_f64 v[52:53], v[16:17], v[52:53]
	ds_read_b128 v[14:17], v28 offset:768
	s_waitcnt lgkmcnt(0)
	v_mul_f64 v[18:19], v[36:37], v[16:17]
	v_mul_f64 v[20:21], v[34:35], v[16:17]
	v_fma_f64 v[18:19], v[34:35], v[14:15], -v[18:19]
	v_fmac_f64_e32 v[20:21], v[36:37], v[14:15]
	v_add_f64 v[32:33], v[32:33], v[18:19]
	v_add_f64 v[30:31], v[20:21], v[30:31]
	ds_read_b128 v[18:21], v29 offset:2064
	s_waitcnt lgkmcnt(0)
	v_mul_f64 v[34:35], v[20:21], v[12:13]
	v_mul_f64 v[12:13], v[18:19], v[12:13]
	v_fmac_f64_e32 v[12:13], v[20:21], v[10:11]
	v_fma_f64 v[34:35], v[18:19], v[10:11], -v[34:35]
	v_add_f64 v[36:37], v[12:13], v[48:49]
	v_mul_f64 v[10:11], v[20:21], v[16:17]
	v_mul_f64 v[12:13], v[18:19], v[16:17]
	v_fma_f64 v[10:11], v[18:19], v[14:15], -v[10:11]
	v_fmac_f64_e32 v[12:13], v[20:21], v[14:15]
	v_add_f64 v[22:23], v[22:23], v[10:11]
	v_add_f64 v[24:25], v[12:13], v[24:25]
	ds_read_b128 v[10:13], v28 offset:1024
	v_add_f64 v[34:35], v[46:47], v[34:35]
	s_waitcnt lgkmcnt(0)
	v_mul_f64 v[14:15], v[40:41], v[12:13]
	v_mul_f64 v[16:17], v[38:39], v[12:13]
	v_fma_f64 v[14:15], v[38:39], v[10:11], -v[14:15]
	v_fmac_f64_e32 v[16:17], v[40:41], v[10:11]
	v_add_f64 v[46:47], v[50:51], v[14:15]
	v_add_f64 v[48:49], v[16:17], v[52:53]
	ds_read_b128 v[14:17], v28 offset:1280
	s_waitcnt lgkmcnt(0)
	v_mul_f64 v[18:19], v[40:41], v[16:17]
	v_mul_f64 v[20:21], v[38:39], v[16:17]
	v_fma_f64 v[18:19], v[38:39], v[14:15], -v[18:19]
	v_fmac_f64_e32 v[20:21], v[40:41], v[14:15]
	v_add_f64 v[32:33], v[32:33], v[18:19]
	v_add_f64 v[30:31], v[20:21], v[30:31]
	ds_read_b128 v[18:21], v29 offset:2080
	s_waitcnt lgkmcnt(0)
	v_mul_f64 v[38:39], v[20:21], v[12:13]
	v_mul_f64 v[12:13], v[18:19], v[12:13]
	v_fmac_f64_e32 v[12:13], v[20:21], v[10:11]
	v_fma_f64 v[38:39], v[18:19], v[10:11], -v[38:39]
	v_add_f64 v[36:37], v[12:13], v[36:37]
	v_mul_f64 v[10:11], v[20:21], v[16:17]
	v_mul_f64 v[12:13], v[18:19], v[16:17]
	v_fma_f64 v[10:11], v[18:19], v[14:15], -v[10:11]
	v_fmac_f64_e32 v[12:13], v[20:21], v[14:15]
	v_add_f64 v[22:23], v[22:23], v[10:11]
	v_add_f64 v[24:25], v[12:13], v[24:25]
	ds_read_b128 v[10:13], v28 offset:1536
	v_add_f64 v[34:35], v[34:35], v[38:39]
	s_waitcnt lgkmcnt(0)
	v_mul_f64 v[14:15], v[44:45], v[12:13]
	v_mul_f64 v[16:17], v[42:43], v[12:13]
	v_fma_f64 v[14:15], v[42:43], v[10:11], -v[14:15]
	v_fmac_f64_e32 v[16:17], v[44:45], v[10:11]
	v_add_f64 v[38:39], v[46:47], v[14:15]
	v_add_f64 v[40:41], v[16:17], v[48:49]
	ds_read_b128 v[14:17], v28 offset:1792
	s_waitcnt lgkmcnt(0)
	v_mul_f64 v[18:19], v[44:45], v[16:17]
	v_mul_f64 v[20:21], v[42:43], v[16:17]
	v_fma_f64 v[18:19], v[42:43], v[14:15], -v[18:19]
	v_fmac_f64_e32 v[20:21], v[44:45], v[14:15]
	v_add_f64 v[32:33], v[32:33], v[18:19]
	v_add_f64 v[30:31], v[20:21], v[30:31]
	ds_read_b128 v[18:21], v29 offset:2096
	s_waitcnt lgkmcnt(0)
	v_mul_f64 v[42:43], v[20:21], v[12:13]
	v_mul_f64 v[12:13], v[18:19], v[12:13]
	v_fmac_f64_e32 v[12:13], v[20:21], v[10:11]
	v_fma_f64 v[42:43], v[18:19], v[10:11], -v[42:43]
	v_add_f64 v[36:37], v[12:13], v[36:37]
	v_mul_f64 v[10:11], v[20:21], v[16:17]
	v_mul_f64 v[12:13], v[18:19], v[16:17]
	v_fma_f64 v[10:11], v[18:19], v[14:15], -v[10:11]
	v_fmac_f64_e32 v[12:13], v[20:21], v[14:15]
	v_add_f64 v[22:23], v[22:23], v[10:11]
	v_add_f64 v[24:25], v[12:13], v[24:25]
	ds_read_b128 v[10:13], v29 offset:64
	ds_read_b128 v[14:17], v28 offset:2048
	v_add_f64 v[34:35], v[34:35], v[42:43]
	s_waitcnt lgkmcnt(0)
	v_mul_f64 v[18:19], v[12:13], v[16:17]
	v_mul_f64 v[20:21], v[10:11], v[16:17]
	v_fma_f64 v[18:19], v[10:11], v[14:15], -v[18:19]
	v_fmac_f64_e32 v[20:21], v[12:13], v[14:15]
	v_add_f64 v[38:39], v[38:39], v[18:19]
	v_add_f64 v[40:41], v[20:21], v[40:41]
	ds_read_b128 v[18:21], v28 offset:2304
	s_waitcnt lgkmcnt(0)
	v_mul_f64 v[42:43], v[12:13], v[20:21]
	v_fma_f64 v[42:43], v[10:11], v[18:19], -v[42:43]
	v_mul_f64 v[10:11], v[10:11], v[20:21]
	v_fmac_f64_e32 v[10:11], v[12:13], v[18:19]
	v_add_f64 v[30:31], v[10:11], v[30:31]
	ds_read_b128 v[10:13], v29 offset:2112
	v_add_f64 v[32:33], v[32:33], v[42:43]
	s_waitcnt lgkmcnt(0)
	v_mul_f64 v[42:43], v[12:13], v[16:17]
	v_mul_f64 v[16:17], v[10:11], v[16:17]
	v_fma_f64 v[42:43], v[10:11], v[14:15], -v[42:43]
	v_fmac_f64_e32 v[16:17], v[12:13], v[14:15]
	v_mul_f64 v[14:15], v[12:13], v[20:21]
	v_fma_f64 v[14:15], v[10:11], v[18:19], -v[14:15]
	v_mul_f64 v[10:11], v[10:11], v[20:21]
	v_fmac_f64_e32 v[10:11], v[12:13], v[18:19]
	v_add_f64 v[36:37], v[16:17], v[36:37]
	v_add_f64 v[22:23], v[22:23], v[14:15]
	v_add_f64 v[24:25], v[10:11], v[24:25]
	ds_read_b128 v[10:13], v29 offset:80
	ds_read_b128 v[14:17], v28 offset:2560
	v_add_f64 v[34:35], v[34:35], v[42:43]
	s_waitcnt lgkmcnt(0)
	v_mul_f64 v[18:19], v[12:13], v[16:17]
	v_mul_f64 v[20:21], v[10:11], v[16:17]
	v_fma_f64 v[18:19], v[10:11], v[14:15], -v[18:19]
	v_fmac_f64_e32 v[20:21], v[12:13], v[14:15]
	v_add_f64 v[38:39], v[38:39], v[18:19]
	v_add_f64 v[40:41], v[20:21], v[40:41]
	ds_read_b128 v[18:21], v28 offset:2816
	s_waitcnt lgkmcnt(0)
	v_mul_f64 v[42:43], v[12:13], v[20:21]
	v_fma_f64 v[42:43], v[10:11], v[18:19], -v[42:43]
	v_mul_f64 v[10:11], v[10:11], v[20:21]
	v_fmac_f64_e32 v[10:11], v[12:13], v[18:19]
	v_add_f64 v[30:31], v[10:11], v[30:31]
	ds_read_b128 v[10:13], v29 offset:2128
	v_add_f64 v[32:33], v[32:33], v[42:43]
	s_waitcnt lgkmcnt(0)
	v_mul_f64 v[42:43], v[12:13], v[16:17]
	v_mul_f64 v[16:17], v[10:11], v[16:17]
	v_fma_f64 v[42:43], v[10:11], v[14:15], -v[42:43]
	v_fmac_f64_e32 v[16:17], v[12:13], v[14:15]
	v_mul_f64 v[14:15], v[12:13], v[20:21]
	v_fma_f64 v[14:15], v[10:11], v[18:19], -v[14:15]
	v_mul_f64 v[10:11], v[10:11], v[20:21]
	v_fmac_f64_e32 v[10:11], v[12:13], v[18:19]
	v_add_f64 v[36:37], v[16:17], v[36:37]
	;; [unrolled: 31-line block ×3, first 2 shown]
	ds_read_b128 v[10:13], v29 offset:112
	ds_read_b128 v[18:21], v28 offset:3584
	v_add_f64 v[34:35], v[34:35], v[30:31]
	ds_read_b128 v[30:33], v28 offset:3840
	v_add_f64 v[46:47], v[22:23], v[14:15]
	v_add_f64 v[36:37], v[16:17], v[36:37]
	s_waitcnt lgkmcnt(1)
	v_mul_f64 v[14:15], v[12:13], v[20:21]
	v_fma_f64 v[14:15], v[10:11], v[18:19], -v[14:15]
	v_add_f64 v[22:23], v[38:39], v[14:15]
	s_waitcnt lgkmcnt(0)
	v_mul_f64 v[14:15], v[12:13], v[32:33]
	v_mul_f64 v[16:17], v[10:11], v[20:21]
	v_fma_f64 v[14:15], v[10:11], v[30:31], -v[14:15]
	v_mul_f64 v[10:11], v[10:11], v[32:33]
	v_fmac_f64_e32 v[16:17], v[12:13], v[18:19]
	v_fmac_f64_e32 v[10:11], v[12:13], v[30:31]
	v_add_f64 v[24:25], v[16:17], v[40:41]
	v_add_f64 v[16:17], v[10:11], v[44:45]
	ds_read_b128 v[10:13], v29 offset:2160
	v_add_f64 v[14:15], v[42:43], v[14:15]
	s_waitcnt lgkmcnt(0)
	s_barrier
	v_mul_f64 v[38:39], v[12:13], v[20:21]
	v_fma_f64 v[38:39], v[10:11], v[18:19], -v[38:39]
	v_mul_f64 v[20:21], v[10:11], v[20:21]
	v_fmac_f64_e32 v[20:21], v[12:13], v[18:19]
	v_add_f64 v[18:19], v[34:35], v[38:39]
	v_mul_f64 v[34:35], v[12:13], v[32:33]
	v_mul_f64 v[32:33], v[10:11], v[32:33]
	v_fma_f64 v[34:35], v[10:11], v[30:31], -v[34:35]
	v_fmac_f64_e32 v[32:33], v[12:13], v[30:31]
	v_add_f64 v[20:21], v[20:21], v[36:37]
	v_add_f64 v[10:11], v[46:47], v[34:35]
	;; [unrolled: 1-line block ×3, first 2 shown]
	s_cbranch_vccnz .LBB272_2
	s_branch .LBB272_4
.LBB272_3:
	v_mov_b64_e32 v[22:23], 0
	v_mov_b64_e32 v[24:25], 0
	;; [unrolled: 1-line block ×8, first 2 shown]
.LBB272_4:
	s_load_dwordx2 s[0:1], s[0:1], 0x90
	v_lshl_add_u64 v[2:3], s[14:15], 0, v[2:3]
	v_cmp_neq_f64_e64 s[14:15], s[10:11], 0
	v_cmp_neq_f64_e64 s[20:21], s[12:13], 0
	s_mov_b64 s[8:9], 0
	s_waitcnt lgkmcnt(0)
	s_lshl_b64 s[0:1], s[0:1], 4
	s_add_u32 s0, s6, s0
	s_addc_u32 s1, s7, s1
	s_or_b64 s[6:7], s[14:15], s[20:21]
	v_lshl_add_u64 v[0:1], s[2:3], 0, v[0:1]
	s_and_b64 vcc, exec, s[6:7]
	s_cbranch_vccnz .LBB272_6
; %bb.5:
	v_mul_lo_u32 v6, v3, s22
	v_mul_lo_u32 v7, v2, s23
	v_mad_u64_u32 v[4:5], s[2:3], v2, s22, 0
	v_add3_u32 v5, v5, v7, v6
	v_lshl_add_u64 v[8:9], v[4:5], 4, s[0:1]
	v_mul_f64 v[4:5], s[40:41], v[24:25]
	v_mul_f64 v[6:7], s[38:39], v[24:25]
	v_lshlrev_b64 v[26:27], 4, v[0:1]
	v_fma_f64 v[4:5], s[38:39], v[22:23], -v[4:5]
	v_fmac_f64_e32 v[6:7], s[40:41], v[22:23]
	v_lshl_add_u64 v[28:29], v[8:9], 0, v[26:27]
	flat_store_dwordx4 v[28:29], v[4:7]
	s_lshl_b64 s[2:3], s[22:23], 8
	v_lshl_add_u64 v[8:9], v[8:9], 0, s[2:3]
	v_mul_f64 v[4:5], s[40:41], v[16:17]
	v_mul_f64 v[6:7], s[38:39], v[16:17]
	v_fma_f64 v[4:5], s[38:39], v[14:15], -v[4:5]
	v_fmac_f64_e32 v[6:7], s[40:41], v[14:15]
	flat_store_dwordx4 v[28:29], v[4:7] offset:256
	v_lshl_add_u64 v[8:9], v[8:9], 0, v[26:27]
	s_mov_b64 s[2:3], 0x100
	v_mul_f64 v[4:5], s[40:41], v[20:21]
	v_mul_f64 v[6:7], s[38:39], v[20:21]
	v_fma_f64 v[4:5], s[38:39], v[18:19], -v[4:5]
	v_fmac_f64_e32 v[6:7], s[40:41], v[18:19]
	flat_store_dwordx4 v[8:9], v[4:7]
	s_nop 1
	v_mul_f64 v[4:5], s[40:41], v[12:13]
	v_fma_f64 v[26:27], s[38:39], v[10:11], -v[4:5]
	v_mul_f64 v[4:5], s[38:39], v[12:13]
	v_fmac_f64_e32 v[4:5], s[40:41], v[10:11]
	v_lshl_add_u64 v[6:7], v[8:9], 0, s[2:3]
	flat_store_dwordx2 v[8:9], v[26:27] offset:256
	s_andn2_b64 vcc, exec, s[8:9]
	s_cbranch_vccz .LBB272_7
	s_branch .LBB272_8
.LBB272_6:
                                        ; implicit-def: $vgpr4_vgpr5
                                        ; implicit-def: $vgpr6_vgpr7
.LBB272_7:
	s_lshl_b64 s[2:3], s[18:19], 4
	s_add_u32 s2, s4, s2
	s_addc_u32 s3, s5, s3
	v_mul_lo_u32 v6, v3, s16
	v_mul_lo_u32 v7, v2, s17
	v_mad_u64_u32 v[4:5], s[4:5], v2, s16, 0
	v_add3_u32 v5, v5, v7, v6
	v_lshl_add_u64 v[8:9], v[4:5], 4, s[2:3]
	v_lshlrev_b64 v[26:27], 4, v[0:1]
	v_lshl_add_u64 v[28:29], v[8:9], 0, v[26:27]
	flat_load_dwordx4 v[4:7], v[28:29]
	v_mul_lo_u32 v30, v3, s22
	v_mul_lo_u32 v31, v2, s23
	v_mad_u64_u32 v[0:1], s[2:3], v2, s22, 0
	v_mul_f64 v[2:3], s[40:41], v[24:25]
	v_mul_f64 v[24:25], s[38:39], v[24:25]
	v_add3_u32 v1, v1, v31, v30
	v_fma_f64 v[2:3], s[38:39], v[22:23], -v[2:3]
	v_fmac_f64_e32 v[24:25], s[40:41], v[22:23]
	v_lshl_add_u64 v[22:23], v[0:1], 4, s[0:1]
	v_lshl_add_u64 v[30:31], v[22:23], 0, v[26:27]
	s_lshl_b64 s[0:1], s[16:17], 8
	v_lshl_add_u64 v[8:9], v[8:9], 0, s[0:1]
	v_lshl_add_u64 v[8:9], v[8:9], 0, v[26:27]
	s_lshl_b64 s[0:1], s[22:23], 8
	s_waitcnt vmcnt(0) lgkmcnt(0)
	v_mul_f64 v[0:1], s[12:13], v[6:7]
	v_mul_f64 v[6:7], s[10:11], v[6:7]
	v_fma_f64 v[0:1], s[10:11], v[4:5], -v[0:1]
	v_fmac_f64_e32 v[6:7], s[12:13], v[4:5]
	v_add_f64 v[0:1], v[2:3], v[0:1]
	v_add_f64 v[2:3], v[24:25], v[6:7]
	flat_store_dwordx4 v[30:31], v[0:3]
	flat_load_dwordx4 v[0:3], v[28:29] offset:256
	v_mul_f64 v[4:5], s[40:41], v[16:17]
	v_mul_f64 v[6:7], s[38:39], v[16:17]
	v_fma_f64 v[4:5], s[38:39], v[14:15], -v[4:5]
	v_fmac_f64_e32 v[6:7], s[40:41], v[14:15]
	s_waitcnt vmcnt(0) lgkmcnt(0)
	v_mul_f64 v[14:15], s[12:13], v[2:3]
	v_mul_f64 v[2:3], s[10:11], v[2:3]
	v_fma_f64 v[14:15], s[10:11], v[0:1], -v[14:15]
	v_fmac_f64_e32 v[2:3], s[12:13], v[0:1]
	v_add_f64 v[0:1], v[4:5], v[14:15]
	v_add_f64 v[2:3], v[6:7], v[2:3]
	flat_store_dwordx4 v[30:31], v[0:3] offset:256
	flat_load_dwordx4 v[0:3], v[8:9]
	v_mul_f64 v[4:5], s[40:41], v[20:21]
	v_mul_f64 v[6:7], s[38:39], v[20:21]
	v_fma_f64 v[4:5], s[38:39], v[18:19], -v[4:5]
	v_fmac_f64_e32 v[6:7], s[40:41], v[18:19]
	v_lshl_add_u64 v[14:15], v[22:23], 0, s[0:1]
	v_lshl_add_u64 v[14:15], v[14:15], 0, v[26:27]
	s_mov_b64 s[0:1], 0x100
	s_waitcnt vmcnt(0) lgkmcnt(0)
	v_mul_f64 v[16:17], s[12:13], v[2:3]
	v_mul_f64 v[2:3], s[10:11], v[2:3]
	v_fma_f64 v[16:17], s[10:11], v[0:1], -v[16:17]
	v_fmac_f64_e32 v[2:3], s[12:13], v[0:1]
	v_add_f64 v[0:1], v[4:5], v[16:17]
	v_add_f64 v[2:3], v[6:7], v[2:3]
	flat_store_dwordx4 v[14:15], v[0:3]
	flat_load_dwordx4 v[0:3], v[8:9] offset:256
	v_mul_f64 v[4:5], s[40:41], v[12:13]
	v_mul_f64 v[6:7], s[38:39], v[12:13]
	v_fma_f64 v[4:5], s[38:39], v[10:11], -v[4:5]
	v_fmac_f64_e32 v[6:7], s[40:41], v[10:11]
	s_waitcnt vmcnt(0) lgkmcnt(0)
	v_mul_f64 v[8:9], s[12:13], v[2:3]
	v_mul_f64 v[2:3], s[10:11], v[2:3]
	v_fma_f64 v[8:9], s[10:11], v[0:1], -v[8:9]
	v_fmac_f64_e32 v[2:3], s[12:13], v[0:1]
	v_add_f64 v[0:1], v[4:5], v[8:9]
	v_add_f64 v[4:5], v[6:7], v[2:3]
	v_lshl_add_u64 v[6:7], v[14:15], 0, s[0:1]
	flat_store_dwordx2 v[14:15], v[0:1] offset:256
.LBB272_8:
	flat_store_dwordx2 v[6:7], v[4:5] offset:8
	s_endpgm
	.section	.rodata,"a",@progbits
	.p2align	6, 0x0
	.amdhsa_kernel _ZN12_GLOBAL__N_127rocblas_gemm_batched_kernelI19rocblas_complex_numIdELi16ELi16ELi32ELi32ELi8ELi32ELi8ELi8ELi32ELc78ELc78EKPKS2_S5_KPS2_EEvlllT_PT11_llSA_llS8_PT12_llPT13_lli
		.amdhsa_group_segment_fixed_size 8192
		.amdhsa_private_segment_fixed_size 0
		.amdhsa_kernarg_size 156
		.amdhsa_user_sgpr_count 2
		.amdhsa_user_sgpr_dispatch_ptr 0
		.amdhsa_user_sgpr_queue_ptr 0
		.amdhsa_user_sgpr_kernarg_segment_ptr 1
		.amdhsa_user_sgpr_dispatch_id 0
		.amdhsa_user_sgpr_kernarg_preload_length 0
		.amdhsa_user_sgpr_kernarg_preload_offset 0
		.amdhsa_user_sgpr_private_segment_size 0
		.amdhsa_uses_dynamic_stack 0
		.amdhsa_enable_private_segment 0
		.amdhsa_system_sgpr_workgroup_id_x 1
		.amdhsa_system_sgpr_workgroup_id_y 1
		.amdhsa_system_sgpr_workgroup_id_z 1
		.amdhsa_system_sgpr_workgroup_info 0
		.amdhsa_system_vgpr_workitem_id 1
		.amdhsa_next_free_vgpr 56
		.amdhsa_next_free_sgpr 52
		.amdhsa_accum_offset 56
		.amdhsa_reserve_vcc 1
		.amdhsa_float_round_mode_32 0
		.amdhsa_float_round_mode_16_64 0
		.amdhsa_float_denorm_mode_32 3
		.amdhsa_float_denorm_mode_16_64 3
		.amdhsa_dx10_clamp 1
		.amdhsa_ieee_mode 1
		.amdhsa_fp16_overflow 0
		.amdhsa_tg_split 0
		.amdhsa_exception_fp_ieee_invalid_op 0
		.amdhsa_exception_fp_denorm_src 0
		.amdhsa_exception_fp_ieee_div_zero 0
		.amdhsa_exception_fp_ieee_overflow 0
		.amdhsa_exception_fp_ieee_underflow 0
		.amdhsa_exception_fp_ieee_inexact 0
		.amdhsa_exception_int_div_zero 0
	.end_amdhsa_kernel
	.section	.text._ZN12_GLOBAL__N_127rocblas_gemm_batched_kernelI19rocblas_complex_numIdELi16ELi16ELi32ELi32ELi8ELi32ELi8ELi8ELi32ELc78ELc78EKPKS2_S5_KPS2_EEvlllT_PT11_llSA_llS8_PT12_llPT13_lli,"axG",@progbits,_ZN12_GLOBAL__N_127rocblas_gemm_batched_kernelI19rocblas_complex_numIdELi16ELi16ELi32ELi32ELi8ELi32ELi8ELi8ELi32ELc78ELc78EKPKS2_S5_KPS2_EEvlllT_PT11_llSA_llS8_PT12_llPT13_lli,comdat
.Lfunc_end272:
	.size	_ZN12_GLOBAL__N_127rocblas_gemm_batched_kernelI19rocblas_complex_numIdELi16ELi16ELi32ELi32ELi8ELi32ELi8ELi8ELi32ELc78ELc78EKPKS2_S5_KPS2_EEvlllT_PT11_llSA_llS8_PT12_llPT13_lli, .Lfunc_end272-_ZN12_GLOBAL__N_127rocblas_gemm_batched_kernelI19rocblas_complex_numIdELi16ELi16ELi32ELi32ELi8ELi32ELi8ELi8ELi32ELc78ELc78EKPKS2_S5_KPS2_EEvlllT_PT11_llSA_llS8_PT12_llPT13_lli
                                        ; -- End function
	.set _ZN12_GLOBAL__N_127rocblas_gemm_batched_kernelI19rocblas_complex_numIdELi16ELi16ELi32ELi32ELi8ELi32ELi8ELi8ELi32ELc78ELc78EKPKS2_S5_KPS2_EEvlllT_PT11_llSA_llS8_PT12_llPT13_lli.num_vgpr, 56
	.set _ZN12_GLOBAL__N_127rocblas_gemm_batched_kernelI19rocblas_complex_numIdELi16ELi16ELi32ELi32ELi8ELi32ELi8ELi8ELi32ELc78ELc78EKPKS2_S5_KPS2_EEvlllT_PT11_llSA_llS8_PT12_llPT13_lli.num_agpr, 0
	.set _ZN12_GLOBAL__N_127rocblas_gemm_batched_kernelI19rocblas_complex_numIdELi16ELi16ELi32ELi32ELi8ELi32ELi8ELi8ELi32ELc78ELc78EKPKS2_S5_KPS2_EEvlllT_PT11_llSA_llS8_PT12_llPT13_lli.numbered_sgpr, 52
	.set _ZN12_GLOBAL__N_127rocblas_gemm_batched_kernelI19rocblas_complex_numIdELi16ELi16ELi32ELi32ELi8ELi32ELi8ELi8ELi32ELc78ELc78EKPKS2_S5_KPS2_EEvlllT_PT11_llSA_llS8_PT12_llPT13_lli.num_named_barrier, 0
	.set _ZN12_GLOBAL__N_127rocblas_gemm_batched_kernelI19rocblas_complex_numIdELi16ELi16ELi32ELi32ELi8ELi32ELi8ELi8ELi32ELc78ELc78EKPKS2_S5_KPS2_EEvlllT_PT11_llSA_llS8_PT12_llPT13_lli.private_seg_size, 0
	.set _ZN12_GLOBAL__N_127rocblas_gemm_batched_kernelI19rocblas_complex_numIdELi16ELi16ELi32ELi32ELi8ELi32ELi8ELi8ELi32ELc78ELc78EKPKS2_S5_KPS2_EEvlllT_PT11_llSA_llS8_PT12_llPT13_lli.uses_vcc, 1
	.set _ZN12_GLOBAL__N_127rocblas_gemm_batched_kernelI19rocblas_complex_numIdELi16ELi16ELi32ELi32ELi8ELi32ELi8ELi8ELi32ELc78ELc78EKPKS2_S5_KPS2_EEvlllT_PT11_llSA_llS8_PT12_llPT13_lli.uses_flat_scratch, 0
	.set _ZN12_GLOBAL__N_127rocblas_gemm_batched_kernelI19rocblas_complex_numIdELi16ELi16ELi32ELi32ELi8ELi32ELi8ELi8ELi32ELc78ELc78EKPKS2_S5_KPS2_EEvlllT_PT11_llSA_llS8_PT12_llPT13_lli.has_dyn_sized_stack, 0
	.set _ZN12_GLOBAL__N_127rocblas_gemm_batched_kernelI19rocblas_complex_numIdELi16ELi16ELi32ELi32ELi8ELi32ELi8ELi8ELi32ELc78ELc78EKPKS2_S5_KPS2_EEvlllT_PT11_llSA_llS8_PT12_llPT13_lli.has_recursion, 0
	.set _ZN12_GLOBAL__N_127rocblas_gemm_batched_kernelI19rocblas_complex_numIdELi16ELi16ELi32ELi32ELi8ELi32ELi8ELi8ELi32ELc78ELc78EKPKS2_S5_KPS2_EEvlllT_PT11_llSA_llS8_PT12_llPT13_lli.has_indirect_call, 0
	.section	.AMDGPU.csdata,"",@progbits
; Kernel info:
; codeLenInByte = 3180
; TotalNumSgprs: 58
; NumVgprs: 56
; NumAgprs: 0
; TotalNumVgprs: 56
; ScratchSize: 0
; MemoryBound: 0
; FloatMode: 240
; IeeeMode: 1
; LDSByteSize: 8192 bytes/workgroup (compile time only)
; SGPRBlocks: 7
; VGPRBlocks: 6
; NumSGPRsForWavesPerEU: 58
; NumVGPRsForWavesPerEU: 56
; AccumOffset: 56
; Occupancy: 8
; WaveLimiterHint : 1
; COMPUTE_PGM_RSRC2:SCRATCH_EN: 0
; COMPUTE_PGM_RSRC2:USER_SGPR: 2
; COMPUTE_PGM_RSRC2:TRAP_HANDLER: 0
; COMPUTE_PGM_RSRC2:TGID_X_EN: 1
; COMPUTE_PGM_RSRC2:TGID_Y_EN: 1
; COMPUTE_PGM_RSRC2:TGID_Z_EN: 1
; COMPUTE_PGM_RSRC2:TIDIG_COMP_CNT: 1
; COMPUTE_PGM_RSRC3_GFX90A:ACCUM_OFFSET: 13
; COMPUTE_PGM_RSRC3_GFX90A:TG_SPLIT: 0
	.section	.text._ZN12_GLOBAL__N_127rocblas_gemm_batched_kernelI19rocblas_complex_numIdELi16ELi16ELi32ELi32ELi8ELi32ELi8ELi8ELi32ELc84ELc78EKPKS2_S5_KPS2_EEvlllT_PT11_llSA_llS8_PT12_llPT13_lli,"axG",@progbits,_ZN12_GLOBAL__N_127rocblas_gemm_batched_kernelI19rocblas_complex_numIdELi16ELi16ELi32ELi32ELi8ELi32ELi8ELi8ELi32ELc84ELc78EKPKS2_S5_KPS2_EEvlllT_PT11_llSA_llS8_PT12_llPT13_lli,comdat
	.globl	_ZN12_GLOBAL__N_127rocblas_gemm_batched_kernelI19rocblas_complex_numIdELi16ELi16ELi32ELi32ELi8ELi32ELi8ELi8ELi32ELc84ELc78EKPKS2_S5_KPS2_EEvlllT_PT11_llSA_llS8_PT12_llPT13_lli ; -- Begin function _ZN12_GLOBAL__N_127rocblas_gemm_batched_kernelI19rocblas_complex_numIdELi16ELi16ELi32ELi32ELi8ELi32ELi8ELi8ELi32ELc84ELc78EKPKS2_S5_KPS2_EEvlllT_PT11_llSA_llS8_PT12_llPT13_lli
	.p2align	8
	.type	_ZN12_GLOBAL__N_127rocblas_gemm_batched_kernelI19rocblas_complex_numIdELi16ELi16ELi32ELi32ELi8ELi32ELi8ELi8ELi32ELc84ELc78EKPKS2_S5_KPS2_EEvlllT_PT11_llSA_llS8_PT12_llPT13_lli,@function
_ZN12_GLOBAL__N_127rocblas_gemm_batched_kernelI19rocblas_complex_numIdELi16ELi16ELi32ELi32ELi8ELi32ELi8ELi8ELi32ELc84ELc78EKPKS2_S5_KPS2_EEvlllT_PT11_llSA_llS8_PT12_llPT13_lli: ; @_ZN12_GLOBAL__N_127rocblas_gemm_batched_kernelI19rocblas_complex_numIdELi16ELi16ELi32ELi32ELi8ELi32ELi8ELi8ELi32ELc84ELc78EKPKS2_S5_KPS2_EEvlllT_PT11_llSA_llS8_PT12_llPT13_lli
; %bb.0:
	s_load_dwordx16 s[36:51], s[0:1], 0x10
	s_load_dwordx16 s[8:23], s[0:1], 0x50
	s_mov_b32 s5, 0
	s_lshl_b64 s[24:25], s[4:5], 3
	s_mov_b32 s26, s3
	v_mov_b32_e32 v3, 0
	s_waitcnt lgkmcnt(0)
	s_add_u32 s4, s14, s24
	s_addc_u32 s5, s15, s25
	s_add_u32 s6, s20, s24
	s_addc_u32 s7, s21, s25
	s_load_dwordx2 s[4:5], s[4:5], 0x0
	s_ashr_i32 s3, s2, 31
	s_load_dwordx2 s[6:7], s[6:7], 0x0
	s_ashr_i32 s27, s26, 31
	v_cmp_lt_i64_e64 s[20:21], s[36:37], 1
	v_bfe_u32 v2, v0, 10, 10
	v_and_b32_e32 v0, 0x3ff, v0
	v_mov_b32_e32 v1, v3
	s_lshl_b64 s[2:3], s[2:3], 5
	s_lshl_b64 s[14:15], s[26:27], 5
	s_and_b64 vcc, exec, s[20:21]
	s_cbranch_vccnz .LBB273_3
; %bb.1:
	v_lshl_add_u32 v10, v2, 4, v0
	v_lshrrev_b32_e32 v4, 3, v10
	v_mov_b32_e32 v5, v3
	v_and_b32_e32 v8, 31, v10
	v_lshl_add_u64 v[6:7], v[4:5], 0, s[14:15]
	v_and_b32_e32 v5, 7, v0
	v_lshrrev_b32_e32 v11, 5, v10
	v_lshlrev_b32_e32 v10, 4, v8
	v_lshl_or_b32 v26, v11, 9, v10
	v_lshlrev_b32_e32 v10, 4, v5
	s_add_u32 s20, s42, s24
	v_lshl_or_b32 v4, v4, 7, v10
	s_addc_u32 s21, s43, s25
	v_mov_b32_e32 v9, v3
	v_add_u32_e32 v27, 0x1000, v4
	v_mov_b32_e32 v4, 0x1000
	s_load_dwordx2 s[20:21], s[20:21], 0x0
	v_lshl_add_u32 v29, v2, 7, v4
	v_lshl_add_u64 v[4:5], s[2:3], 0, v[8:9]
	s_add_u32 s24, s48, s24
	v_mul_lo_u32 v8, s45, v4
	v_mul_lo_u32 v9, s44, v5
	v_mad_u64_u32 v[4:5], s[26:27], s44, v4, 0
	s_addc_u32 s25, s49, s25
	v_add3_u32 v5, v5, v9, v8
	s_lshl_b64 s[26:27], s[46:47], 4
	v_lshl_add_u64 v[4:5], v[4:5], 4, s[26:27]
	v_lshlrev_b32_e32 v8, 4, v11
	v_mov_b32_e32 v9, v3
	s_load_dwordx2 s[24:25], s[24:25], 0x0
	v_lshl_add_u64 v[4:5], v[4:5], 0, v[8:9]
	s_waitcnt lgkmcnt(0)
	v_lshl_add_u64 v[4:5], s[20:21], 0, v[4:5]
	v_mul_lo_u32 v8, s51, v6
	v_mul_lo_u32 v9, s50, v7
	v_mad_u64_u32 v[6:7], s[20:21], s50, v6, 0
	v_add3_u32 v7, v7, v9, v8
	s_lshl_b64 s[8:9], s[8:9], 4
	v_lshl_add_u64 v[6:7], v[6:7], 4, s[8:9]
	v_mov_b32_e32 v11, v3
	v_lshl_add_u64 v[6:7], v[6:7], 0, v[10:11]
	v_lshlrev_b32_e32 v28, 4, v0
	v_lshl_add_u64 v[6:7], s[24:25], 0, v[6:7]
	s_mov_b64 s[8:9], 0
	v_mov_b64_e32 v[12:13], 0
	s_mov_b64 s[20:21], 0x80
	v_mov_b64_e32 v[8:9], s[36:37]
	v_mov_b64_e32 v[10:11], 0
	;; [unrolled: 1-line block ×8, first 2 shown]
.LBB273_2:                              ; =>This Inner Loop Header: Depth=1
	flat_load_dwordx4 v[30:33], v[4:5]
	s_add_u32 s8, s8, 8
	s_addc_u32 s9, s9, 0
	v_cmp_lt_i64_e32 vcc, s[8:9], v[8:9]
	v_lshl_add_u64 v[4:5], v[4:5], 0, s[20:21]
	s_and_b64 vcc, exec, vcc
	s_waitcnt vmcnt(0) lgkmcnt(0)
	ds_write2_b64 v26, v[30:31], v[32:33] offset1:1
	flat_load_dwordx4 v[30:33], v[6:7]
	v_lshl_add_u64 v[6:7], v[6:7], 0, s[20:21]
	s_waitcnt vmcnt(0) lgkmcnt(0)
	ds_write2_b64 v27, v[30:31], v[32:33] offset1:1
	s_waitcnt lgkmcnt(0)
	s_barrier
	ds_read_b128 v[30:33], v29
	ds_read_b128 v[34:37], v29 offset:16
	ds_read_b128 v[38:41], v29 offset:32
	;; [unrolled: 1-line block ×3, first 2 shown]
	ds_read_b128 v[46:49], v28
	s_waitcnt lgkmcnt(0)
	v_mul_f64 v[50:51], v[32:33], v[48:49]
	v_mul_f64 v[52:53], v[30:31], v[48:49]
	v_fma_f64 v[50:51], v[30:31], v[46:47], -v[50:51]
	v_fmac_f64_e32 v[52:53], v[32:33], v[46:47]
	v_add_f64 v[50:51], v[22:23], v[50:51]
	v_add_f64 v[52:53], v[52:53], v[24:25]
	ds_read_b128 v[22:25], v28 offset:256
	s_waitcnt lgkmcnt(0)
	v_mul_f64 v[54:55], v[32:33], v[24:25]
	v_fma_f64 v[54:55], v[30:31], v[22:23], -v[54:55]
	v_mul_f64 v[30:31], v[30:31], v[24:25]
	v_fmac_f64_e32 v[30:31], v[32:33], v[22:23]
	v_add_f64 v[32:33], v[14:15], v[54:55]
	v_add_f64 v[30:31], v[30:31], v[16:17]
	ds_read_b128 v[14:17], v29 offset:2048
	s_waitcnt lgkmcnt(0)
	v_mul_f64 v[54:55], v[16:17], v[48:49]
	v_fma_f64 v[54:55], v[14:15], v[46:47], -v[54:55]
	v_mul_f64 v[48:49], v[14:15], v[48:49]
	v_fmac_f64_e32 v[48:49], v[16:17], v[46:47]
	v_add_f64 v[46:47], v[18:19], v[54:55]
	v_mul_f64 v[18:19], v[16:17], v[24:25]
	v_fma_f64 v[18:19], v[14:15], v[22:23], -v[18:19]
	v_mul_f64 v[14:15], v[14:15], v[24:25]
	v_fmac_f64_e32 v[14:15], v[16:17], v[22:23]
	v_add_f64 v[22:23], v[10:11], v[18:19]
	v_add_f64 v[24:25], v[14:15], v[12:13]
	ds_read_b128 v[10:13], v28 offset:512
	v_add_f64 v[48:49], v[48:49], v[20:21]
	s_waitcnt lgkmcnt(0)
	v_mul_f64 v[14:15], v[36:37], v[12:13]
	v_mul_f64 v[16:17], v[34:35], v[12:13]
	v_fma_f64 v[14:15], v[34:35], v[10:11], -v[14:15]
	v_fmac_f64_e32 v[16:17], v[36:37], v[10:11]
	v_add_f64 v[50:51], v[50:51], v[14:15]
	v_add_f64 v[52:53], v[16:17], v[52:53]
	ds_read_b128 v[14:17], v28 offset:768
	s_waitcnt lgkmcnt(0)
	v_mul_f64 v[18:19], v[36:37], v[16:17]
	v_mul_f64 v[20:21], v[34:35], v[16:17]
	v_fma_f64 v[18:19], v[34:35], v[14:15], -v[18:19]
	v_fmac_f64_e32 v[20:21], v[36:37], v[14:15]
	v_add_f64 v[32:33], v[32:33], v[18:19]
	v_add_f64 v[30:31], v[20:21], v[30:31]
	ds_read_b128 v[18:21], v29 offset:2064
	s_waitcnt lgkmcnt(0)
	v_mul_f64 v[34:35], v[20:21], v[12:13]
	v_mul_f64 v[12:13], v[18:19], v[12:13]
	v_fmac_f64_e32 v[12:13], v[20:21], v[10:11]
	v_fma_f64 v[34:35], v[18:19], v[10:11], -v[34:35]
	v_add_f64 v[36:37], v[12:13], v[48:49]
	v_mul_f64 v[10:11], v[20:21], v[16:17]
	v_mul_f64 v[12:13], v[18:19], v[16:17]
	v_fma_f64 v[10:11], v[18:19], v[14:15], -v[10:11]
	v_fmac_f64_e32 v[12:13], v[20:21], v[14:15]
	v_add_f64 v[22:23], v[22:23], v[10:11]
	v_add_f64 v[24:25], v[12:13], v[24:25]
	ds_read_b128 v[10:13], v28 offset:1024
	v_add_f64 v[34:35], v[46:47], v[34:35]
	s_waitcnt lgkmcnt(0)
	v_mul_f64 v[14:15], v[40:41], v[12:13]
	v_mul_f64 v[16:17], v[38:39], v[12:13]
	v_fma_f64 v[14:15], v[38:39], v[10:11], -v[14:15]
	v_fmac_f64_e32 v[16:17], v[40:41], v[10:11]
	v_add_f64 v[46:47], v[50:51], v[14:15]
	v_add_f64 v[48:49], v[16:17], v[52:53]
	ds_read_b128 v[14:17], v28 offset:1280
	s_waitcnt lgkmcnt(0)
	v_mul_f64 v[18:19], v[40:41], v[16:17]
	v_mul_f64 v[20:21], v[38:39], v[16:17]
	v_fma_f64 v[18:19], v[38:39], v[14:15], -v[18:19]
	v_fmac_f64_e32 v[20:21], v[40:41], v[14:15]
	v_add_f64 v[32:33], v[32:33], v[18:19]
	v_add_f64 v[30:31], v[20:21], v[30:31]
	ds_read_b128 v[18:21], v29 offset:2080
	s_waitcnt lgkmcnt(0)
	v_mul_f64 v[38:39], v[20:21], v[12:13]
	v_mul_f64 v[12:13], v[18:19], v[12:13]
	v_fmac_f64_e32 v[12:13], v[20:21], v[10:11]
	v_fma_f64 v[38:39], v[18:19], v[10:11], -v[38:39]
	v_add_f64 v[36:37], v[12:13], v[36:37]
	v_mul_f64 v[10:11], v[20:21], v[16:17]
	v_mul_f64 v[12:13], v[18:19], v[16:17]
	v_fma_f64 v[10:11], v[18:19], v[14:15], -v[10:11]
	;; [unrolled: 30-line block ×3, first 2 shown]
	v_fmac_f64_e32 v[12:13], v[20:21], v[14:15]
	v_add_f64 v[22:23], v[22:23], v[10:11]
	v_add_f64 v[24:25], v[12:13], v[24:25]
	ds_read_b128 v[10:13], v29 offset:64
	ds_read_b128 v[14:17], v28 offset:2048
	v_add_f64 v[34:35], v[34:35], v[42:43]
	s_waitcnt lgkmcnt(0)
	v_mul_f64 v[18:19], v[12:13], v[16:17]
	v_mul_f64 v[20:21], v[10:11], v[16:17]
	v_fma_f64 v[18:19], v[10:11], v[14:15], -v[18:19]
	v_fmac_f64_e32 v[20:21], v[12:13], v[14:15]
	v_add_f64 v[38:39], v[38:39], v[18:19]
	v_add_f64 v[40:41], v[20:21], v[40:41]
	ds_read_b128 v[18:21], v28 offset:2304
	s_waitcnt lgkmcnt(0)
	v_mul_f64 v[42:43], v[12:13], v[20:21]
	v_fma_f64 v[42:43], v[10:11], v[18:19], -v[42:43]
	v_mul_f64 v[10:11], v[10:11], v[20:21]
	v_fmac_f64_e32 v[10:11], v[12:13], v[18:19]
	v_add_f64 v[30:31], v[10:11], v[30:31]
	ds_read_b128 v[10:13], v29 offset:2112
	v_add_f64 v[32:33], v[32:33], v[42:43]
	s_waitcnt lgkmcnt(0)
	v_mul_f64 v[42:43], v[12:13], v[16:17]
	v_mul_f64 v[16:17], v[10:11], v[16:17]
	v_fma_f64 v[42:43], v[10:11], v[14:15], -v[42:43]
	v_fmac_f64_e32 v[16:17], v[12:13], v[14:15]
	v_mul_f64 v[14:15], v[12:13], v[20:21]
	v_fma_f64 v[14:15], v[10:11], v[18:19], -v[14:15]
	v_mul_f64 v[10:11], v[10:11], v[20:21]
	v_fmac_f64_e32 v[10:11], v[12:13], v[18:19]
	v_add_f64 v[36:37], v[16:17], v[36:37]
	v_add_f64 v[22:23], v[22:23], v[14:15]
	v_add_f64 v[24:25], v[10:11], v[24:25]
	ds_read_b128 v[10:13], v29 offset:80
	ds_read_b128 v[14:17], v28 offset:2560
	v_add_f64 v[34:35], v[34:35], v[42:43]
	s_waitcnt lgkmcnt(0)
	v_mul_f64 v[18:19], v[12:13], v[16:17]
	v_mul_f64 v[20:21], v[10:11], v[16:17]
	v_fma_f64 v[18:19], v[10:11], v[14:15], -v[18:19]
	v_fmac_f64_e32 v[20:21], v[12:13], v[14:15]
	v_add_f64 v[38:39], v[38:39], v[18:19]
	v_add_f64 v[40:41], v[20:21], v[40:41]
	ds_read_b128 v[18:21], v28 offset:2816
	s_waitcnt lgkmcnt(0)
	v_mul_f64 v[42:43], v[12:13], v[20:21]
	v_fma_f64 v[42:43], v[10:11], v[18:19], -v[42:43]
	v_mul_f64 v[10:11], v[10:11], v[20:21]
	v_fmac_f64_e32 v[10:11], v[12:13], v[18:19]
	v_add_f64 v[30:31], v[10:11], v[30:31]
	ds_read_b128 v[10:13], v29 offset:2128
	v_add_f64 v[32:33], v[32:33], v[42:43]
	s_waitcnt lgkmcnt(0)
	v_mul_f64 v[42:43], v[12:13], v[16:17]
	v_mul_f64 v[16:17], v[10:11], v[16:17]
	v_fma_f64 v[42:43], v[10:11], v[14:15], -v[42:43]
	v_fmac_f64_e32 v[16:17], v[12:13], v[14:15]
	v_mul_f64 v[14:15], v[12:13], v[20:21]
	v_fma_f64 v[14:15], v[10:11], v[18:19], -v[14:15]
	v_mul_f64 v[10:11], v[10:11], v[20:21]
	v_fmac_f64_e32 v[10:11], v[12:13], v[18:19]
	v_add_f64 v[36:37], v[16:17], v[36:37]
	;; [unrolled: 31-line block ×3, first 2 shown]
	ds_read_b128 v[10:13], v29 offset:112
	ds_read_b128 v[18:21], v28 offset:3584
	v_add_f64 v[34:35], v[34:35], v[30:31]
	ds_read_b128 v[30:33], v28 offset:3840
	v_add_f64 v[46:47], v[22:23], v[14:15]
	v_add_f64 v[36:37], v[16:17], v[36:37]
	s_waitcnt lgkmcnt(1)
	v_mul_f64 v[14:15], v[12:13], v[20:21]
	v_fma_f64 v[14:15], v[10:11], v[18:19], -v[14:15]
	v_add_f64 v[22:23], v[38:39], v[14:15]
	s_waitcnt lgkmcnt(0)
	v_mul_f64 v[14:15], v[12:13], v[32:33]
	v_mul_f64 v[16:17], v[10:11], v[20:21]
	v_fma_f64 v[14:15], v[10:11], v[30:31], -v[14:15]
	v_mul_f64 v[10:11], v[10:11], v[32:33]
	v_fmac_f64_e32 v[16:17], v[12:13], v[18:19]
	v_fmac_f64_e32 v[10:11], v[12:13], v[30:31]
	v_add_f64 v[24:25], v[16:17], v[40:41]
	v_add_f64 v[16:17], v[10:11], v[44:45]
	ds_read_b128 v[10:13], v29 offset:2160
	v_add_f64 v[14:15], v[42:43], v[14:15]
	s_waitcnt lgkmcnt(0)
	s_barrier
	v_mul_f64 v[38:39], v[12:13], v[20:21]
	v_fma_f64 v[38:39], v[10:11], v[18:19], -v[38:39]
	v_mul_f64 v[20:21], v[10:11], v[20:21]
	v_fmac_f64_e32 v[20:21], v[12:13], v[18:19]
	v_add_f64 v[18:19], v[34:35], v[38:39]
	v_mul_f64 v[34:35], v[12:13], v[32:33]
	v_mul_f64 v[32:33], v[10:11], v[32:33]
	v_fma_f64 v[34:35], v[10:11], v[30:31], -v[34:35]
	v_fmac_f64_e32 v[32:33], v[12:13], v[30:31]
	v_add_f64 v[20:21], v[20:21], v[36:37]
	v_add_f64 v[10:11], v[46:47], v[34:35]
	;; [unrolled: 1-line block ×3, first 2 shown]
	s_cbranch_vccnz .LBB273_2
	s_branch .LBB273_4
.LBB273_3:
	v_mov_b64_e32 v[22:23], 0
	v_mov_b64_e32 v[24:25], 0
	;; [unrolled: 1-line block ×8, first 2 shown]
.LBB273_4:
	s_load_dwordx2 s[0:1], s[0:1], 0x90
	v_lshl_add_u64 v[2:3], s[14:15], 0, v[2:3]
	v_cmp_neq_f64_e64 s[14:15], s[10:11], 0
	v_cmp_neq_f64_e64 s[20:21], s[12:13], 0
	s_mov_b64 s[8:9], 0
	s_waitcnt lgkmcnt(0)
	s_lshl_b64 s[0:1], s[0:1], 4
	s_add_u32 s0, s6, s0
	s_addc_u32 s1, s7, s1
	s_or_b64 s[6:7], s[14:15], s[20:21]
	v_lshl_add_u64 v[0:1], s[2:3], 0, v[0:1]
	s_and_b64 vcc, exec, s[6:7]
	s_cbranch_vccnz .LBB273_6
; %bb.5:
	v_mul_lo_u32 v6, v3, s22
	v_mul_lo_u32 v7, v2, s23
	v_mad_u64_u32 v[4:5], s[2:3], v2, s22, 0
	v_add3_u32 v5, v5, v7, v6
	v_lshl_add_u64 v[8:9], v[4:5], 4, s[0:1]
	v_mul_f64 v[4:5], s[40:41], v[24:25]
	v_mul_f64 v[6:7], s[38:39], v[24:25]
	v_lshlrev_b64 v[26:27], 4, v[0:1]
	v_fma_f64 v[4:5], s[38:39], v[22:23], -v[4:5]
	v_fmac_f64_e32 v[6:7], s[40:41], v[22:23]
	v_lshl_add_u64 v[28:29], v[8:9], 0, v[26:27]
	flat_store_dwordx4 v[28:29], v[4:7]
	s_lshl_b64 s[2:3], s[22:23], 8
	v_lshl_add_u64 v[8:9], v[8:9], 0, s[2:3]
	v_mul_f64 v[4:5], s[40:41], v[16:17]
	v_mul_f64 v[6:7], s[38:39], v[16:17]
	v_fma_f64 v[4:5], s[38:39], v[14:15], -v[4:5]
	v_fmac_f64_e32 v[6:7], s[40:41], v[14:15]
	flat_store_dwordx4 v[28:29], v[4:7] offset:256
	v_lshl_add_u64 v[8:9], v[8:9], 0, v[26:27]
	s_mov_b64 s[2:3], 0x100
	v_mul_f64 v[4:5], s[40:41], v[20:21]
	v_mul_f64 v[6:7], s[38:39], v[20:21]
	v_fma_f64 v[4:5], s[38:39], v[18:19], -v[4:5]
	v_fmac_f64_e32 v[6:7], s[40:41], v[18:19]
	flat_store_dwordx4 v[8:9], v[4:7]
	s_nop 1
	v_mul_f64 v[4:5], s[40:41], v[12:13]
	v_fma_f64 v[26:27], s[38:39], v[10:11], -v[4:5]
	v_mul_f64 v[4:5], s[38:39], v[12:13]
	v_fmac_f64_e32 v[4:5], s[40:41], v[10:11]
	v_lshl_add_u64 v[6:7], v[8:9], 0, s[2:3]
	flat_store_dwordx2 v[8:9], v[26:27] offset:256
	s_andn2_b64 vcc, exec, s[8:9]
	s_cbranch_vccz .LBB273_7
	s_branch .LBB273_8
.LBB273_6:
                                        ; implicit-def: $vgpr4_vgpr5
                                        ; implicit-def: $vgpr6_vgpr7
.LBB273_7:
	s_lshl_b64 s[2:3], s[18:19], 4
	s_add_u32 s2, s4, s2
	s_addc_u32 s3, s5, s3
	v_mul_lo_u32 v6, v3, s16
	v_mul_lo_u32 v7, v2, s17
	v_mad_u64_u32 v[4:5], s[4:5], v2, s16, 0
	v_add3_u32 v5, v5, v7, v6
	v_lshl_add_u64 v[8:9], v[4:5], 4, s[2:3]
	v_lshlrev_b64 v[26:27], 4, v[0:1]
	v_lshl_add_u64 v[28:29], v[8:9], 0, v[26:27]
	flat_load_dwordx4 v[4:7], v[28:29]
	v_mul_lo_u32 v30, v3, s22
	v_mul_lo_u32 v31, v2, s23
	v_mad_u64_u32 v[0:1], s[2:3], v2, s22, 0
	v_mul_f64 v[2:3], s[40:41], v[24:25]
	v_mul_f64 v[24:25], s[38:39], v[24:25]
	v_add3_u32 v1, v1, v31, v30
	v_fma_f64 v[2:3], s[38:39], v[22:23], -v[2:3]
	v_fmac_f64_e32 v[24:25], s[40:41], v[22:23]
	v_lshl_add_u64 v[22:23], v[0:1], 4, s[0:1]
	v_lshl_add_u64 v[30:31], v[22:23], 0, v[26:27]
	s_lshl_b64 s[0:1], s[16:17], 8
	v_lshl_add_u64 v[8:9], v[8:9], 0, s[0:1]
	v_lshl_add_u64 v[8:9], v[8:9], 0, v[26:27]
	s_lshl_b64 s[0:1], s[22:23], 8
	s_waitcnt vmcnt(0) lgkmcnt(0)
	v_mul_f64 v[0:1], s[12:13], v[6:7]
	v_mul_f64 v[6:7], s[10:11], v[6:7]
	v_fma_f64 v[0:1], s[10:11], v[4:5], -v[0:1]
	v_fmac_f64_e32 v[6:7], s[12:13], v[4:5]
	v_add_f64 v[0:1], v[2:3], v[0:1]
	v_add_f64 v[2:3], v[24:25], v[6:7]
	flat_store_dwordx4 v[30:31], v[0:3]
	flat_load_dwordx4 v[0:3], v[28:29] offset:256
	v_mul_f64 v[4:5], s[40:41], v[16:17]
	v_mul_f64 v[6:7], s[38:39], v[16:17]
	v_fma_f64 v[4:5], s[38:39], v[14:15], -v[4:5]
	v_fmac_f64_e32 v[6:7], s[40:41], v[14:15]
	s_waitcnt vmcnt(0) lgkmcnt(0)
	v_mul_f64 v[14:15], s[12:13], v[2:3]
	v_mul_f64 v[2:3], s[10:11], v[2:3]
	v_fma_f64 v[14:15], s[10:11], v[0:1], -v[14:15]
	v_fmac_f64_e32 v[2:3], s[12:13], v[0:1]
	v_add_f64 v[0:1], v[4:5], v[14:15]
	v_add_f64 v[2:3], v[6:7], v[2:3]
	flat_store_dwordx4 v[30:31], v[0:3] offset:256
	flat_load_dwordx4 v[0:3], v[8:9]
	v_mul_f64 v[4:5], s[40:41], v[20:21]
	v_mul_f64 v[6:7], s[38:39], v[20:21]
	v_fma_f64 v[4:5], s[38:39], v[18:19], -v[4:5]
	v_fmac_f64_e32 v[6:7], s[40:41], v[18:19]
	v_lshl_add_u64 v[14:15], v[22:23], 0, s[0:1]
	v_lshl_add_u64 v[14:15], v[14:15], 0, v[26:27]
	s_mov_b64 s[0:1], 0x100
	s_waitcnt vmcnt(0) lgkmcnt(0)
	v_mul_f64 v[16:17], s[12:13], v[2:3]
	v_mul_f64 v[2:3], s[10:11], v[2:3]
	v_fma_f64 v[16:17], s[10:11], v[0:1], -v[16:17]
	v_fmac_f64_e32 v[2:3], s[12:13], v[0:1]
	v_add_f64 v[0:1], v[4:5], v[16:17]
	v_add_f64 v[2:3], v[6:7], v[2:3]
	flat_store_dwordx4 v[14:15], v[0:3]
	flat_load_dwordx4 v[0:3], v[8:9] offset:256
	v_mul_f64 v[4:5], s[40:41], v[12:13]
	v_mul_f64 v[6:7], s[38:39], v[12:13]
	v_fma_f64 v[4:5], s[38:39], v[10:11], -v[4:5]
	v_fmac_f64_e32 v[6:7], s[40:41], v[10:11]
	s_waitcnt vmcnt(0) lgkmcnt(0)
	v_mul_f64 v[8:9], s[12:13], v[2:3]
	v_mul_f64 v[2:3], s[10:11], v[2:3]
	v_fma_f64 v[8:9], s[10:11], v[0:1], -v[8:9]
	v_fmac_f64_e32 v[2:3], s[12:13], v[0:1]
	v_add_f64 v[0:1], v[4:5], v[8:9]
	v_add_f64 v[4:5], v[6:7], v[2:3]
	v_lshl_add_u64 v[6:7], v[14:15], 0, s[0:1]
	flat_store_dwordx2 v[14:15], v[0:1] offset:256
.LBB273_8:
	flat_store_dwordx2 v[6:7], v[4:5] offset:8
	s_endpgm
	.section	.rodata,"a",@progbits
	.p2align	6, 0x0
	.amdhsa_kernel _ZN12_GLOBAL__N_127rocblas_gemm_batched_kernelI19rocblas_complex_numIdELi16ELi16ELi32ELi32ELi8ELi32ELi8ELi8ELi32ELc84ELc78EKPKS2_S5_KPS2_EEvlllT_PT11_llSA_llS8_PT12_llPT13_lli
		.amdhsa_group_segment_fixed_size 8192
		.amdhsa_private_segment_fixed_size 0
		.amdhsa_kernarg_size 156
		.amdhsa_user_sgpr_count 2
		.amdhsa_user_sgpr_dispatch_ptr 0
		.amdhsa_user_sgpr_queue_ptr 0
		.amdhsa_user_sgpr_kernarg_segment_ptr 1
		.amdhsa_user_sgpr_dispatch_id 0
		.amdhsa_user_sgpr_kernarg_preload_length 0
		.amdhsa_user_sgpr_kernarg_preload_offset 0
		.amdhsa_user_sgpr_private_segment_size 0
		.amdhsa_uses_dynamic_stack 0
		.amdhsa_enable_private_segment 0
		.amdhsa_system_sgpr_workgroup_id_x 1
		.amdhsa_system_sgpr_workgroup_id_y 1
		.amdhsa_system_sgpr_workgroup_id_z 1
		.amdhsa_system_sgpr_workgroup_info 0
		.amdhsa_system_vgpr_workitem_id 1
		.amdhsa_next_free_vgpr 56
		.amdhsa_next_free_sgpr 52
		.amdhsa_accum_offset 56
		.amdhsa_reserve_vcc 1
		.amdhsa_float_round_mode_32 0
		.amdhsa_float_round_mode_16_64 0
		.amdhsa_float_denorm_mode_32 3
		.amdhsa_float_denorm_mode_16_64 3
		.amdhsa_dx10_clamp 1
		.amdhsa_ieee_mode 1
		.amdhsa_fp16_overflow 0
		.amdhsa_tg_split 0
		.amdhsa_exception_fp_ieee_invalid_op 0
		.amdhsa_exception_fp_denorm_src 0
		.amdhsa_exception_fp_ieee_div_zero 0
		.amdhsa_exception_fp_ieee_overflow 0
		.amdhsa_exception_fp_ieee_underflow 0
		.amdhsa_exception_fp_ieee_inexact 0
		.amdhsa_exception_int_div_zero 0
	.end_amdhsa_kernel
	.section	.text._ZN12_GLOBAL__N_127rocblas_gemm_batched_kernelI19rocblas_complex_numIdELi16ELi16ELi32ELi32ELi8ELi32ELi8ELi8ELi32ELc84ELc78EKPKS2_S5_KPS2_EEvlllT_PT11_llSA_llS8_PT12_llPT13_lli,"axG",@progbits,_ZN12_GLOBAL__N_127rocblas_gemm_batched_kernelI19rocblas_complex_numIdELi16ELi16ELi32ELi32ELi8ELi32ELi8ELi8ELi32ELc84ELc78EKPKS2_S5_KPS2_EEvlllT_PT11_llSA_llS8_PT12_llPT13_lli,comdat
.Lfunc_end273:
	.size	_ZN12_GLOBAL__N_127rocblas_gemm_batched_kernelI19rocblas_complex_numIdELi16ELi16ELi32ELi32ELi8ELi32ELi8ELi8ELi32ELc84ELc78EKPKS2_S5_KPS2_EEvlllT_PT11_llSA_llS8_PT12_llPT13_lli, .Lfunc_end273-_ZN12_GLOBAL__N_127rocblas_gemm_batched_kernelI19rocblas_complex_numIdELi16ELi16ELi32ELi32ELi8ELi32ELi8ELi8ELi32ELc84ELc78EKPKS2_S5_KPS2_EEvlllT_PT11_llSA_llS8_PT12_llPT13_lli
                                        ; -- End function
	.set _ZN12_GLOBAL__N_127rocblas_gemm_batched_kernelI19rocblas_complex_numIdELi16ELi16ELi32ELi32ELi8ELi32ELi8ELi8ELi32ELc84ELc78EKPKS2_S5_KPS2_EEvlllT_PT11_llSA_llS8_PT12_llPT13_lli.num_vgpr, 56
	.set _ZN12_GLOBAL__N_127rocblas_gemm_batched_kernelI19rocblas_complex_numIdELi16ELi16ELi32ELi32ELi8ELi32ELi8ELi8ELi32ELc84ELc78EKPKS2_S5_KPS2_EEvlllT_PT11_llSA_llS8_PT12_llPT13_lli.num_agpr, 0
	.set _ZN12_GLOBAL__N_127rocblas_gemm_batched_kernelI19rocblas_complex_numIdELi16ELi16ELi32ELi32ELi8ELi32ELi8ELi8ELi32ELc84ELc78EKPKS2_S5_KPS2_EEvlllT_PT11_llSA_llS8_PT12_llPT13_lli.numbered_sgpr, 52
	.set _ZN12_GLOBAL__N_127rocblas_gemm_batched_kernelI19rocblas_complex_numIdELi16ELi16ELi32ELi32ELi8ELi32ELi8ELi8ELi32ELc84ELc78EKPKS2_S5_KPS2_EEvlllT_PT11_llSA_llS8_PT12_llPT13_lli.num_named_barrier, 0
	.set _ZN12_GLOBAL__N_127rocblas_gemm_batched_kernelI19rocblas_complex_numIdELi16ELi16ELi32ELi32ELi8ELi32ELi8ELi8ELi32ELc84ELc78EKPKS2_S5_KPS2_EEvlllT_PT11_llSA_llS8_PT12_llPT13_lli.private_seg_size, 0
	.set _ZN12_GLOBAL__N_127rocblas_gemm_batched_kernelI19rocblas_complex_numIdELi16ELi16ELi32ELi32ELi8ELi32ELi8ELi8ELi32ELc84ELc78EKPKS2_S5_KPS2_EEvlllT_PT11_llSA_llS8_PT12_llPT13_lli.uses_vcc, 1
	.set _ZN12_GLOBAL__N_127rocblas_gemm_batched_kernelI19rocblas_complex_numIdELi16ELi16ELi32ELi32ELi8ELi32ELi8ELi8ELi32ELc84ELc78EKPKS2_S5_KPS2_EEvlllT_PT11_llSA_llS8_PT12_llPT13_lli.uses_flat_scratch, 0
	.set _ZN12_GLOBAL__N_127rocblas_gemm_batched_kernelI19rocblas_complex_numIdELi16ELi16ELi32ELi32ELi8ELi32ELi8ELi8ELi32ELc84ELc78EKPKS2_S5_KPS2_EEvlllT_PT11_llSA_llS8_PT12_llPT13_lli.has_dyn_sized_stack, 0
	.set _ZN12_GLOBAL__N_127rocblas_gemm_batched_kernelI19rocblas_complex_numIdELi16ELi16ELi32ELi32ELi8ELi32ELi8ELi8ELi32ELc84ELc78EKPKS2_S5_KPS2_EEvlllT_PT11_llSA_llS8_PT12_llPT13_lli.has_recursion, 0
	.set _ZN12_GLOBAL__N_127rocblas_gemm_batched_kernelI19rocblas_complex_numIdELi16ELi16ELi32ELi32ELi8ELi32ELi8ELi8ELi32ELc84ELc78EKPKS2_S5_KPS2_EEvlllT_PT11_llSA_llS8_PT12_llPT13_lli.has_indirect_call, 0
	.section	.AMDGPU.csdata,"",@progbits
; Kernel info:
; codeLenInByte = 3196
; TotalNumSgprs: 58
; NumVgprs: 56
; NumAgprs: 0
; TotalNumVgprs: 56
; ScratchSize: 0
; MemoryBound: 0
; FloatMode: 240
; IeeeMode: 1
; LDSByteSize: 8192 bytes/workgroup (compile time only)
; SGPRBlocks: 7
; VGPRBlocks: 6
; NumSGPRsForWavesPerEU: 58
; NumVGPRsForWavesPerEU: 56
; AccumOffset: 56
; Occupancy: 8
; WaveLimiterHint : 1
; COMPUTE_PGM_RSRC2:SCRATCH_EN: 0
; COMPUTE_PGM_RSRC2:USER_SGPR: 2
; COMPUTE_PGM_RSRC2:TRAP_HANDLER: 0
; COMPUTE_PGM_RSRC2:TGID_X_EN: 1
; COMPUTE_PGM_RSRC2:TGID_Y_EN: 1
; COMPUTE_PGM_RSRC2:TGID_Z_EN: 1
; COMPUTE_PGM_RSRC2:TIDIG_COMP_CNT: 1
; COMPUTE_PGM_RSRC3_GFX90A:ACCUM_OFFSET: 13
; COMPUTE_PGM_RSRC3_GFX90A:TG_SPLIT: 0
	.section	.text._ZN12_GLOBAL__N_127rocblas_gemm_batched_kernelI19rocblas_complex_numIdELi16ELi16ELi32ELi32ELi8ELi32ELi8ELi8ELi32ELc78ELc84EKPKS2_S5_KPS2_EEvlllT_PT11_llSA_llS8_PT12_llPT13_lli,"axG",@progbits,_ZN12_GLOBAL__N_127rocblas_gemm_batched_kernelI19rocblas_complex_numIdELi16ELi16ELi32ELi32ELi8ELi32ELi8ELi8ELi32ELc78ELc84EKPKS2_S5_KPS2_EEvlllT_PT11_llSA_llS8_PT12_llPT13_lli,comdat
	.globl	_ZN12_GLOBAL__N_127rocblas_gemm_batched_kernelI19rocblas_complex_numIdELi16ELi16ELi32ELi32ELi8ELi32ELi8ELi8ELi32ELc78ELc84EKPKS2_S5_KPS2_EEvlllT_PT11_llSA_llS8_PT12_llPT13_lli ; -- Begin function _ZN12_GLOBAL__N_127rocblas_gemm_batched_kernelI19rocblas_complex_numIdELi16ELi16ELi32ELi32ELi8ELi32ELi8ELi8ELi32ELc78ELc84EKPKS2_S5_KPS2_EEvlllT_PT11_llSA_llS8_PT12_llPT13_lli
	.p2align	8
	.type	_ZN12_GLOBAL__N_127rocblas_gemm_batched_kernelI19rocblas_complex_numIdELi16ELi16ELi32ELi32ELi8ELi32ELi8ELi8ELi32ELc78ELc84EKPKS2_S5_KPS2_EEvlllT_PT11_llSA_llS8_PT12_llPT13_lli,@function
_ZN12_GLOBAL__N_127rocblas_gemm_batched_kernelI19rocblas_complex_numIdELi16ELi16ELi32ELi32ELi8ELi32ELi8ELi8ELi32ELc78ELc84EKPKS2_S5_KPS2_EEvlllT_PT11_llSA_llS8_PT12_llPT13_lli: ; @_ZN12_GLOBAL__N_127rocblas_gemm_batched_kernelI19rocblas_complex_numIdELi16ELi16ELi32ELi32ELi8ELi32ELi8ELi8ELi32ELc78ELc84EKPKS2_S5_KPS2_EEvlllT_PT11_llSA_llS8_PT12_llPT13_lli
; %bb.0:
	s_load_dwordx16 s[36:51], s[0:1], 0x10
	s_load_dwordx16 s[8:23], s[0:1], 0x50
	s_mov_b32 s5, 0
	s_lshl_b64 s[24:25], s[4:5], 3
	s_mov_b32 s26, s3
	v_mov_b32_e32 v3, 0
	s_waitcnt lgkmcnt(0)
	s_add_u32 s4, s14, s24
	s_addc_u32 s5, s15, s25
	s_add_u32 s6, s20, s24
	s_addc_u32 s7, s21, s25
	s_load_dwordx2 s[4:5], s[4:5], 0x0
	s_ashr_i32 s3, s2, 31
	s_load_dwordx2 s[6:7], s[6:7], 0x0
	s_ashr_i32 s27, s26, 31
	v_cmp_lt_i64_e64 s[20:21], s[36:37], 1
	v_bfe_u32 v2, v0, 10, 10
	v_and_b32_e32 v0, 0x3ff, v0
	v_mov_b32_e32 v1, v3
	s_lshl_b64 s[2:3], s[2:3], 5
	s_lshl_b64 s[14:15], s[26:27], 5
	s_and_b64 vcc, exec, s[20:21]
	s_cbranch_vccnz .LBB274_3
; %bb.1:
	v_lshl_add_u32 v10, v2, 4, v0
	v_lshrrev_b32_e32 v4, 3, v10
	v_mov_b32_e32 v5, v3
	v_lshl_add_u64 v[6:7], v[4:5], 0, s[14:15]
	v_and_b32_e32 v5, 7, v0
	v_mad_u64_u32 v[6:7], s[26:27], s50, v5, v[6:7]
	v_mov_b32_e32 v8, v7
	s_add_u32 s20, s42, s24
	v_mad_u64_u32 v[8:9], s[26:27], s51, v5, v[8:9]
	v_lshlrev_b32_e32 v5, 4, v5
	s_addc_u32 s21, s43, s25
	v_lshl_or_b32 v4, v4, 7, v5
	s_load_dwordx2 s[20:21], s[20:21], 0x0
	v_add_u32_e32 v27, 0x1000, v4
	v_mov_b32_e32 v4, 0x1000
	s_add_u32 s24, s48, s24
	v_mov_b32_e32 v7, v8
	v_and_b32_e32 v8, 31, v10
	v_lshrrev_b32_e32 v11, 5, v10
	v_lshl_add_u32 v29, v2, 7, v4
	v_mov_b64_e32 v[4:5], s[2:3]
	s_addc_u32 s25, s49, s25
	v_lshlrev_b32_e32 v10, 4, v8
	v_mad_u64_u32 v[4:5], s[28:29], s44, v11, v[4:5]
	s_load_dwordx2 s[24:25], s[24:25], 0x0
	v_lshl_or_b32 v26, v11, 9, v10
	v_mov_b32_e32 v10, v5
	s_lshl_b64 s[26:27], s[46:47], 4
	v_mad_u64_u32 v[10:11], s[28:29], s45, v11, v[10:11]
	v_mov_b32_e32 v9, v3
	v_mov_b32_e32 v5, v10
	s_waitcnt lgkmcnt(0)
	s_add_u32 s20, s20, s26
	v_lshl_add_u64 v[4:5], v[4:5], 0, v[8:9]
	s_addc_u32 s21, s21, s27
	v_lshl_add_u64 v[4:5], v[4:5], 4, s[20:21]
	s_lshl_b64 s[20:21], s[44:45], 7
	s_lshl_b64 s[8:9], s[8:9], 4
	s_add_u32 s8, s24, s8
	s_addc_u32 s9, s25, s9
	v_lshlrev_b32_e32 v28, 4, v0
	v_lshl_add_u64 v[6:7], v[6:7], 4, s[8:9]
	s_lshl_b64 s[8:9], s[50:51], 7
	s_mov_b64 s[24:25], 0
	v_mov_b64_e32 v[12:13], 0
	v_mov_b64_e32 v[8:9], s[36:37]
	;; [unrolled: 1-line block ×9, first 2 shown]
.LBB274_2:                              ; =>This Inner Loop Header: Depth=1
	flat_load_dwordx4 v[30:33], v[4:5]
	s_add_u32 s24, s24, 8
	s_addc_u32 s25, s25, 0
	v_cmp_lt_i64_e32 vcc, s[24:25], v[8:9]
	v_lshl_add_u64 v[4:5], v[4:5], 0, s[20:21]
	s_and_b64 vcc, exec, vcc
	s_waitcnt vmcnt(0) lgkmcnt(0)
	ds_write2_b64 v26, v[30:31], v[32:33] offset1:1
	flat_load_dwordx4 v[30:33], v[6:7]
	v_lshl_add_u64 v[6:7], v[6:7], 0, s[8:9]
	s_waitcnt vmcnt(0) lgkmcnt(0)
	ds_write2_b64 v27, v[30:31], v[32:33] offset1:1
	s_waitcnt lgkmcnt(0)
	s_barrier
	ds_read_b128 v[30:33], v29
	ds_read_b128 v[34:37], v29 offset:16
	ds_read_b128 v[38:41], v29 offset:32
	;; [unrolled: 1-line block ×3, first 2 shown]
	ds_read_b128 v[46:49], v28
	s_waitcnt lgkmcnt(0)
	v_mul_f64 v[50:51], v[32:33], v[48:49]
	v_mul_f64 v[52:53], v[30:31], v[48:49]
	v_fma_f64 v[50:51], v[30:31], v[46:47], -v[50:51]
	v_fmac_f64_e32 v[52:53], v[32:33], v[46:47]
	v_add_f64 v[50:51], v[22:23], v[50:51]
	v_add_f64 v[52:53], v[52:53], v[24:25]
	ds_read_b128 v[22:25], v28 offset:256
	s_waitcnt lgkmcnt(0)
	v_mul_f64 v[54:55], v[32:33], v[24:25]
	v_fma_f64 v[54:55], v[30:31], v[22:23], -v[54:55]
	v_mul_f64 v[30:31], v[30:31], v[24:25]
	v_fmac_f64_e32 v[30:31], v[32:33], v[22:23]
	v_add_f64 v[32:33], v[14:15], v[54:55]
	v_add_f64 v[30:31], v[30:31], v[16:17]
	ds_read_b128 v[14:17], v29 offset:2048
	s_waitcnt lgkmcnt(0)
	v_mul_f64 v[54:55], v[16:17], v[48:49]
	v_fma_f64 v[54:55], v[14:15], v[46:47], -v[54:55]
	v_mul_f64 v[48:49], v[14:15], v[48:49]
	v_fmac_f64_e32 v[48:49], v[16:17], v[46:47]
	v_add_f64 v[46:47], v[18:19], v[54:55]
	v_mul_f64 v[18:19], v[16:17], v[24:25]
	v_fma_f64 v[18:19], v[14:15], v[22:23], -v[18:19]
	v_mul_f64 v[14:15], v[14:15], v[24:25]
	v_fmac_f64_e32 v[14:15], v[16:17], v[22:23]
	v_add_f64 v[22:23], v[10:11], v[18:19]
	v_add_f64 v[24:25], v[14:15], v[12:13]
	ds_read_b128 v[10:13], v28 offset:512
	v_add_f64 v[48:49], v[48:49], v[20:21]
	s_waitcnt lgkmcnt(0)
	v_mul_f64 v[14:15], v[36:37], v[12:13]
	v_mul_f64 v[16:17], v[34:35], v[12:13]
	v_fma_f64 v[14:15], v[34:35], v[10:11], -v[14:15]
	v_fmac_f64_e32 v[16:17], v[36:37], v[10:11]
	v_add_f64 v[50:51], v[50:51], v[14:15]
	v_add_f64 v[52:53], v[16:17], v[52:53]
	ds_read_b128 v[14:17], v28 offset:768
	s_waitcnt lgkmcnt(0)
	v_mul_f64 v[18:19], v[36:37], v[16:17]
	v_mul_f64 v[20:21], v[34:35], v[16:17]
	v_fma_f64 v[18:19], v[34:35], v[14:15], -v[18:19]
	v_fmac_f64_e32 v[20:21], v[36:37], v[14:15]
	v_add_f64 v[32:33], v[32:33], v[18:19]
	v_add_f64 v[30:31], v[20:21], v[30:31]
	ds_read_b128 v[18:21], v29 offset:2064
	s_waitcnt lgkmcnt(0)
	v_mul_f64 v[34:35], v[20:21], v[12:13]
	v_mul_f64 v[12:13], v[18:19], v[12:13]
	v_fmac_f64_e32 v[12:13], v[20:21], v[10:11]
	v_fma_f64 v[34:35], v[18:19], v[10:11], -v[34:35]
	v_add_f64 v[36:37], v[12:13], v[48:49]
	v_mul_f64 v[10:11], v[20:21], v[16:17]
	v_mul_f64 v[12:13], v[18:19], v[16:17]
	v_fma_f64 v[10:11], v[18:19], v[14:15], -v[10:11]
	v_fmac_f64_e32 v[12:13], v[20:21], v[14:15]
	v_add_f64 v[22:23], v[22:23], v[10:11]
	v_add_f64 v[24:25], v[12:13], v[24:25]
	ds_read_b128 v[10:13], v28 offset:1024
	v_add_f64 v[34:35], v[46:47], v[34:35]
	s_waitcnt lgkmcnt(0)
	v_mul_f64 v[14:15], v[40:41], v[12:13]
	v_mul_f64 v[16:17], v[38:39], v[12:13]
	v_fma_f64 v[14:15], v[38:39], v[10:11], -v[14:15]
	v_fmac_f64_e32 v[16:17], v[40:41], v[10:11]
	v_add_f64 v[46:47], v[50:51], v[14:15]
	v_add_f64 v[48:49], v[16:17], v[52:53]
	ds_read_b128 v[14:17], v28 offset:1280
	s_waitcnt lgkmcnt(0)
	v_mul_f64 v[18:19], v[40:41], v[16:17]
	v_mul_f64 v[20:21], v[38:39], v[16:17]
	v_fma_f64 v[18:19], v[38:39], v[14:15], -v[18:19]
	v_fmac_f64_e32 v[20:21], v[40:41], v[14:15]
	v_add_f64 v[32:33], v[32:33], v[18:19]
	v_add_f64 v[30:31], v[20:21], v[30:31]
	ds_read_b128 v[18:21], v29 offset:2080
	s_waitcnt lgkmcnt(0)
	v_mul_f64 v[38:39], v[20:21], v[12:13]
	v_mul_f64 v[12:13], v[18:19], v[12:13]
	v_fmac_f64_e32 v[12:13], v[20:21], v[10:11]
	v_fma_f64 v[38:39], v[18:19], v[10:11], -v[38:39]
	v_add_f64 v[36:37], v[12:13], v[36:37]
	v_mul_f64 v[10:11], v[20:21], v[16:17]
	v_mul_f64 v[12:13], v[18:19], v[16:17]
	v_fma_f64 v[10:11], v[18:19], v[14:15], -v[10:11]
	v_fmac_f64_e32 v[12:13], v[20:21], v[14:15]
	v_add_f64 v[22:23], v[22:23], v[10:11]
	v_add_f64 v[24:25], v[12:13], v[24:25]
	ds_read_b128 v[10:13], v28 offset:1536
	v_add_f64 v[34:35], v[34:35], v[38:39]
	s_waitcnt lgkmcnt(0)
	v_mul_f64 v[14:15], v[44:45], v[12:13]
	v_mul_f64 v[16:17], v[42:43], v[12:13]
	v_fma_f64 v[14:15], v[42:43], v[10:11], -v[14:15]
	v_fmac_f64_e32 v[16:17], v[44:45], v[10:11]
	v_add_f64 v[38:39], v[46:47], v[14:15]
	v_add_f64 v[40:41], v[16:17], v[48:49]
	ds_read_b128 v[14:17], v28 offset:1792
	s_waitcnt lgkmcnt(0)
	v_mul_f64 v[18:19], v[44:45], v[16:17]
	v_mul_f64 v[20:21], v[42:43], v[16:17]
	v_fma_f64 v[18:19], v[42:43], v[14:15], -v[18:19]
	v_fmac_f64_e32 v[20:21], v[44:45], v[14:15]
	v_add_f64 v[32:33], v[32:33], v[18:19]
	v_add_f64 v[30:31], v[20:21], v[30:31]
	ds_read_b128 v[18:21], v29 offset:2096
	s_waitcnt lgkmcnt(0)
	v_mul_f64 v[42:43], v[20:21], v[12:13]
	v_mul_f64 v[12:13], v[18:19], v[12:13]
	v_fmac_f64_e32 v[12:13], v[20:21], v[10:11]
	v_fma_f64 v[42:43], v[18:19], v[10:11], -v[42:43]
	v_add_f64 v[36:37], v[12:13], v[36:37]
	v_mul_f64 v[10:11], v[20:21], v[16:17]
	v_mul_f64 v[12:13], v[18:19], v[16:17]
	v_fma_f64 v[10:11], v[18:19], v[14:15], -v[10:11]
	v_fmac_f64_e32 v[12:13], v[20:21], v[14:15]
	v_add_f64 v[22:23], v[22:23], v[10:11]
	v_add_f64 v[24:25], v[12:13], v[24:25]
	ds_read_b128 v[10:13], v29 offset:64
	ds_read_b128 v[14:17], v28 offset:2048
	v_add_f64 v[34:35], v[34:35], v[42:43]
	s_waitcnt lgkmcnt(0)
	v_mul_f64 v[18:19], v[12:13], v[16:17]
	v_mul_f64 v[20:21], v[10:11], v[16:17]
	v_fma_f64 v[18:19], v[10:11], v[14:15], -v[18:19]
	v_fmac_f64_e32 v[20:21], v[12:13], v[14:15]
	v_add_f64 v[38:39], v[38:39], v[18:19]
	v_add_f64 v[40:41], v[20:21], v[40:41]
	ds_read_b128 v[18:21], v28 offset:2304
	s_waitcnt lgkmcnt(0)
	v_mul_f64 v[42:43], v[12:13], v[20:21]
	v_fma_f64 v[42:43], v[10:11], v[18:19], -v[42:43]
	v_mul_f64 v[10:11], v[10:11], v[20:21]
	v_fmac_f64_e32 v[10:11], v[12:13], v[18:19]
	v_add_f64 v[30:31], v[10:11], v[30:31]
	ds_read_b128 v[10:13], v29 offset:2112
	v_add_f64 v[32:33], v[32:33], v[42:43]
	s_waitcnt lgkmcnt(0)
	v_mul_f64 v[42:43], v[12:13], v[16:17]
	v_mul_f64 v[16:17], v[10:11], v[16:17]
	v_fma_f64 v[42:43], v[10:11], v[14:15], -v[42:43]
	v_fmac_f64_e32 v[16:17], v[12:13], v[14:15]
	v_mul_f64 v[14:15], v[12:13], v[20:21]
	v_fma_f64 v[14:15], v[10:11], v[18:19], -v[14:15]
	v_mul_f64 v[10:11], v[10:11], v[20:21]
	v_fmac_f64_e32 v[10:11], v[12:13], v[18:19]
	v_add_f64 v[36:37], v[16:17], v[36:37]
	v_add_f64 v[22:23], v[22:23], v[14:15]
	v_add_f64 v[24:25], v[10:11], v[24:25]
	ds_read_b128 v[10:13], v29 offset:80
	ds_read_b128 v[14:17], v28 offset:2560
	v_add_f64 v[34:35], v[34:35], v[42:43]
	s_waitcnt lgkmcnt(0)
	v_mul_f64 v[18:19], v[12:13], v[16:17]
	v_mul_f64 v[20:21], v[10:11], v[16:17]
	v_fma_f64 v[18:19], v[10:11], v[14:15], -v[18:19]
	v_fmac_f64_e32 v[20:21], v[12:13], v[14:15]
	v_add_f64 v[38:39], v[38:39], v[18:19]
	v_add_f64 v[40:41], v[20:21], v[40:41]
	ds_read_b128 v[18:21], v28 offset:2816
	s_waitcnt lgkmcnt(0)
	v_mul_f64 v[42:43], v[12:13], v[20:21]
	v_fma_f64 v[42:43], v[10:11], v[18:19], -v[42:43]
	v_mul_f64 v[10:11], v[10:11], v[20:21]
	v_fmac_f64_e32 v[10:11], v[12:13], v[18:19]
	v_add_f64 v[30:31], v[10:11], v[30:31]
	ds_read_b128 v[10:13], v29 offset:2128
	v_add_f64 v[32:33], v[32:33], v[42:43]
	s_waitcnt lgkmcnt(0)
	v_mul_f64 v[42:43], v[12:13], v[16:17]
	v_mul_f64 v[16:17], v[10:11], v[16:17]
	v_fma_f64 v[42:43], v[10:11], v[14:15], -v[42:43]
	v_fmac_f64_e32 v[16:17], v[12:13], v[14:15]
	v_mul_f64 v[14:15], v[12:13], v[20:21]
	v_fma_f64 v[14:15], v[10:11], v[18:19], -v[14:15]
	v_mul_f64 v[10:11], v[10:11], v[20:21]
	v_fmac_f64_e32 v[10:11], v[12:13], v[18:19]
	v_add_f64 v[36:37], v[16:17], v[36:37]
	;; [unrolled: 31-line block ×3, first 2 shown]
	ds_read_b128 v[10:13], v29 offset:112
	ds_read_b128 v[18:21], v28 offset:3584
	v_add_f64 v[34:35], v[34:35], v[30:31]
	ds_read_b128 v[30:33], v28 offset:3840
	v_add_f64 v[46:47], v[22:23], v[14:15]
	v_add_f64 v[36:37], v[16:17], v[36:37]
	s_waitcnt lgkmcnt(1)
	v_mul_f64 v[14:15], v[12:13], v[20:21]
	v_fma_f64 v[14:15], v[10:11], v[18:19], -v[14:15]
	v_add_f64 v[22:23], v[38:39], v[14:15]
	s_waitcnt lgkmcnt(0)
	v_mul_f64 v[14:15], v[12:13], v[32:33]
	v_mul_f64 v[16:17], v[10:11], v[20:21]
	v_fma_f64 v[14:15], v[10:11], v[30:31], -v[14:15]
	v_mul_f64 v[10:11], v[10:11], v[32:33]
	v_fmac_f64_e32 v[16:17], v[12:13], v[18:19]
	v_fmac_f64_e32 v[10:11], v[12:13], v[30:31]
	v_add_f64 v[24:25], v[16:17], v[40:41]
	v_add_f64 v[16:17], v[10:11], v[44:45]
	ds_read_b128 v[10:13], v29 offset:2160
	v_add_f64 v[14:15], v[42:43], v[14:15]
	s_waitcnt lgkmcnt(0)
	s_barrier
	v_mul_f64 v[38:39], v[12:13], v[20:21]
	v_fma_f64 v[38:39], v[10:11], v[18:19], -v[38:39]
	v_mul_f64 v[20:21], v[10:11], v[20:21]
	v_fmac_f64_e32 v[20:21], v[12:13], v[18:19]
	v_add_f64 v[18:19], v[34:35], v[38:39]
	v_mul_f64 v[34:35], v[12:13], v[32:33]
	v_mul_f64 v[32:33], v[10:11], v[32:33]
	v_fma_f64 v[34:35], v[10:11], v[30:31], -v[34:35]
	v_fmac_f64_e32 v[32:33], v[12:13], v[30:31]
	v_add_f64 v[20:21], v[20:21], v[36:37]
	v_add_f64 v[10:11], v[46:47], v[34:35]
	;; [unrolled: 1-line block ×3, first 2 shown]
	s_cbranch_vccnz .LBB274_2
	s_branch .LBB274_4
.LBB274_3:
	v_mov_b64_e32 v[22:23], 0
	v_mov_b64_e32 v[24:25], 0
	;; [unrolled: 1-line block ×8, first 2 shown]
.LBB274_4:
	s_load_dwordx2 s[0:1], s[0:1], 0x90
	v_lshl_add_u64 v[2:3], s[14:15], 0, v[2:3]
	v_cmp_neq_f64_e64 s[14:15], s[10:11], 0
	v_cmp_neq_f64_e64 s[20:21], s[12:13], 0
	s_mov_b64 s[8:9], 0
	s_waitcnt lgkmcnt(0)
	s_lshl_b64 s[0:1], s[0:1], 4
	s_add_u32 s0, s6, s0
	s_addc_u32 s1, s7, s1
	s_or_b64 s[6:7], s[14:15], s[20:21]
	v_lshl_add_u64 v[0:1], s[2:3], 0, v[0:1]
	s_and_b64 vcc, exec, s[6:7]
	s_cbranch_vccnz .LBB274_6
; %bb.5:
	v_mul_lo_u32 v6, v3, s22
	v_mul_lo_u32 v7, v2, s23
	v_mad_u64_u32 v[4:5], s[2:3], v2, s22, 0
	v_add3_u32 v5, v5, v7, v6
	v_lshl_add_u64 v[8:9], v[4:5], 4, s[0:1]
	v_mul_f64 v[4:5], s[40:41], v[24:25]
	v_mul_f64 v[6:7], s[38:39], v[24:25]
	v_lshlrev_b64 v[26:27], 4, v[0:1]
	v_fma_f64 v[4:5], s[38:39], v[22:23], -v[4:5]
	v_fmac_f64_e32 v[6:7], s[40:41], v[22:23]
	v_lshl_add_u64 v[28:29], v[8:9], 0, v[26:27]
	flat_store_dwordx4 v[28:29], v[4:7]
	s_lshl_b64 s[2:3], s[22:23], 8
	v_lshl_add_u64 v[8:9], v[8:9], 0, s[2:3]
	v_mul_f64 v[4:5], s[40:41], v[16:17]
	v_mul_f64 v[6:7], s[38:39], v[16:17]
	v_fma_f64 v[4:5], s[38:39], v[14:15], -v[4:5]
	v_fmac_f64_e32 v[6:7], s[40:41], v[14:15]
	flat_store_dwordx4 v[28:29], v[4:7] offset:256
	v_lshl_add_u64 v[8:9], v[8:9], 0, v[26:27]
	s_mov_b64 s[2:3], 0x100
	v_mul_f64 v[4:5], s[40:41], v[20:21]
	v_mul_f64 v[6:7], s[38:39], v[20:21]
	v_fma_f64 v[4:5], s[38:39], v[18:19], -v[4:5]
	v_fmac_f64_e32 v[6:7], s[40:41], v[18:19]
	flat_store_dwordx4 v[8:9], v[4:7]
	s_nop 1
	v_mul_f64 v[4:5], s[40:41], v[12:13]
	v_fma_f64 v[26:27], s[38:39], v[10:11], -v[4:5]
	v_mul_f64 v[4:5], s[38:39], v[12:13]
	v_fmac_f64_e32 v[4:5], s[40:41], v[10:11]
	v_lshl_add_u64 v[6:7], v[8:9], 0, s[2:3]
	flat_store_dwordx2 v[8:9], v[26:27] offset:256
	s_andn2_b64 vcc, exec, s[8:9]
	s_cbranch_vccz .LBB274_7
	s_branch .LBB274_8
.LBB274_6:
                                        ; implicit-def: $vgpr4_vgpr5
                                        ; implicit-def: $vgpr6_vgpr7
.LBB274_7:
	s_lshl_b64 s[2:3], s[18:19], 4
	s_add_u32 s2, s4, s2
	s_addc_u32 s3, s5, s3
	v_mul_lo_u32 v6, v3, s16
	v_mul_lo_u32 v7, v2, s17
	v_mad_u64_u32 v[4:5], s[4:5], v2, s16, 0
	v_add3_u32 v5, v5, v7, v6
	v_lshl_add_u64 v[8:9], v[4:5], 4, s[2:3]
	v_lshlrev_b64 v[26:27], 4, v[0:1]
	v_lshl_add_u64 v[28:29], v[8:9], 0, v[26:27]
	flat_load_dwordx4 v[4:7], v[28:29]
	v_mul_lo_u32 v30, v3, s22
	v_mul_lo_u32 v31, v2, s23
	v_mad_u64_u32 v[0:1], s[2:3], v2, s22, 0
	v_mul_f64 v[2:3], s[40:41], v[24:25]
	v_mul_f64 v[24:25], s[38:39], v[24:25]
	v_add3_u32 v1, v1, v31, v30
	v_fma_f64 v[2:3], s[38:39], v[22:23], -v[2:3]
	v_fmac_f64_e32 v[24:25], s[40:41], v[22:23]
	v_lshl_add_u64 v[22:23], v[0:1], 4, s[0:1]
	v_lshl_add_u64 v[30:31], v[22:23], 0, v[26:27]
	s_lshl_b64 s[0:1], s[16:17], 8
	v_lshl_add_u64 v[8:9], v[8:9], 0, s[0:1]
	v_lshl_add_u64 v[8:9], v[8:9], 0, v[26:27]
	s_lshl_b64 s[0:1], s[22:23], 8
	s_waitcnt vmcnt(0) lgkmcnt(0)
	v_mul_f64 v[0:1], s[12:13], v[6:7]
	v_mul_f64 v[6:7], s[10:11], v[6:7]
	v_fma_f64 v[0:1], s[10:11], v[4:5], -v[0:1]
	v_fmac_f64_e32 v[6:7], s[12:13], v[4:5]
	v_add_f64 v[0:1], v[2:3], v[0:1]
	v_add_f64 v[2:3], v[24:25], v[6:7]
	flat_store_dwordx4 v[30:31], v[0:3]
	flat_load_dwordx4 v[0:3], v[28:29] offset:256
	v_mul_f64 v[4:5], s[40:41], v[16:17]
	v_mul_f64 v[6:7], s[38:39], v[16:17]
	v_fma_f64 v[4:5], s[38:39], v[14:15], -v[4:5]
	v_fmac_f64_e32 v[6:7], s[40:41], v[14:15]
	s_waitcnt vmcnt(0) lgkmcnt(0)
	v_mul_f64 v[14:15], s[12:13], v[2:3]
	v_mul_f64 v[2:3], s[10:11], v[2:3]
	v_fma_f64 v[14:15], s[10:11], v[0:1], -v[14:15]
	v_fmac_f64_e32 v[2:3], s[12:13], v[0:1]
	v_add_f64 v[0:1], v[4:5], v[14:15]
	v_add_f64 v[2:3], v[6:7], v[2:3]
	flat_store_dwordx4 v[30:31], v[0:3] offset:256
	flat_load_dwordx4 v[0:3], v[8:9]
	v_mul_f64 v[4:5], s[40:41], v[20:21]
	v_mul_f64 v[6:7], s[38:39], v[20:21]
	v_fma_f64 v[4:5], s[38:39], v[18:19], -v[4:5]
	v_fmac_f64_e32 v[6:7], s[40:41], v[18:19]
	v_lshl_add_u64 v[14:15], v[22:23], 0, s[0:1]
	v_lshl_add_u64 v[14:15], v[14:15], 0, v[26:27]
	s_mov_b64 s[0:1], 0x100
	s_waitcnt vmcnt(0) lgkmcnt(0)
	v_mul_f64 v[16:17], s[12:13], v[2:3]
	v_mul_f64 v[2:3], s[10:11], v[2:3]
	v_fma_f64 v[16:17], s[10:11], v[0:1], -v[16:17]
	v_fmac_f64_e32 v[2:3], s[12:13], v[0:1]
	v_add_f64 v[0:1], v[4:5], v[16:17]
	v_add_f64 v[2:3], v[6:7], v[2:3]
	flat_store_dwordx4 v[14:15], v[0:3]
	flat_load_dwordx4 v[0:3], v[8:9] offset:256
	v_mul_f64 v[4:5], s[40:41], v[12:13]
	v_mul_f64 v[6:7], s[38:39], v[12:13]
	v_fma_f64 v[4:5], s[38:39], v[10:11], -v[4:5]
	v_fmac_f64_e32 v[6:7], s[40:41], v[10:11]
	s_waitcnt vmcnt(0) lgkmcnt(0)
	v_mul_f64 v[8:9], s[12:13], v[2:3]
	v_mul_f64 v[2:3], s[10:11], v[2:3]
	v_fma_f64 v[8:9], s[10:11], v[0:1], -v[8:9]
	v_fmac_f64_e32 v[2:3], s[12:13], v[0:1]
	v_add_f64 v[0:1], v[4:5], v[8:9]
	v_add_f64 v[4:5], v[6:7], v[2:3]
	v_lshl_add_u64 v[6:7], v[14:15], 0, s[0:1]
	flat_store_dwordx2 v[14:15], v[0:1] offset:256
.LBB274_8:
	flat_store_dwordx2 v[6:7], v[4:5] offset:8
	s_endpgm
	.section	.rodata,"a",@progbits
	.p2align	6, 0x0
	.amdhsa_kernel _ZN12_GLOBAL__N_127rocblas_gemm_batched_kernelI19rocblas_complex_numIdELi16ELi16ELi32ELi32ELi8ELi32ELi8ELi8ELi32ELc78ELc84EKPKS2_S5_KPS2_EEvlllT_PT11_llSA_llS8_PT12_llPT13_lli
		.amdhsa_group_segment_fixed_size 8192
		.amdhsa_private_segment_fixed_size 0
		.amdhsa_kernarg_size 156
		.amdhsa_user_sgpr_count 2
		.amdhsa_user_sgpr_dispatch_ptr 0
		.amdhsa_user_sgpr_queue_ptr 0
		.amdhsa_user_sgpr_kernarg_segment_ptr 1
		.amdhsa_user_sgpr_dispatch_id 0
		.amdhsa_user_sgpr_kernarg_preload_length 0
		.amdhsa_user_sgpr_kernarg_preload_offset 0
		.amdhsa_user_sgpr_private_segment_size 0
		.amdhsa_uses_dynamic_stack 0
		.amdhsa_enable_private_segment 0
		.amdhsa_system_sgpr_workgroup_id_x 1
		.amdhsa_system_sgpr_workgroup_id_y 1
		.amdhsa_system_sgpr_workgroup_id_z 1
		.amdhsa_system_sgpr_workgroup_info 0
		.amdhsa_system_vgpr_workitem_id 1
		.amdhsa_next_free_vgpr 56
		.amdhsa_next_free_sgpr 52
		.amdhsa_accum_offset 56
		.amdhsa_reserve_vcc 1
		.amdhsa_float_round_mode_32 0
		.amdhsa_float_round_mode_16_64 0
		.amdhsa_float_denorm_mode_32 3
		.amdhsa_float_denorm_mode_16_64 3
		.amdhsa_dx10_clamp 1
		.amdhsa_ieee_mode 1
		.amdhsa_fp16_overflow 0
		.amdhsa_tg_split 0
		.amdhsa_exception_fp_ieee_invalid_op 0
		.amdhsa_exception_fp_denorm_src 0
		.amdhsa_exception_fp_ieee_div_zero 0
		.amdhsa_exception_fp_ieee_overflow 0
		.amdhsa_exception_fp_ieee_underflow 0
		.amdhsa_exception_fp_ieee_inexact 0
		.amdhsa_exception_int_div_zero 0
	.end_amdhsa_kernel
	.section	.text._ZN12_GLOBAL__N_127rocblas_gemm_batched_kernelI19rocblas_complex_numIdELi16ELi16ELi32ELi32ELi8ELi32ELi8ELi8ELi32ELc78ELc84EKPKS2_S5_KPS2_EEvlllT_PT11_llSA_llS8_PT12_llPT13_lli,"axG",@progbits,_ZN12_GLOBAL__N_127rocblas_gemm_batched_kernelI19rocblas_complex_numIdELi16ELi16ELi32ELi32ELi8ELi32ELi8ELi8ELi32ELc78ELc84EKPKS2_S5_KPS2_EEvlllT_PT11_llSA_llS8_PT12_llPT13_lli,comdat
.Lfunc_end274:
	.size	_ZN12_GLOBAL__N_127rocblas_gemm_batched_kernelI19rocblas_complex_numIdELi16ELi16ELi32ELi32ELi8ELi32ELi8ELi8ELi32ELc78ELc84EKPKS2_S5_KPS2_EEvlllT_PT11_llSA_llS8_PT12_llPT13_lli, .Lfunc_end274-_ZN12_GLOBAL__N_127rocblas_gemm_batched_kernelI19rocblas_complex_numIdELi16ELi16ELi32ELi32ELi8ELi32ELi8ELi8ELi32ELc78ELc84EKPKS2_S5_KPS2_EEvlllT_PT11_llSA_llS8_PT12_llPT13_lli
                                        ; -- End function
	.set _ZN12_GLOBAL__N_127rocblas_gemm_batched_kernelI19rocblas_complex_numIdELi16ELi16ELi32ELi32ELi8ELi32ELi8ELi8ELi32ELc78ELc84EKPKS2_S5_KPS2_EEvlllT_PT11_llSA_llS8_PT12_llPT13_lli.num_vgpr, 56
	.set _ZN12_GLOBAL__N_127rocblas_gemm_batched_kernelI19rocblas_complex_numIdELi16ELi16ELi32ELi32ELi8ELi32ELi8ELi8ELi32ELc78ELc84EKPKS2_S5_KPS2_EEvlllT_PT11_llSA_llS8_PT12_llPT13_lli.num_agpr, 0
	.set _ZN12_GLOBAL__N_127rocblas_gemm_batched_kernelI19rocblas_complex_numIdELi16ELi16ELi32ELi32ELi8ELi32ELi8ELi8ELi32ELc78ELc84EKPKS2_S5_KPS2_EEvlllT_PT11_llSA_llS8_PT12_llPT13_lli.numbered_sgpr, 52
	.set _ZN12_GLOBAL__N_127rocblas_gemm_batched_kernelI19rocblas_complex_numIdELi16ELi16ELi32ELi32ELi8ELi32ELi8ELi8ELi32ELc78ELc84EKPKS2_S5_KPS2_EEvlllT_PT11_llSA_llS8_PT12_llPT13_lli.num_named_barrier, 0
	.set _ZN12_GLOBAL__N_127rocblas_gemm_batched_kernelI19rocblas_complex_numIdELi16ELi16ELi32ELi32ELi8ELi32ELi8ELi8ELi32ELc78ELc84EKPKS2_S5_KPS2_EEvlllT_PT11_llSA_llS8_PT12_llPT13_lli.private_seg_size, 0
	.set _ZN12_GLOBAL__N_127rocblas_gemm_batched_kernelI19rocblas_complex_numIdELi16ELi16ELi32ELi32ELi8ELi32ELi8ELi8ELi32ELc78ELc84EKPKS2_S5_KPS2_EEvlllT_PT11_llSA_llS8_PT12_llPT13_lli.uses_vcc, 1
	.set _ZN12_GLOBAL__N_127rocblas_gemm_batched_kernelI19rocblas_complex_numIdELi16ELi16ELi32ELi32ELi8ELi32ELi8ELi8ELi32ELc78ELc84EKPKS2_S5_KPS2_EEvlllT_PT11_llSA_llS8_PT12_llPT13_lli.uses_flat_scratch, 0
	.set _ZN12_GLOBAL__N_127rocblas_gemm_batched_kernelI19rocblas_complex_numIdELi16ELi16ELi32ELi32ELi8ELi32ELi8ELi8ELi32ELc78ELc84EKPKS2_S5_KPS2_EEvlllT_PT11_llSA_llS8_PT12_llPT13_lli.has_dyn_sized_stack, 0
	.set _ZN12_GLOBAL__N_127rocblas_gemm_batched_kernelI19rocblas_complex_numIdELi16ELi16ELi32ELi32ELi8ELi32ELi8ELi8ELi32ELc78ELc84EKPKS2_S5_KPS2_EEvlllT_PT11_llSA_llS8_PT12_llPT13_lli.has_recursion, 0
	.set _ZN12_GLOBAL__N_127rocblas_gemm_batched_kernelI19rocblas_complex_numIdELi16ELi16ELi32ELi32ELi8ELi32ELi8ELi8ELi32ELc78ELc84EKPKS2_S5_KPS2_EEvlllT_PT11_llSA_llS8_PT12_llPT13_lli.has_indirect_call, 0
	.section	.AMDGPU.csdata,"",@progbits
; Kernel info:
; codeLenInByte = 3156
; TotalNumSgprs: 58
; NumVgprs: 56
; NumAgprs: 0
; TotalNumVgprs: 56
; ScratchSize: 0
; MemoryBound: 0
; FloatMode: 240
; IeeeMode: 1
; LDSByteSize: 8192 bytes/workgroup (compile time only)
; SGPRBlocks: 7
; VGPRBlocks: 6
; NumSGPRsForWavesPerEU: 58
; NumVGPRsForWavesPerEU: 56
; AccumOffset: 56
; Occupancy: 8
; WaveLimiterHint : 1
; COMPUTE_PGM_RSRC2:SCRATCH_EN: 0
; COMPUTE_PGM_RSRC2:USER_SGPR: 2
; COMPUTE_PGM_RSRC2:TRAP_HANDLER: 0
; COMPUTE_PGM_RSRC2:TGID_X_EN: 1
; COMPUTE_PGM_RSRC2:TGID_Y_EN: 1
; COMPUTE_PGM_RSRC2:TGID_Z_EN: 1
; COMPUTE_PGM_RSRC2:TIDIG_COMP_CNT: 1
; COMPUTE_PGM_RSRC3_GFX90A:ACCUM_OFFSET: 13
; COMPUTE_PGM_RSRC3_GFX90A:TG_SPLIT: 0
	.section	.text._ZN12_GLOBAL__N_127rocblas_gemm_batched_kernelI19rocblas_complex_numIdELi16ELi16ELi32ELi32ELi8ELi32ELi8ELi8ELi32ELc84ELc84EKPKS2_S5_KPS2_EEvlllT_PT11_llSA_llS8_PT12_llPT13_lli,"axG",@progbits,_ZN12_GLOBAL__N_127rocblas_gemm_batched_kernelI19rocblas_complex_numIdELi16ELi16ELi32ELi32ELi8ELi32ELi8ELi8ELi32ELc84ELc84EKPKS2_S5_KPS2_EEvlllT_PT11_llSA_llS8_PT12_llPT13_lli,comdat
	.globl	_ZN12_GLOBAL__N_127rocblas_gemm_batched_kernelI19rocblas_complex_numIdELi16ELi16ELi32ELi32ELi8ELi32ELi8ELi8ELi32ELc84ELc84EKPKS2_S5_KPS2_EEvlllT_PT11_llSA_llS8_PT12_llPT13_lli ; -- Begin function _ZN12_GLOBAL__N_127rocblas_gemm_batched_kernelI19rocblas_complex_numIdELi16ELi16ELi32ELi32ELi8ELi32ELi8ELi8ELi32ELc84ELc84EKPKS2_S5_KPS2_EEvlllT_PT11_llSA_llS8_PT12_llPT13_lli
	.p2align	8
	.type	_ZN12_GLOBAL__N_127rocblas_gemm_batched_kernelI19rocblas_complex_numIdELi16ELi16ELi32ELi32ELi8ELi32ELi8ELi8ELi32ELc84ELc84EKPKS2_S5_KPS2_EEvlllT_PT11_llSA_llS8_PT12_llPT13_lli,@function
_ZN12_GLOBAL__N_127rocblas_gemm_batched_kernelI19rocblas_complex_numIdELi16ELi16ELi32ELi32ELi8ELi32ELi8ELi8ELi32ELc84ELc84EKPKS2_S5_KPS2_EEvlllT_PT11_llSA_llS8_PT12_llPT13_lli: ; @_ZN12_GLOBAL__N_127rocblas_gemm_batched_kernelI19rocblas_complex_numIdELi16ELi16ELi32ELi32ELi8ELi32ELi8ELi8ELi32ELc84ELc84EKPKS2_S5_KPS2_EEvlllT_PT11_llSA_llS8_PT12_llPT13_lli
; %bb.0:
	s_load_dwordx16 s[36:51], s[0:1], 0x10
	s_load_dwordx16 s[8:23], s[0:1], 0x50
	s_mov_b32 s5, 0
	s_lshl_b64 s[24:25], s[4:5], 3
	s_mov_b32 s26, s3
	v_mov_b32_e32 v3, 0
	s_waitcnt lgkmcnt(0)
	s_add_u32 s4, s14, s24
	s_addc_u32 s5, s15, s25
	s_add_u32 s6, s20, s24
	s_addc_u32 s7, s21, s25
	s_load_dwordx2 s[4:5], s[4:5], 0x0
	s_ashr_i32 s3, s2, 31
	s_load_dwordx2 s[6:7], s[6:7], 0x0
	s_ashr_i32 s27, s26, 31
	v_cmp_lt_i64_e64 s[20:21], s[36:37], 1
	v_bfe_u32 v2, v0, 10, 10
	v_and_b32_e32 v0, 0x3ff, v0
	v_mov_b32_e32 v1, v3
	s_lshl_b64 s[2:3], s[2:3], 5
	s_lshl_b64 s[14:15], s[26:27], 5
	s_and_b64 vcc, exec, s[20:21]
	s_cbranch_vccnz .LBB275_3
; %bb.1:
	v_lshl_add_u32 v10, v2, 4, v0
	v_lshrrev_b32_e32 v4, 3, v10
	v_mov_b32_e32 v5, v3
	s_add_u32 s20, s42, s24
	v_lshl_add_u64 v[6:7], v[4:5], 0, s[14:15]
	v_and_b32_e32 v5, 7, v0
	s_addc_u32 s21, s43, s25
	v_mad_u64_u32 v[6:7], s[26:27], s50, v5, v[6:7]
	s_add_u32 s24, s48, s24
	v_mov_b32_e32 v8, v7
	s_addc_u32 s25, s49, s25
	v_mad_u64_u32 v[8:9], s[26:27], s51, v5, v[8:9]
	v_lshlrev_b32_e32 v5, 4, v5
	s_load_dwordx2 s[24:25], s[24:25], 0x0
	v_lshl_or_b32 v4, v4, 7, v5
	v_mov_b32_e32 v7, v8
	v_and_b32_e32 v8, 31, v10
	v_mov_b32_e32 v9, v3
	v_add_u32_e32 v27, 0x1000, v4
	v_mov_b32_e32 v4, 0x1000
	s_load_dwordx2 s[20:21], s[20:21], 0x0
	v_lshl_add_u32 v29, v2, 7, v4
	v_lshl_add_u64 v[4:5], s[2:3], 0, v[8:9]
	v_lshlrev_b32_e32 v11, 4, v8
	v_mul_lo_u32 v8, s45, v4
	v_mul_lo_u32 v9, s44, v5
	v_mad_u64_u32 v[4:5], s[26:27], s44, v4, 0
	v_lshrrev_b32_e32 v10, 5, v10
	v_add3_u32 v5, v5, v9, v8
	s_lshl_b64 s[26:27], s[46:47], 4
	s_lshl_b64 s[8:9], s[8:9], 4
	v_lshl_add_u64 v[4:5], v[4:5], 4, s[26:27]
	v_lshlrev_b32_e32 v8, 4, v10
	v_mov_b32_e32 v9, v3
	s_waitcnt lgkmcnt(0)
	s_add_u32 s8, s24, s8
	v_lshl_add_u64 v[4:5], v[4:5], 0, v[8:9]
	s_addc_u32 s9, s25, s9
	v_lshl_or_b32 v26, v10, 9, v11
	v_lshlrev_b32_e32 v28, 4, v0
	v_lshl_add_u64 v[4:5], s[20:21], 0, v[4:5]
	v_lshl_add_u64 v[6:7], v[6:7], 4, s[8:9]
	s_lshl_b64 s[8:9], s[50:51], 7
	s_mov_b64 s[20:21], 0
	v_mov_b64_e32 v[12:13], 0
	s_mov_b64 s[24:25], 0x80
	v_mov_b64_e32 v[8:9], s[36:37]
	v_mov_b64_e32 v[10:11], 0
	;; [unrolled: 1-line block ×8, first 2 shown]
.LBB275_2:                              ; =>This Inner Loop Header: Depth=1
	flat_load_dwordx4 v[30:33], v[4:5]
	s_add_u32 s20, s20, 8
	s_addc_u32 s21, s21, 0
	v_cmp_lt_i64_e32 vcc, s[20:21], v[8:9]
	v_lshl_add_u64 v[4:5], v[4:5], 0, s[24:25]
	s_and_b64 vcc, exec, vcc
	s_waitcnt vmcnt(0) lgkmcnt(0)
	ds_write2_b64 v26, v[30:31], v[32:33] offset1:1
	flat_load_dwordx4 v[30:33], v[6:7]
	v_lshl_add_u64 v[6:7], v[6:7], 0, s[8:9]
	s_waitcnt vmcnt(0) lgkmcnt(0)
	ds_write2_b64 v27, v[30:31], v[32:33] offset1:1
	s_waitcnt lgkmcnt(0)
	s_barrier
	ds_read_b128 v[30:33], v29
	ds_read_b128 v[34:37], v29 offset:16
	ds_read_b128 v[38:41], v29 offset:32
	;; [unrolled: 1-line block ×3, first 2 shown]
	ds_read_b128 v[46:49], v28
	s_waitcnt lgkmcnt(0)
	v_mul_f64 v[50:51], v[32:33], v[48:49]
	v_mul_f64 v[52:53], v[30:31], v[48:49]
	v_fma_f64 v[50:51], v[30:31], v[46:47], -v[50:51]
	v_fmac_f64_e32 v[52:53], v[32:33], v[46:47]
	v_add_f64 v[50:51], v[22:23], v[50:51]
	v_add_f64 v[52:53], v[52:53], v[24:25]
	ds_read_b128 v[22:25], v28 offset:256
	s_waitcnt lgkmcnt(0)
	v_mul_f64 v[54:55], v[32:33], v[24:25]
	v_fma_f64 v[54:55], v[30:31], v[22:23], -v[54:55]
	v_mul_f64 v[30:31], v[30:31], v[24:25]
	v_fmac_f64_e32 v[30:31], v[32:33], v[22:23]
	v_add_f64 v[32:33], v[14:15], v[54:55]
	v_add_f64 v[30:31], v[30:31], v[16:17]
	ds_read_b128 v[14:17], v29 offset:2048
	s_waitcnt lgkmcnt(0)
	v_mul_f64 v[54:55], v[16:17], v[48:49]
	v_fma_f64 v[54:55], v[14:15], v[46:47], -v[54:55]
	v_mul_f64 v[48:49], v[14:15], v[48:49]
	v_fmac_f64_e32 v[48:49], v[16:17], v[46:47]
	v_add_f64 v[46:47], v[18:19], v[54:55]
	v_mul_f64 v[18:19], v[16:17], v[24:25]
	v_fma_f64 v[18:19], v[14:15], v[22:23], -v[18:19]
	v_mul_f64 v[14:15], v[14:15], v[24:25]
	v_fmac_f64_e32 v[14:15], v[16:17], v[22:23]
	v_add_f64 v[22:23], v[10:11], v[18:19]
	v_add_f64 v[24:25], v[14:15], v[12:13]
	ds_read_b128 v[10:13], v28 offset:512
	v_add_f64 v[48:49], v[48:49], v[20:21]
	s_waitcnt lgkmcnt(0)
	v_mul_f64 v[14:15], v[36:37], v[12:13]
	v_mul_f64 v[16:17], v[34:35], v[12:13]
	v_fma_f64 v[14:15], v[34:35], v[10:11], -v[14:15]
	v_fmac_f64_e32 v[16:17], v[36:37], v[10:11]
	v_add_f64 v[50:51], v[50:51], v[14:15]
	v_add_f64 v[52:53], v[16:17], v[52:53]
	ds_read_b128 v[14:17], v28 offset:768
	s_waitcnt lgkmcnt(0)
	v_mul_f64 v[18:19], v[36:37], v[16:17]
	v_mul_f64 v[20:21], v[34:35], v[16:17]
	v_fma_f64 v[18:19], v[34:35], v[14:15], -v[18:19]
	v_fmac_f64_e32 v[20:21], v[36:37], v[14:15]
	v_add_f64 v[32:33], v[32:33], v[18:19]
	v_add_f64 v[30:31], v[20:21], v[30:31]
	ds_read_b128 v[18:21], v29 offset:2064
	s_waitcnt lgkmcnt(0)
	v_mul_f64 v[34:35], v[20:21], v[12:13]
	v_mul_f64 v[12:13], v[18:19], v[12:13]
	v_fmac_f64_e32 v[12:13], v[20:21], v[10:11]
	v_fma_f64 v[34:35], v[18:19], v[10:11], -v[34:35]
	v_add_f64 v[36:37], v[12:13], v[48:49]
	v_mul_f64 v[10:11], v[20:21], v[16:17]
	v_mul_f64 v[12:13], v[18:19], v[16:17]
	v_fma_f64 v[10:11], v[18:19], v[14:15], -v[10:11]
	v_fmac_f64_e32 v[12:13], v[20:21], v[14:15]
	v_add_f64 v[22:23], v[22:23], v[10:11]
	v_add_f64 v[24:25], v[12:13], v[24:25]
	ds_read_b128 v[10:13], v28 offset:1024
	v_add_f64 v[34:35], v[46:47], v[34:35]
	s_waitcnt lgkmcnt(0)
	v_mul_f64 v[14:15], v[40:41], v[12:13]
	v_mul_f64 v[16:17], v[38:39], v[12:13]
	v_fma_f64 v[14:15], v[38:39], v[10:11], -v[14:15]
	v_fmac_f64_e32 v[16:17], v[40:41], v[10:11]
	v_add_f64 v[46:47], v[50:51], v[14:15]
	v_add_f64 v[48:49], v[16:17], v[52:53]
	ds_read_b128 v[14:17], v28 offset:1280
	s_waitcnt lgkmcnt(0)
	v_mul_f64 v[18:19], v[40:41], v[16:17]
	v_mul_f64 v[20:21], v[38:39], v[16:17]
	v_fma_f64 v[18:19], v[38:39], v[14:15], -v[18:19]
	v_fmac_f64_e32 v[20:21], v[40:41], v[14:15]
	v_add_f64 v[32:33], v[32:33], v[18:19]
	v_add_f64 v[30:31], v[20:21], v[30:31]
	ds_read_b128 v[18:21], v29 offset:2080
	s_waitcnt lgkmcnt(0)
	v_mul_f64 v[38:39], v[20:21], v[12:13]
	v_mul_f64 v[12:13], v[18:19], v[12:13]
	v_fmac_f64_e32 v[12:13], v[20:21], v[10:11]
	v_fma_f64 v[38:39], v[18:19], v[10:11], -v[38:39]
	v_add_f64 v[36:37], v[12:13], v[36:37]
	v_mul_f64 v[10:11], v[20:21], v[16:17]
	v_mul_f64 v[12:13], v[18:19], v[16:17]
	v_fma_f64 v[10:11], v[18:19], v[14:15], -v[10:11]
	;; [unrolled: 30-line block ×3, first 2 shown]
	v_fmac_f64_e32 v[12:13], v[20:21], v[14:15]
	v_add_f64 v[22:23], v[22:23], v[10:11]
	v_add_f64 v[24:25], v[12:13], v[24:25]
	ds_read_b128 v[10:13], v29 offset:64
	ds_read_b128 v[14:17], v28 offset:2048
	v_add_f64 v[34:35], v[34:35], v[42:43]
	s_waitcnt lgkmcnt(0)
	v_mul_f64 v[18:19], v[12:13], v[16:17]
	v_mul_f64 v[20:21], v[10:11], v[16:17]
	v_fma_f64 v[18:19], v[10:11], v[14:15], -v[18:19]
	v_fmac_f64_e32 v[20:21], v[12:13], v[14:15]
	v_add_f64 v[38:39], v[38:39], v[18:19]
	v_add_f64 v[40:41], v[20:21], v[40:41]
	ds_read_b128 v[18:21], v28 offset:2304
	s_waitcnt lgkmcnt(0)
	v_mul_f64 v[42:43], v[12:13], v[20:21]
	v_fma_f64 v[42:43], v[10:11], v[18:19], -v[42:43]
	v_mul_f64 v[10:11], v[10:11], v[20:21]
	v_fmac_f64_e32 v[10:11], v[12:13], v[18:19]
	v_add_f64 v[30:31], v[10:11], v[30:31]
	ds_read_b128 v[10:13], v29 offset:2112
	v_add_f64 v[32:33], v[32:33], v[42:43]
	s_waitcnt lgkmcnt(0)
	v_mul_f64 v[42:43], v[12:13], v[16:17]
	v_mul_f64 v[16:17], v[10:11], v[16:17]
	v_fma_f64 v[42:43], v[10:11], v[14:15], -v[42:43]
	v_fmac_f64_e32 v[16:17], v[12:13], v[14:15]
	v_mul_f64 v[14:15], v[12:13], v[20:21]
	v_fma_f64 v[14:15], v[10:11], v[18:19], -v[14:15]
	v_mul_f64 v[10:11], v[10:11], v[20:21]
	v_fmac_f64_e32 v[10:11], v[12:13], v[18:19]
	v_add_f64 v[36:37], v[16:17], v[36:37]
	v_add_f64 v[22:23], v[22:23], v[14:15]
	v_add_f64 v[24:25], v[10:11], v[24:25]
	ds_read_b128 v[10:13], v29 offset:80
	ds_read_b128 v[14:17], v28 offset:2560
	v_add_f64 v[34:35], v[34:35], v[42:43]
	s_waitcnt lgkmcnt(0)
	v_mul_f64 v[18:19], v[12:13], v[16:17]
	v_mul_f64 v[20:21], v[10:11], v[16:17]
	v_fma_f64 v[18:19], v[10:11], v[14:15], -v[18:19]
	v_fmac_f64_e32 v[20:21], v[12:13], v[14:15]
	v_add_f64 v[38:39], v[38:39], v[18:19]
	v_add_f64 v[40:41], v[20:21], v[40:41]
	ds_read_b128 v[18:21], v28 offset:2816
	s_waitcnt lgkmcnt(0)
	v_mul_f64 v[42:43], v[12:13], v[20:21]
	v_fma_f64 v[42:43], v[10:11], v[18:19], -v[42:43]
	v_mul_f64 v[10:11], v[10:11], v[20:21]
	v_fmac_f64_e32 v[10:11], v[12:13], v[18:19]
	v_add_f64 v[30:31], v[10:11], v[30:31]
	ds_read_b128 v[10:13], v29 offset:2128
	v_add_f64 v[32:33], v[32:33], v[42:43]
	s_waitcnt lgkmcnt(0)
	v_mul_f64 v[42:43], v[12:13], v[16:17]
	v_mul_f64 v[16:17], v[10:11], v[16:17]
	v_fma_f64 v[42:43], v[10:11], v[14:15], -v[42:43]
	v_fmac_f64_e32 v[16:17], v[12:13], v[14:15]
	v_mul_f64 v[14:15], v[12:13], v[20:21]
	v_fma_f64 v[14:15], v[10:11], v[18:19], -v[14:15]
	v_mul_f64 v[10:11], v[10:11], v[20:21]
	v_fmac_f64_e32 v[10:11], v[12:13], v[18:19]
	v_add_f64 v[36:37], v[16:17], v[36:37]
	;; [unrolled: 31-line block ×3, first 2 shown]
	ds_read_b128 v[10:13], v29 offset:112
	ds_read_b128 v[18:21], v28 offset:3584
	v_add_f64 v[34:35], v[34:35], v[30:31]
	ds_read_b128 v[30:33], v28 offset:3840
	v_add_f64 v[46:47], v[22:23], v[14:15]
	v_add_f64 v[36:37], v[16:17], v[36:37]
	s_waitcnt lgkmcnt(1)
	v_mul_f64 v[14:15], v[12:13], v[20:21]
	v_fma_f64 v[14:15], v[10:11], v[18:19], -v[14:15]
	v_add_f64 v[22:23], v[38:39], v[14:15]
	s_waitcnt lgkmcnt(0)
	v_mul_f64 v[14:15], v[12:13], v[32:33]
	v_mul_f64 v[16:17], v[10:11], v[20:21]
	v_fma_f64 v[14:15], v[10:11], v[30:31], -v[14:15]
	v_mul_f64 v[10:11], v[10:11], v[32:33]
	v_fmac_f64_e32 v[16:17], v[12:13], v[18:19]
	v_fmac_f64_e32 v[10:11], v[12:13], v[30:31]
	v_add_f64 v[24:25], v[16:17], v[40:41]
	v_add_f64 v[16:17], v[10:11], v[44:45]
	ds_read_b128 v[10:13], v29 offset:2160
	v_add_f64 v[14:15], v[42:43], v[14:15]
	s_waitcnt lgkmcnt(0)
	s_barrier
	v_mul_f64 v[38:39], v[12:13], v[20:21]
	v_fma_f64 v[38:39], v[10:11], v[18:19], -v[38:39]
	v_mul_f64 v[20:21], v[10:11], v[20:21]
	v_fmac_f64_e32 v[20:21], v[12:13], v[18:19]
	v_add_f64 v[18:19], v[34:35], v[38:39]
	v_mul_f64 v[34:35], v[12:13], v[32:33]
	v_mul_f64 v[32:33], v[10:11], v[32:33]
	v_fma_f64 v[34:35], v[10:11], v[30:31], -v[34:35]
	v_fmac_f64_e32 v[32:33], v[12:13], v[30:31]
	v_add_f64 v[20:21], v[20:21], v[36:37]
	v_add_f64 v[10:11], v[46:47], v[34:35]
	v_add_f64 v[12:13], v[32:33], v[48:49]
	s_cbranch_vccnz .LBB275_2
	s_branch .LBB275_4
.LBB275_3:
	v_mov_b64_e32 v[22:23], 0
	v_mov_b64_e32 v[24:25], 0
	;; [unrolled: 1-line block ×8, first 2 shown]
.LBB275_4:
	s_load_dwordx2 s[0:1], s[0:1], 0x90
	v_lshl_add_u64 v[2:3], s[14:15], 0, v[2:3]
	v_cmp_neq_f64_e64 s[14:15], s[10:11], 0
	v_cmp_neq_f64_e64 s[20:21], s[12:13], 0
	s_mov_b64 s[8:9], 0
	s_waitcnt lgkmcnt(0)
	s_lshl_b64 s[0:1], s[0:1], 4
	s_add_u32 s0, s6, s0
	s_addc_u32 s1, s7, s1
	s_or_b64 s[6:7], s[14:15], s[20:21]
	v_lshl_add_u64 v[0:1], s[2:3], 0, v[0:1]
	s_and_b64 vcc, exec, s[6:7]
	s_cbranch_vccnz .LBB275_6
; %bb.5:
	v_mul_lo_u32 v6, v3, s22
	v_mul_lo_u32 v7, v2, s23
	v_mad_u64_u32 v[4:5], s[2:3], v2, s22, 0
	v_add3_u32 v5, v5, v7, v6
	v_lshl_add_u64 v[8:9], v[4:5], 4, s[0:1]
	v_mul_f64 v[4:5], s[40:41], v[24:25]
	v_mul_f64 v[6:7], s[38:39], v[24:25]
	v_lshlrev_b64 v[26:27], 4, v[0:1]
	v_fma_f64 v[4:5], s[38:39], v[22:23], -v[4:5]
	v_fmac_f64_e32 v[6:7], s[40:41], v[22:23]
	v_lshl_add_u64 v[28:29], v[8:9], 0, v[26:27]
	flat_store_dwordx4 v[28:29], v[4:7]
	s_lshl_b64 s[2:3], s[22:23], 8
	v_lshl_add_u64 v[8:9], v[8:9], 0, s[2:3]
	v_mul_f64 v[4:5], s[40:41], v[16:17]
	v_mul_f64 v[6:7], s[38:39], v[16:17]
	v_fma_f64 v[4:5], s[38:39], v[14:15], -v[4:5]
	v_fmac_f64_e32 v[6:7], s[40:41], v[14:15]
	flat_store_dwordx4 v[28:29], v[4:7] offset:256
	v_lshl_add_u64 v[8:9], v[8:9], 0, v[26:27]
	s_mov_b64 s[2:3], 0x100
	v_mul_f64 v[4:5], s[40:41], v[20:21]
	v_mul_f64 v[6:7], s[38:39], v[20:21]
	v_fma_f64 v[4:5], s[38:39], v[18:19], -v[4:5]
	v_fmac_f64_e32 v[6:7], s[40:41], v[18:19]
	flat_store_dwordx4 v[8:9], v[4:7]
	s_nop 1
	v_mul_f64 v[4:5], s[40:41], v[12:13]
	v_fma_f64 v[26:27], s[38:39], v[10:11], -v[4:5]
	v_mul_f64 v[4:5], s[38:39], v[12:13]
	v_fmac_f64_e32 v[4:5], s[40:41], v[10:11]
	v_lshl_add_u64 v[6:7], v[8:9], 0, s[2:3]
	flat_store_dwordx2 v[8:9], v[26:27] offset:256
	s_andn2_b64 vcc, exec, s[8:9]
	s_cbranch_vccz .LBB275_7
	s_branch .LBB275_8
.LBB275_6:
                                        ; implicit-def: $vgpr4_vgpr5
                                        ; implicit-def: $vgpr6_vgpr7
.LBB275_7:
	s_lshl_b64 s[2:3], s[18:19], 4
	s_add_u32 s2, s4, s2
	s_addc_u32 s3, s5, s3
	v_mul_lo_u32 v6, v3, s16
	v_mul_lo_u32 v7, v2, s17
	v_mad_u64_u32 v[4:5], s[4:5], v2, s16, 0
	v_add3_u32 v5, v5, v7, v6
	v_lshl_add_u64 v[8:9], v[4:5], 4, s[2:3]
	v_lshlrev_b64 v[26:27], 4, v[0:1]
	v_lshl_add_u64 v[28:29], v[8:9], 0, v[26:27]
	flat_load_dwordx4 v[4:7], v[28:29]
	v_mul_lo_u32 v30, v3, s22
	v_mul_lo_u32 v31, v2, s23
	v_mad_u64_u32 v[0:1], s[2:3], v2, s22, 0
	v_mul_f64 v[2:3], s[40:41], v[24:25]
	v_mul_f64 v[24:25], s[38:39], v[24:25]
	v_add3_u32 v1, v1, v31, v30
	v_fma_f64 v[2:3], s[38:39], v[22:23], -v[2:3]
	v_fmac_f64_e32 v[24:25], s[40:41], v[22:23]
	v_lshl_add_u64 v[22:23], v[0:1], 4, s[0:1]
	v_lshl_add_u64 v[30:31], v[22:23], 0, v[26:27]
	s_lshl_b64 s[0:1], s[16:17], 8
	v_lshl_add_u64 v[8:9], v[8:9], 0, s[0:1]
	v_lshl_add_u64 v[8:9], v[8:9], 0, v[26:27]
	s_lshl_b64 s[0:1], s[22:23], 8
	s_waitcnt vmcnt(0) lgkmcnt(0)
	v_mul_f64 v[0:1], s[12:13], v[6:7]
	v_mul_f64 v[6:7], s[10:11], v[6:7]
	v_fma_f64 v[0:1], s[10:11], v[4:5], -v[0:1]
	v_fmac_f64_e32 v[6:7], s[12:13], v[4:5]
	v_add_f64 v[0:1], v[2:3], v[0:1]
	v_add_f64 v[2:3], v[24:25], v[6:7]
	flat_store_dwordx4 v[30:31], v[0:3]
	flat_load_dwordx4 v[0:3], v[28:29] offset:256
	v_mul_f64 v[4:5], s[40:41], v[16:17]
	v_mul_f64 v[6:7], s[38:39], v[16:17]
	v_fma_f64 v[4:5], s[38:39], v[14:15], -v[4:5]
	v_fmac_f64_e32 v[6:7], s[40:41], v[14:15]
	s_waitcnt vmcnt(0) lgkmcnt(0)
	v_mul_f64 v[14:15], s[12:13], v[2:3]
	v_mul_f64 v[2:3], s[10:11], v[2:3]
	v_fma_f64 v[14:15], s[10:11], v[0:1], -v[14:15]
	v_fmac_f64_e32 v[2:3], s[12:13], v[0:1]
	v_add_f64 v[0:1], v[4:5], v[14:15]
	v_add_f64 v[2:3], v[6:7], v[2:3]
	flat_store_dwordx4 v[30:31], v[0:3] offset:256
	flat_load_dwordx4 v[0:3], v[8:9]
	v_mul_f64 v[4:5], s[40:41], v[20:21]
	v_mul_f64 v[6:7], s[38:39], v[20:21]
	v_fma_f64 v[4:5], s[38:39], v[18:19], -v[4:5]
	v_fmac_f64_e32 v[6:7], s[40:41], v[18:19]
	v_lshl_add_u64 v[14:15], v[22:23], 0, s[0:1]
	v_lshl_add_u64 v[14:15], v[14:15], 0, v[26:27]
	s_mov_b64 s[0:1], 0x100
	s_waitcnt vmcnt(0) lgkmcnt(0)
	v_mul_f64 v[16:17], s[12:13], v[2:3]
	v_mul_f64 v[2:3], s[10:11], v[2:3]
	v_fma_f64 v[16:17], s[10:11], v[0:1], -v[16:17]
	v_fmac_f64_e32 v[2:3], s[12:13], v[0:1]
	v_add_f64 v[0:1], v[4:5], v[16:17]
	v_add_f64 v[2:3], v[6:7], v[2:3]
	flat_store_dwordx4 v[14:15], v[0:3]
	flat_load_dwordx4 v[0:3], v[8:9] offset:256
	v_mul_f64 v[4:5], s[40:41], v[12:13]
	v_mul_f64 v[6:7], s[38:39], v[12:13]
	v_fma_f64 v[4:5], s[38:39], v[10:11], -v[4:5]
	v_fmac_f64_e32 v[6:7], s[40:41], v[10:11]
	s_waitcnt vmcnt(0) lgkmcnt(0)
	v_mul_f64 v[8:9], s[12:13], v[2:3]
	v_mul_f64 v[2:3], s[10:11], v[2:3]
	v_fma_f64 v[8:9], s[10:11], v[0:1], -v[8:9]
	v_fmac_f64_e32 v[2:3], s[12:13], v[0:1]
	v_add_f64 v[0:1], v[4:5], v[8:9]
	v_add_f64 v[4:5], v[6:7], v[2:3]
	v_lshl_add_u64 v[6:7], v[14:15], 0, s[0:1]
	flat_store_dwordx2 v[14:15], v[0:1] offset:256
.LBB275_8:
	flat_store_dwordx2 v[6:7], v[4:5] offset:8
	s_endpgm
	.section	.rodata,"a",@progbits
	.p2align	6, 0x0
	.amdhsa_kernel _ZN12_GLOBAL__N_127rocblas_gemm_batched_kernelI19rocblas_complex_numIdELi16ELi16ELi32ELi32ELi8ELi32ELi8ELi8ELi32ELc84ELc84EKPKS2_S5_KPS2_EEvlllT_PT11_llSA_llS8_PT12_llPT13_lli
		.amdhsa_group_segment_fixed_size 8192
		.amdhsa_private_segment_fixed_size 0
		.amdhsa_kernarg_size 156
		.amdhsa_user_sgpr_count 2
		.amdhsa_user_sgpr_dispatch_ptr 0
		.amdhsa_user_sgpr_queue_ptr 0
		.amdhsa_user_sgpr_kernarg_segment_ptr 1
		.amdhsa_user_sgpr_dispatch_id 0
		.amdhsa_user_sgpr_kernarg_preload_length 0
		.amdhsa_user_sgpr_kernarg_preload_offset 0
		.amdhsa_user_sgpr_private_segment_size 0
		.amdhsa_uses_dynamic_stack 0
		.amdhsa_enable_private_segment 0
		.amdhsa_system_sgpr_workgroup_id_x 1
		.amdhsa_system_sgpr_workgroup_id_y 1
		.amdhsa_system_sgpr_workgroup_id_z 1
		.amdhsa_system_sgpr_workgroup_info 0
		.amdhsa_system_vgpr_workitem_id 1
		.amdhsa_next_free_vgpr 56
		.amdhsa_next_free_sgpr 52
		.amdhsa_accum_offset 56
		.amdhsa_reserve_vcc 1
		.amdhsa_float_round_mode_32 0
		.amdhsa_float_round_mode_16_64 0
		.amdhsa_float_denorm_mode_32 3
		.amdhsa_float_denorm_mode_16_64 3
		.amdhsa_dx10_clamp 1
		.amdhsa_ieee_mode 1
		.amdhsa_fp16_overflow 0
		.amdhsa_tg_split 0
		.amdhsa_exception_fp_ieee_invalid_op 0
		.amdhsa_exception_fp_denorm_src 0
		.amdhsa_exception_fp_ieee_div_zero 0
		.amdhsa_exception_fp_ieee_overflow 0
		.amdhsa_exception_fp_ieee_underflow 0
		.amdhsa_exception_fp_ieee_inexact 0
		.amdhsa_exception_int_div_zero 0
	.end_amdhsa_kernel
	.section	.text._ZN12_GLOBAL__N_127rocblas_gemm_batched_kernelI19rocblas_complex_numIdELi16ELi16ELi32ELi32ELi8ELi32ELi8ELi8ELi32ELc84ELc84EKPKS2_S5_KPS2_EEvlllT_PT11_llSA_llS8_PT12_llPT13_lli,"axG",@progbits,_ZN12_GLOBAL__N_127rocblas_gemm_batched_kernelI19rocblas_complex_numIdELi16ELi16ELi32ELi32ELi8ELi32ELi8ELi8ELi32ELc84ELc84EKPKS2_S5_KPS2_EEvlllT_PT11_llSA_llS8_PT12_llPT13_lli,comdat
.Lfunc_end275:
	.size	_ZN12_GLOBAL__N_127rocblas_gemm_batched_kernelI19rocblas_complex_numIdELi16ELi16ELi32ELi32ELi8ELi32ELi8ELi8ELi32ELc84ELc84EKPKS2_S5_KPS2_EEvlllT_PT11_llSA_llS8_PT12_llPT13_lli, .Lfunc_end275-_ZN12_GLOBAL__N_127rocblas_gemm_batched_kernelI19rocblas_complex_numIdELi16ELi16ELi32ELi32ELi8ELi32ELi8ELi8ELi32ELc84ELc84EKPKS2_S5_KPS2_EEvlllT_PT11_llSA_llS8_PT12_llPT13_lli
                                        ; -- End function
	.set _ZN12_GLOBAL__N_127rocblas_gemm_batched_kernelI19rocblas_complex_numIdELi16ELi16ELi32ELi32ELi8ELi32ELi8ELi8ELi32ELc84ELc84EKPKS2_S5_KPS2_EEvlllT_PT11_llSA_llS8_PT12_llPT13_lli.num_vgpr, 56
	.set _ZN12_GLOBAL__N_127rocblas_gemm_batched_kernelI19rocblas_complex_numIdELi16ELi16ELi32ELi32ELi8ELi32ELi8ELi8ELi32ELc84ELc84EKPKS2_S5_KPS2_EEvlllT_PT11_llSA_llS8_PT12_llPT13_lli.num_agpr, 0
	.set _ZN12_GLOBAL__N_127rocblas_gemm_batched_kernelI19rocblas_complex_numIdELi16ELi16ELi32ELi32ELi8ELi32ELi8ELi8ELi32ELc84ELc84EKPKS2_S5_KPS2_EEvlllT_PT11_llSA_llS8_PT12_llPT13_lli.numbered_sgpr, 52
	.set _ZN12_GLOBAL__N_127rocblas_gemm_batched_kernelI19rocblas_complex_numIdELi16ELi16ELi32ELi32ELi8ELi32ELi8ELi8ELi32ELc84ELc84EKPKS2_S5_KPS2_EEvlllT_PT11_llSA_llS8_PT12_llPT13_lli.num_named_barrier, 0
	.set _ZN12_GLOBAL__N_127rocblas_gemm_batched_kernelI19rocblas_complex_numIdELi16ELi16ELi32ELi32ELi8ELi32ELi8ELi8ELi32ELc84ELc84EKPKS2_S5_KPS2_EEvlllT_PT11_llSA_llS8_PT12_llPT13_lli.private_seg_size, 0
	.set _ZN12_GLOBAL__N_127rocblas_gemm_batched_kernelI19rocblas_complex_numIdELi16ELi16ELi32ELi32ELi8ELi32ELi8ELi8ELi32ELc84ELc84EKPKS2_S5_KPS2_EEvlllT_PT11_llSA_llS8_PT12_llPT13_lli.uses_vcc, 1
	.set _ZN12_GLOBAL__N_127rocblas_gemm_batched_kernelI19rocblas_complex_numIdELi16ELi16ELi32ELi32ELi8ELi32ELi8ELi8ELi32ELc84ELc84EKPKS2_S5_KPS2_EEvlllT_PT11_llSA_llS8_PT12_llPT13_lli.uses_flat_scratch, 0
	.set _ZN12_GLOBAL__N_127rocblas_gemm_batched_kernelI19rocblas_complex_numIdELi16ELi16ELi32ELi32ELi8ELi32ELi8ELi8ELi32ELc84ELc84EKPKS2_S5_KPS2_EEvlllT_PT11_llSA_llS8_PT12_llPT13_lli.has_dyn_sized_stack, 0
	.set _ZN12_GLOBAL__N_127rocblas_gemm_batched_kernelI19rocblas_complex_numIdELi16ELi16ELi32ELi32ELi8ELi32ELi8ELi8ELi32ELc84ELc84EKPKS2_S5_KPS2_EEvlllT_PT11_llSA_llS8_PT12_llPT13_lli.has_recursion, 0
	.set _ZN12_GLOBAL__N_127rocblas_gemm_batched_kernelI19rocblas_complex_numIdELi16ELi16ELi32ELi32ELi8ELi32ELi8ELi8ELi32ELc84ELc84EKPKS2_S5_KPS2_EEvlllT_PT11_llSA_llS8_PT12_llPT13_lli.has_indirect_call, 0
	.section	.AMDGPU.csdata,"",@progbits
; Kernel info:
; codeLenInByte = 3180
; TotalNumSgprs: 58
; NumVgprs: 56
; NumAgprs: 0
; TotalNumVgprs: 56
; ScratchSize: 0
; MemoryBound: 0
; FloatMode: 240
; IeeeMode: 1
; LDSByteSize: 8192 bytes/workgroup (compile time only)
; SGPRBlocks: 7
; VGPRBlocks: 6
; NumSGPRsForWavesPerEU: 58
; NumVGPRsForWavesPerEU: 56
; AccumOffset: 56
; Occupancy: 8
; WaveLimiterHint : 1
; COMPUTE_PGM_RSRC2:SCRATCH_EN: 0
; COMPUTE_PGM_RSRC2:USER_SGPR: 2
; COMPUTE_PGM_RSRC2:TRAP_HANDLER: 0
; COMPUTE_PGM_RSRC2:TGID_X_EN: 1
; COMPUTE_PGM_RSRC2:TGID_Y_EN: 1
; COMPUTE_PGM_RSRC2:TGID_Z_EN: 1
; COMPUTE_PGM_RSRC2:TIDIG_COMP_CNT: 1
; COMPUTE_PGM_RSRC3_GFX90A:ACCUM_OFFSET: 13
; COMPUTE_PGM_RSRC3_GFX90A:TG_SPLIT: 0
	.section	.text._ZN12_GLOBAL__N_127rocblas_gemm_batched_kernelI19rocblas_complex_numIdELi16ELi16ELi32ELi32ELi8ELi32ELi8ELi8ELi32ELc67ELc67EKPKS2_S5_KPS2_EEvlllT_PT11_llSA_llS8_PT12_llPT13_lli,"axG",@progbits,_ZN12_GLOBAL__N_127rocblas_gemm_batched_kernelI19rocblas_complex_numIdELi16ELi16ELi32ELi32ELi8ELi32ELi8ELi8ELi32ELc67ELc67EKPKS2_S5_KPS2_EEvlllT_PT11_llSA_llS8_PT12_llPT13_lli,comdat
	.globl	_ZN12_GLOBAL__N_127rocblas_gemm_batched_kernelI19rocblas_complex_numIdELi16ELi16ELi32ELi32ELi8ELi32ELi8ELi8ELi32ELc67ELc67EKPKS2_S5_KPS2_EEvlllT_PT11_llSA_llS8_PT12_llPT13_lli ; -- Begin function _ZN12_GLOBAL__N_127rocblas_gemm_batched_kernelI19rocblas_complex_numIdELi16ELi16ELi32ELi32ELi8ELi32ELi8ELi8ELi32ELc67ELc67EKPKS2_S5_KPS2_EEvlllT_PT11_llSA_llS8_PT12_llPT13_lli
	.p2align	8
	.type	_ZN12_GLOBAL__N_127rocblas_gemm_batched_kernelI19rocblas_complex_numIdELi16ELi16ELi32ELi32ELi8ELi32ELi8ELi8ELi32ELc67ELc67EKPKS2_S5_KPS2_EEvlllT_PT11_llSA_llS8_PT12_llPT13_lli,@function
_ZN12_GLOBAL__N_127rocblas_gemm_batched_kernelI19rocblas_complex_numIdELi16ELi16ELi32ELi32ELi8ELi32ELi8ELi8ELi32ELc67ELc67EKPKS2_S5_KPS2_EEvlllT_PT11_llSA_llS8_PT12_llPT13_lli: ; @_ZN12_GLOBAL__N_127rocblas_gemm_batched_kernelI19rocblas_complex_numIdELi16ELi16ELi32ELi32ELi8ELi32ELi8ELi8ELi32ELc67ELc67EKPKS2_S5_KPS2_EEvlllT_PT11_llSA_llS8_PT12_llPT13_lli
; %bb.0:
	s_load_dwordx16 s[36:51], s[0:1], 0x10
	s_load_dwordx16 s[8:23], s[0:1], 0x50
	s_mov_b32 s5, 0
	s_lshl_b64 s[24:25], s[4:5], 3
	s_mov_b32 s26, s3
	v_mov_b32_e32 v3, 0
	s_waitcnt lgkmcnt(0)
	s_add_u32 s4, s14, s24
	s_addc_u32 s5, s15, s25
	s_add_u32 s6, s20, s24
	s_addc_u32 s7, s21, s25
	s_load_dwordx2 s[4:5], s[4:5], 0x0
	s_ashr_i32 s3, s2, 31
	s_load_dwordx2 s[6:7], s[6:7], 0x0
	s_ashr_i32 s27, s26, 31
	v_cmp_lt_i64_e64 s[20:21], s[36:37], 1
	v_bfe_u32 v2, v0, 10, 10
	v_and_b32_e32 v0, 0x3ff, v0
	v_mov_b32_e32 v1, v3
	s_lshl_b64 s[2:3], s[2:3], 5
	s_lshl_b64 s[14:15], s[26:27], 5
	s_and_b64 vcc, exec, s[20:21]
	s_cbranch_vccnz .LBB276_3
; %bb.1:
	v_lshl_add_u32 v10, v2, 4, v0
	v_lshrrev_b32_e32 v4, 3, v10
	v_mov_b32_e32 v5, v3
	s_add_u32 s20, s42, s24
	v_lshl_add_u64 v[6:7], v[4:5], 0, s[14:15]
	v_and_b32_e32 v5, 7, v0
	s_addc_u32 s21, s43, s25
	v_mad_u64_u32 v[6:7], s[26:27], s50, v5, v[6:7]
	s_add_u32 s24, s48, s24
	v_mov_b32_e32 v8, v7
	s_addc_u32 s25, s49, s25
	v_mad_u64_u32 v[8:9], s[26:27], s51, v5, v[8:9]
	v_lshlrev_b32_e32 v5, 4, v5
	s_load_dwordx2 s[24:25], s[24:25], 0x0
	v_lshl_or_b32 v4, v4, 7, v5
	v_mov_b32_e32 v7, v8
	v_and_b32_e32 v8, 31, v10
	v_mov_b32_e32 v9, v3
	v_add_u32_e32 v27, 0x1000, v4
	v_mov_b32_e32 v4, 0x1000
	s_load_dwordx2 s[20:21], s[20:21], 0x0
	v_lshl_add_u32 v29, v2, 7, v4
	v_lshl_add_u64 v[4:5], s[2:3], 0, v[8:9]
	v_lshlrev_b32_e32 v11, 4, v8
	v_mul_lo_u32 v8, s45, v4
	v_mul_lo_u32 v9, s44, v5
	v_mad_u64_u32 v[4:5], s[26:27], s44, v4, 0
	v_lshrrev_b32_e32 v10, 5, v10
	v_add3_u32 v5, v5, v9, v8
	s_lshl_b64 s[26:27], s[46:47], 4
	s_lshl_b64 s[8:9], s[8:9], 4
	v_lshl_add_u64 v[4:5], v[4:5], 4, s[26:27]
	v_lshlrev_b32_e32 v8, 4, v10
	v_mov_b32_e32 v9, v3
	s_waitcnt lgkmcnt(0)
	s_add_u32 s8, s24, s8
	v_lshl_add_u64 v[4:5], v[4:5], 0, v[8:9]
	s_addc_u32 s9, s25, s9
	v_lshl_or_b32 v26, v10, 9, v11
	v_lshlrev_b32_e32 v28, 4, v0
	v_lshl_add_u64 v[4:5], s[20:21], 0, v[4:5]
	v_lshl_add_u64 v[6:7], v[6:7], 4, s[8:9]
	s_lshl_b64 s[8:9], s[50:51], 7
	s_mov_b64 s[20:21], 0
	v_mov_b64_e32 v[12:13], 0
	s_mov_b64 s[24:25], 0x80
	v_mov_b64_e32 v[8:9], s[36:37]
	v_mov_b64_e32 v[10:11], 0
	;; [unrolled: 1-line block ×8, first 2 shown]
.LBB276_2:                              ; =>This Inner Loop Header: Depth=1
	flat_load_dwordx4 v[30:33], v[4:5]
	s_add_u32 s20, s20, 8
	s_addc_u32 s21, s21, 0
	v_cmp_lt_i64_e32 vcc, s[20:21], v[8:9]
	v_lshl_add_u64 v[4:5], v[4:5], 0, s[24:25]
	s_and_b64 vcc, exec, vcc
	s_waitcnt vmcnt(0) lgkmcnt(0)
	v_xor_b32_e32 v33, 0x80000000, v33
	ds_write_b128 v26, v[30:33]
	flat_load_dwordx4 v[30:33], v[6:7]
	v_lshl_add_u64 v[6:7], v[6:7], 0, s[8:9]
	s_waitcnt vmcnt(0) lgkmcnt(0)
	v_xor_b32_e32 v33, 0x80000000, v33
	ds_write_b128 v27, v[30:33]
	s_waitcnt lgkmcnt(0)
	s_barrier
	ds_read_b128 v[30:33], v29
	ds_read_b128 v[34:37], v29 offset:16
	ds_read_b128 v[38:41], v29 offset:32
	;; [unrolled: 1-line block ×3, first 2 shown]
	ds_read_b128 v[46:49], v28
	s_waitcnt lgkmcnt(0)
	v_mul_f64 v[50:51], v[32:33], v[48:49]
	v_mul_f64 v[52:53], v[30:31], v[48:49]
	v_fma_f64 v[50:51], v[30:31], v[46:47], -v[50:51]
	v_fmac_f64_e32 v[52:53], v[32:33], v[46:47]
	v_add_f64 v[50:51], v[22:23], v[50:51]
	v_add_f64 v[52:53], v[52:53], v[24:25]
	ds_read_b128 v[22:25], v28 offset:256
	s_waitcnt lgkmcnt(0)
	v_mul_f64 v[54:55], v[32:33], v[24:25]
	v_fma_f64 v[54:55], v[30:31], v[22:23], -v[54:55]
	v_mul_f64 v[30:31], v[30:31], v[24:25]
	v_fmac_f64_e32 v[30:31], v[32:33], v[22:23]
	v_add_f64 v[32:33], v[14:15], v[54:55]
	v_add_f64 v[30:31], v[30:31], v[16:17]
	ds_read_b128 v[14:17], v29 offset:2048
	s_waitcnt lgkmcnt(0)
	v_mul_f64 v[54:55], v[16:17], v[48:49]
	v_fma_f64 v[54:55], v[14:15], v[46:47], -v[54:55]
	v_mul_f64 v[48:49], v[14:15], v[48:49]
	v_fmac_f64_e32 v[48:49], v[16:17], v[46:47]
	v_add_f64 v[46:47], v[18:19], v[54:55]
	v_mul_f64 v[18:19], v[16:17], v[24:25]
	v_fma_f64 v[18:19], v[14:15], v[22:23], -v[18:19]
	v_mul_f64 v[14:15], v[14:15], v[24:25]
	v_fmac_f64_e32 v[14:15], v[16:17], v[22:23]
	v_add_f64 v[22:23], v[10:11], v[18:19]
	v_add_f64 v[24:25], v[14:15], v[12:13]
	ds_read_b128 v[10:13], v28 offset:512
	v_add_f64 v[48:49], v[48:49], v[20:21]
	s_waitcnt lgkmcnt(0)
	v_mul_f64 v[14:15], v[36:37], v[12:13]
	v_mul_f64 v[16:17], v[34:35], v[12:13]
	v_fma_f64 v[14:15], v[34:35], v[10:11], -v[14:15]
	v_fmac_f64_e32 v[16:17], v[36:37], v[10:11]
	v_add_f64 v[50:51], v[50:51], v[14:15]
	v_add_f64 v[52:53], v[16:17], v[52:53]
	ds_read_b128 v[14:17], v28 offset:768
	s_waitcnt lgkmcnt(0)
	v_mul_f64 v[18:19], v[36:37], v[16:17]
	v_mul_f64 v[20:21], v[34:35], v[16:17]
	v_fma_f64 v[18:19], v[34:35], v[14:15], -v[18:19]
	v_fmac_f64_e32 v[20:21], v[36:37], v[14:15]
	v_add_f64 v[32:33], v[32:33], v[18:19]
	v_add_f64 v[30:31], v[20:21], v[30:31]
	ds_read_b128 v[18:21], v29 offset:2064
	s_waitcnt lgkmcnt(0)
	v_mul_f64 v[34:35], v[20:21], v[12:13]
	v_mul_f64 v[12:13], v[18:19], v[12:13]
	v_fmac_f64_e32 v[12:13], v[20:21], v[10:11]
	v_fma_f64 v[34:35], v[18:19], v[10:11], -v[34:35]
	v_add_f64 v[36:37], v[12:13], v[48:49]
	v_mul_f64 v[10:11], v[20:21], v[16:17]
	v_mul_f64 v[12:13], v[18:19], v[16:17]
	v_fma_f64 v[10:11], v[18:19], v[14:15], -v[10:11]
	v_fmac_f64_e32 v[12:13], v[20:21], v[14:15]
	v_add_f64 v[22:23], v[22:23], v[10:11]
	v_add_f64 v[24:25], v[12:13], v[24:25]
	ds_read_b128 v[10:13], v28 offset:1024
	v_add_f64 v[34:35], v[46:47], v[34:35]
	s_waitcnt lgkmcnt(0)
	v_mul_f64 v[14:15], v[40:41], v[12:13]
	v_mul_f64 v[16:17], v[38:39], v[12:13]
	v_fma_f64 v[14:15], v[38:39], v[10:11], -v[14:15]
	v_fmac_f64_e32 v[16:17], v[40:41], v[10:11]
	v_add_f64 v[46:47], v[50:51], v[14:15]
	v_add_f64 v[48:49], v[16:17], v[52:53]
	ds_read_b128 v[14:17], v28 offset:1280
	s_waitcnt lgkmcnt(0)
	v_mul_f64 v[18:19], v[40:41], v[16:17]
	v_mul_f64 v[20:21], v[38:39], v[16:17]
	v_fma_f64 v[18:19], v[38:39], v[14:15], -v[18:19]
	v_fmac_f64_e32 v[20:21], v[40:41], v[14:15]
	v_add_f64 v[32:33], v[32:33], v[18:19]
	v_add_f64 v[30:31], v[20:21], v[30:31]
	ds_read_b128 v[18:21], v29 offset:2080
	s_waitcnt lgkmcnt(0)
	v_mul_f64 v[38:39], v[20:21], v[12:13]
	v_mul_f64 v[12:13], v[18:19], v[12:13]
	v_fmac_f64_e32 v[12:13], v[20:21], v[10:11]
	v_fma_f64 v[38:39], v[18:19], v[10:11], -v[38:39]
	v_add_f64 v[36:37], v[12:13], v[36:37]
	v_mul_f64 v[10:11], v[20:21], v[16:17]
	v_mul_f64 v[12:13], v[18:19], v[16:17]
	v_fma_f64 v[10:11], v[18:19], v[14:15], -v[10:11]
	;; [unrolled: 30-line block ×3, first 2 shown]
	v_fmac_f64_e32 v[12:13], v[20:21], v[14:15]
	v_add_f64 v[22:23], v[22:23], v[10:11]
	v_add_f64 v[24:25], v[12:13], v[24:25]
	ds_read_b128 v[10:13], v29 offset:64
	ds_read_b128 v[14:17], v28 offset:2048
	v_add_f64 v[34:35], v[34:35], v[42:43]
	s_waitcnt lgkmcnt(0)
	v_mul_f64 v[18:19], v[12:13], v[16:17]
	v_mul_f64 v[20:21], v[10:11], v[16:17]
	v_fma_f64 v[18:19], v[10:11], v[14:15], -v[18:19]
	v_fmac_f64_e32 v[20:21], v[12:13], v[14:15]
	v_add_f64 v[38:39], v[38:39], v[18:19]
	v_add_f64 v[40:41], v[20:21], v[40:41]
	ds_read_b128 v[18:21], v28 offset:2304
	s_waitcnt lgkmcnt(0)
	v_mul_f64 v[42:43], v[12:13], v[20:21]
	v_fma_f64 v[42:43], v[10:11], v[18:19], -v[42:43]
	v_mul_f64 v[10:11], v[10:11], v[20:21]
	v_fmac_f64_e32 v[10:11], v[12:13], v[18:19]
	v_add_f64 v[30:31], v[10:11], v[30:31]
	ds_read_b128 v[10:13], v29 offset:2112
	v_add_f64 v[32:33], v[32:33], v[42:43]
	s_waitcnt lgkmcnt(0)
	v_mul_f64 v[42:43], v[12:13], v[16:17]
	v_mul_f64 v[16:17], v[10:11], v[16:17]
	v_fma_f64 v[42:43], v[10:11], v[14:15], -v[42:43]
	v_fmac_f64_e32 v[16:17], v[12:13], v[14:15]
	v_mul_f64 v[14:15], v[12:13], v[20:21]
	v_fma_f64 v[14:15], v[10:11], v[18:19], -v[14:15]
	v_mul_f64 v[10:11], v[10:11], v[20:21]
	v_fmac_f64_e32 v[10:11], v[12:13], v[18:19]
	v_add_f64 v[36:37], v[16:17], v[36:37]
	v_add_f64 v[22:23], v[22:23], v[14:15]
	v_add_f64 v[24:25], v[10:11], v[24:25]
	ds_read_b128 v[10:13], v29 offset:80
	ds_read_b128 v[14:17], v28 offset:2560
	v_add_f64 v[34:35], v[34:35], v[42:43]
	s_waitcnt lgkmcnt(0)
	v_mul_f64 v[18:19], v[12:13], v[16:17]
	v_mul_f64 v[20:21], v[10:11], v[16:17]
	v_fma_f64 v[18:19], v[10:11], v[14:15], -v[18:19]
	v_fmac_f64_e32 v[20:21], v[12:13], v[14:15]
	v_add_f64 v[38:39], v[38:39], v[18:19]
	v_add_f64 v[40:41], v[20:21], v[40:41]
	ds_read_b128 v[18:21], v28 offset:2816
	s_waitcnt lgkmcnt(0)
	v_mul_f64 v[42:43], v[12:13], v[20:21]
	v_fma_f64 v[42:43], v[10:11], v[18:19], -v[42:43]
	v_mul_f64 v[10:11], v[10:11], v[20:21]
	v_fmac_f64_e32 v[10:11], v[12:13], v[18:19]
	v_add_f64 v[30:31], v[10:11], v[30:31]
	ds_read_b128 v[10:13], v29 offset:2128
	v_add_f64 v[32:33], v[32:33], v[42:43]
	s_waitcnt lgkmcnt(0)
	v_mul_f64 v[42:43], v[12:13], v[16:17]
	v_mul_f64 v[16:17], v[10:11], v[16:17]
	v_fma_f64 v[42:43], v[10:11], v[14:15], -v[42:43]
	v_fmac_f64_e32 v[16:17], v[12:13], v[14:15]
	v_mul_f64 v[14:15], v[12:13], v[20:21]
	v_fma_f64 v[14:15], v[10:11], v[18:19], -v[14:15]
	v_mul_f64 v[10:11], v[10:11], v[20:21]
	v_fmac_f64_e32 v[10:11], v[12:13], v[18:19]
	v_add_f64 v[36:37], v[16:17], v[36:37]
	;; [unrolled: 31-line block ×3, first 2 shown]
	ds_read_b128 v[10:13], v29 offset:112
	ds_read_b128 v[18:21], v28 offset:3584
	v_add_f64 v[34:35], v[34:35], v[30:31]
	ds_read_b128 v[30:33], v28 offset:3840
	v_add_f64 v[46:47], v[22:23], v[14:15]
	v_add_f64 v[36:37], v[16:17], v[36:37]
	s_waitcnt lgkmcnt(1)
	v_mul_f64 v[14:15], v[12:13], v[20:21]
	v_fma_f64 v[14:15], v[10:11], v[18:19], -v[14:15]
	v_add_f64 v[22:23], v[38:39], v[14:15]
	s_waitcnt lgkmcnt(0)
	v_mul_f64 v[14:15], v[12:13], v[32:33]
	v_mul_f64 v[16:17], v[10:11], v[20:21]
	v_fma_f64 v[14:15], v[10:11], v[30:31], -v[14:15]
	v_mul_f64 v[10:11], v[10:11], v[32:33]
	v_fmac_f64_e32 v[16:17], v[12:13], v[18:19]
	v_fmac_f64_e32 v[10:11], v[12:13], v[30:31]
	v_add_f64 v[24:25], v[16:17], v[40:41]
	v_add_f64 v[16:17], v[10:11], v[44:45]
	ds_read_b128 v[10:13], v29 offset:2160
	v_add_f64 v[14:15], v[42:43], v[14:15]
	s_waitcnt lgkmcnt(0)
	s_barrier
	v_mul_f64 v[38:39], v[12:13], v[20:21]
	v_fma_f64 v[38:39], v[10:11], v[18:19], -v[38:39]
	v_mul_f64 v[20:21], v[10:11], v[20:21]
	v_fmac_f64_e32 v[20:21], v[12:13], v[18:19]
	v_add_f64 v[18:19], v[34:35], v[38:39]
	v_mul_f64 v[34:35], v[12:13], v[32:33]
	v_mul_f64 v[32:33], v[10:11], v[32:33]
	v_fma_f64 v[34:35], v[10:11], v[30:31], -v[34:35]
	v_fmac_f64_e32 v[32:33], v[12:13], v[30:31]
	v_add_f64 v[20:21], v[20:21], v[36:37]
	v_add_f64 v[10:11], v[46:47], v[34:35]
	;; [unrolled: 1-line block ×3, first 2 shown]
	s_cbranch_vccnz .LBB276_2
	s_branch .LBB276_4
.LBB276_3:
	v_mov_b64_e32 v[22:23], 0
	v_mov_b64_e32 v[24:25], 0
	;; [unrolled: 1-line block ×8, first 2 shown]
.LBB276_4:
	s_load_dwordx2 s[0:1], s[0:1], 0x90
	v_lshl_add_u64 v[2:3], s[14:15], 0, v[2:3]
	v_cmp_neq_f64_e64 s[14:15], s[10:11], 0
	v_cmp_neq_f64_e64 s[20:21], s[12:13], 0
	s_mov_b64 s[8:9], 0
	s_waitcnt lgkmcnt(0)
	s_lshl_b64 s[0:1], s[0:1], 4
	s_add_u32 s0, s6, s0
	s_addc_u32 s1, s7, s1
	s_or_b64 s[6:7], s[14:15], s[20:21]
	v_lshl_add_u64 v[0:1], s[2:3], 0, v[0:1]
	s_and_b64 vcc, exec, s[6:7]
	s_cbranch_vccnz .LBB276_6
; %bb.5:
	v_mul_lo_u32 v6, v3, s22
	v_mul_lo_u32 v7, v2, s23
	v_mad_u64_u32 v[4:5], s[2:3], v2, s22, 0
	v_add3_u32 v5, v5, v7, v6
	v_lshl_add_u64 v[8:9], v[4:5], 4, s[0:1]
	v_mul_f64 v[4:5], s[40:41], v[24:25]
	v_mul_f64 v[6:7], s[38:39], v[24:25]
	v_lshlrev_b64 v[26:27], 4, v[0:1]
	v_fma_f64 v[4:5], s[38:39], v[22:23], -v[4:5]
	v_fmac_f64_e32 v[6:7], s[40:41], v[22:23]
	v_lshl_add_u64 v[28:29], v[8:9], 0, v[26:27]
	flat_store_dwordx4 v[28:29], v[4:7]
	s_lshl_b64 s[2:3], s[22:23], 8
	v_lshl_add_u64 v[8:9], v[8:9], 0, s[2:3]
	v_mul_f64 v[4:5], s[40:41], v[16:17]
	v_mul_f64 v[6:7], s[38:39], v[16:17]
	v_fma_f64 v[4:5], s[38:39], v[14:15], -v[4:5]
	v_fmac_f64_e32 v[6:7], s[40:41], v[14:15]
	flat_store_dwordx4 v[28:29], v[4:7] offset:256
	v_lshl_add_u64 v[8:9], v[8:9], 0, v[26:27]
	s_mov_b64 s[2:3], 0x100
	v_mul_f64 v[4:5], s[40:41], v[20:21]
	v_mul_f64 v[6:7], s[38:39], v[20:21]
	v_fma_f64 v[4:5], s[38:39], v[18:19], -v[4:5]
	v_fmac_f64_e32 v[6:7], s[40:41], v[18:19]
	flat_store_dwordx4 v[8:9], v[4:7]
	s_nop 1
	v_mul_f64 v[4:5], s[40:41], v[12:13]
	v_fma_f64 v[26:27], s[38:39], v[10:11], -v[4:5]
	v_mul_f64 v[4:5], s[38:39], v[12:13]
	v_fmac_f64_e32 v[4:5], s[40:41], v[10:11]
	v_lshl_add_u64 v[6:7], v[8:9], 0, s[2:3]
	flat_store_dwordx2 v[8:9], v[26:27] offset:256
	s_andn2_b64 vcc, exec, s[8:9]
	s_cbranch_vccz .LBB276_7
	s_branch .LBB276_8
.LBB276_6:
                                        ; implicit-def: $vgpr4_vgpr5
                                        ; implicit-def: $vgpr6_vgpr7
.LBB276_7:
	s_lshl_b64 s[2:3], s[18:19], 4
	s_add_u32 s2, s4, s2
	s_addc_u32 s3, s5, s3
	v_mul_lo_u32 v6, v3, s16
	v_mul_lo_u32 v7, v2, s17
	v_mad_u64_u32 v[4:5], s[4:5], v2, s16, 0
	v_add3_u32 v5, v5, v7, v6
	v_lshl_add_u64 v[8:9], v[4:5], 4, s[2:3]
	v_lshlrev_b64 v[26:27], 4, v[0:1]
	v_lshl_add_u64 v[28:29], v[8:9], 0, v[26:27]
	flat_load_dwordx4 v[4:7], v[28:29]
	v_mul_lo_u32 v30, v3, s22
	v_mul_lo_u32 v31, v2, s23
	v_mad_u64_u32 v[0:1], s[2:3], v2, s22, 0
	v_mul_f64 v[2:3], s[40:41], v[24:25]
	v_mul_f64 v[24:25], s[38:39], v[24:25]
	v_add3_u32 v1, v1, v31, v30
	v_fma_f64 v[2:3], s[38:39], v[22:23], -v[2:3]
	v_fmac_f64_e32 v[24:25], s[40:41], v[22:23]
	v_lshl_add_u64 v[22:23], v[0:1], 4, s[0:1]
	v_lshl_add_u64 v[30:31], v[22:23], 0, v[26:27]
	s_lshl_b64 s[0:1], s[16:17], 8
	v_lshl_add_u64 v[8:9], v[8:9], 0, s[0:1]
	v_lshl_add_u64 v[8:9], v[8:9], 0, v[26:27]
	s_lshl_b64 s[0:1], s[22:23], 8
	s_waitcnt vmcnt(0) lgkmcnt(0)
	v_mul_f64 v[0:1], s[12:13], v[6:7]
	v_mul_f64 v[6:7], s[10:11], v[6:7]
	v_fma_f64 v[0:1], s[10:11], v[4:5], -v[0:1]
	v_fmac_f64_e32 v[6:7], s[12:13], v[4:5]
	v_add_f64 v[0:1], v[2:3], v[0:1]
	v_add_f64 v[2:3], v[24:25], v[6:7]
	flat_store_dwordx4 v[30:31], v[0:3]
	flat_load_dwordx4 v[0:3], v[28:29] offset:256
	v_mul_f64 v[4:5], s[40:41], v[16:17]
	v_mul_f64 v[6:7], s[38:39], v[16:17]
	v_fma_f64 v[4:5], s[38:39], v[14:15], -v[4:5]
	v_fmac_f64_e32 v[6:7], s[40:41], v[14:15]
	s_waitcnt vmcnt(0) lgkmcnt(0)
	v_mul_f64 v[14:15], s[12:13], v[2:3]
	v_mul_f64 v[2:3], s[10:11], v[2:3]
	v_fma_f64 v[14:15], s[10:11], v[0:1], -v[14:15]
	v_fmac_f64_e32 v[2:3], s[12:13], v[0:1]
	v_add_f64 v[0:1], v[4:5], v[14:15]
	v_add_f64 v[2:3], v[6:7], v[2:3]
	flat_store_dwordx4 v[30:31], v[0:3] offset:256
	flat_load_dwordx4 v[0:3], v[8:9]
	v_mul_f64 v[4:5], s[40:41], v[20:21]
	v_mul_f64 v[6:7], s[38:39], v[20:21]
	v_fma_f64 v[4:5], s[38:39], v[18:19], -v[4:5]
	v_fmac_f64_e32 v[6:7], s[40:41], v[18:19]
	v_lshl_add_u64 v[14:15], v[22:23], 0, s[0:1]
	v_lshl_add_u64 v[14:15], v[14:15], 0, v[26:27]
	s_mov_b64 s[0:1], 0x100
	s_waitcnt vmcnt(0) lgkmcnt(0)
	v_mul_f64 v[16:17], s[12:13], v[2:3]
	v_mul_f64 v[2:3], s[10:11], v[2:3]
	v_fma_f64 v[16:17], s[10:11], v[0:1], -v[16:17]
	v_fmac_f64_e32 v[2:3], s[12:13], v[0:1]
	v_add_f64 v[0:1], v[4:5], v[16:17]
	v_add_f64 v[2:3], v[6:7], v[2:3]
	flat_store_dwordx4 v[14:15], v[0:3]
	flat_load_dwordx4 v[0:3], v[8:9] offset:256
	v_mul_f64 v[4:5], s[40:41], v[12:13]
	v_mul_f64 v[6:7], s[38:39], v[12:13]
	v_fma_f64 v[4:5], s[38:39], v[10:11], -v[4:5]
	v_fmac_f64_e32 v[6:7], s[40:41], v[10:11]
	s_waitcnt vmcnt(0) lgkmcnt(0)
	v_mul_f64 v[8:9], s[12:13], v[2:3]
	v_mul_f64 v[2:3], s[10:11], v[2:3]
	v_fma_f64 v[8:9], s[10:11], v[0:1], -v[8:9]
	v_fmac_f64_e32 v[2:3], s[12:13], v[0:1]
	v_add_f64 v[0:1], v[4:5], v[8:9]
	v_add_f64 v[4:5], v[6:7], v[2:3]
	v_lshl_add_u64 v[6:7], v[14:15], 0, s[0:1]
	flat_store_dwordx2 v[14:15], v[0:1] offset:256
.LBB276_8:
	flat_store_dwordx2 v[6:7], v[4:5] offset:8
	s_endpgm
	.section	.rodata,"a",@progbits
	.p2align	6, 0x0
	.amdhsa_kernel _ZN12_GLOBAL__N_127rocblas_gemm_batched_kernelI19rocblas_complex_numIdELi16ELi16ELi32ELi32ELi8ELi32ELi8ELi8ELi32ELc67ELc67EKPKS2_S5_KPS2_EEvlllT_PT11_llSA_llS8_PT12_llPT13_lli
		.amdhsa_group_segment_fixed_size 8192
		.amdhsa_private_segment_fixed_size 0
		.amdhsa_kernarg_size 156
		.amdhsa_user_sgpr_count 2
		.amdhsa_user_sgpr_dispatch_ptr 0
		.amdhsa_user_sgpr_queue_ptr 0
		.amdhsa_user_sgpr_kernarg_segment_ptr 1
		.amdhsa_user_sgpr_dispatch_id 0
		.amdhsa_user_sgpr_kernarg_preload_length 0
		.amdhsa_user_sgpr_kernarg_preload_offset 0
		.amdhsa_user_sgpr_private_segment_size 0
		.amdhsa_uses_dynamic_stack 0
		.amdhsa_enable_private_segment 0
		.amdhsa_system_sgpr_workgroup_id_x 1
		.amdhsa_system_sgpr_workgroup_id_y 1
		.amdhsa_system_sgpr_workgroup_id_z 1
		.amdhsa_system_sgpr_workgroup_info 0
		.amdhsa_system_vgpr_workitem_id 1
		.amdhsa_next_free_vgpr 56
		.amdhsa_next_free_sgpr 52
		.amdhsa_accum_offset 56
		.amdhsa_reserve_vcc 1
		.amdhsa_float_round_mode_32 0
		.amdhsa_float_round_mode_16_64 0
		.amdhsa_float_denorm_mode_32 3
		.amdhsa_float_denorm_mode_16_64 3
		.amdhsa_dx10_clamp 1
		.amdhsa_ieee_mode 1
		.amdhsa_fp16_overflow 0
		.amdhsa_tg_split 0
		.amdhsa_exception_fp_ieee_invalid_op 0
		.amdhsa_exception_fp_denorm_src 0
		.amdhsa_exception_fp_ieee_div_zero 0
		.amdhsa_exception_fp_ieee_overflow 0
		.amdhsa_exception_fp_ieee_underflow 0
		.amdhsa_exception_fp_ieee_inexact 0
		.amdhsa_exception_int_div_zero 0
	.end_amdhsa_kernel
	.section	.text._ZN12_GLOBAL__N_127rocblas_gemm_batched_kernelI19rocblas_complex_numIdELi16ELi16ELi32ELi32ELi8ELi32ELi8ELi8ELi32ELc67ELc67EKPKS2_S5_KPS2_EEvlllT_PT11_llSA_llS8_PT12_llPT13_lli,"axG",@progbits,_ZN12_GLOBAL__N_127rocblas_gemm_batched_kernelI19rocblas_complex_numIdELi16ELi16ELi32ELi32ELi8ELi32ELi8ELi8ELi32ELc67ELc67EKPKS2_S5_KPS2_EEvlllT_PT11_llSA_llS8_PT12_llPT13_lli,comdat
.Lfunc_end276:
	.size	_ZN12_GLOBAL__N_127rocblas_gemm_batched_kernelI19rocblas_complex_numIdELi16ELi16ELi32ELi32ELi8ELi32ELi8ELi8ELi32ELc67ELc67EKPKS2_S5_KPS2_EEvlllT_PT11_llSA_llS8_PT12_llPT13_lli, .Lfunc_end276-_ZN12_GLOBAL__N_127rocblas_gemm_batched_kernelI19rocblas_complex_numIdELi16ELi16ELi32ELi32ELi8ELi32ELi8ELi8ELi32ELc67ELc67EKPKS2_S5_KPS2_EEvlllT_PT11_llSA_llS8_PT12_llPT13_lli
                                        ; -- End function
	.set _ZN12_GLOBAL__N_127rocblas_gemm_batched_kernelI19rocblas_complex_numIdELi16ELi16ELi32ELi32ELi8ELi32ELi8ELi8ELi32ELc67ELc67EKPKS2_S5_KPS2_EEvlllT_PT11_llSA_llS8_PT12_llPT13_lli.num_vgpr, 56
	.set _ZN12_GLOBAL__N_127rocblas_gemm_batched_kernelI19rocblas_complex_numIdELi16ELi16ELi32ELi32ELi8ELi32ELi8ELi8ELi32ELc67ELc67EKPKS2_S5_KPS2_EEvlllT_PT11_llSA_llS8_PT12_llPT13_lli.num_agpr, 0
	.set _ZN12_GLOBAL__N_127rocblas_gemm_batched_kernelI19rocblas_complex_numIdELi16ELi16ELi32ELi32ELi8ELi32ELi8ELi8ELi32ELc67ELc67EKPKS2_S5_KPS2_EEvlllT_PT11_llSA_llS8_PT12_llPT13_lli.numbered_sgpr, 52
	.set _ZN12_GLOBAL__N_127rocblas_gemm_batched_kernelI19rocblas_complex_numIdELi16ELi16ELi32ELi32ELi8ELi32ELi8ELi8ELi32ELc67ELc67EKPKS2_S5_KPS2_EEvlllT_PT11_llSA_llS8_PT12_llPT13_lli.num_named_barrier, 0
	.set _ZN12_GLOBAL__N_127rocblas_gemm_batched_kernelI19rocblas_complex_numIdELi16ELi16ELi32ELi32ELi8ELi32ELi8ELi8ELi32ELc67ELc67EKPKS2_S5_KPS2_EEvlllT_PT11_llSA_llS8_PT12_llPT13_lli.private_seg_size, 0
	.set _ZN12_GLOBAL__N_127rocblas_gemm_batched_kernelI19rocblas_complex_numIdELi16ELi16ELi32ELi32ELi8ELi32ELi8ELi8ELi32ELc67ELc67EKPKS2_S5_KPS2_EEvlllT_PT11_llSA_llS8_PT12_llPT13_lli.uses_vcc, 1
	.set _ZN12_GLOBAL__N_127rocblas_gemm_batched_kernelI19rocblas_complex_numIdELi16ELi16ELi32ELi32ELi8ELi32ELi8ELi8ELi32ELc67ELc67EKPKS2_S5_KPS2_EEvlllT_PT11_llSA_llS8_PT12_llPT13_lli.uses_flat_scratch, 0
	.set _ZN12_GLOBAL__N_127rocblas_gemm_batched_kernelI19rocblas_complex_numIdELi16ELi16ELi32ELi32ELi8ELi32ELi8ELi8ELi32ELc67ELc67EKPKS2_S5_KPS2_EEvlllT_PT11_llSA_llS8_PT12_llPT13_lli.has_dyn_sized_stack, 0
	.set _ZN12_GLOBAL__N_127rocblas_gemm_batched_kernelI19rocblas_complex_numIdELi16ELi16ELi32ELi32ELi8ELi32ELi8ELi8ELi32ELc67ELc67EKPKS2_S5_KPS2_EEvlllT_PT11_llSA_llS8_PT12_llPT13_lli.has_recursion, 0
	.set _ZN12_GLOBAL__N_127rocblas_gemm_batched_kernelI19rocblas_complex_numIdELi16ELi16ELi32ELi32ELi8ELi32ELi8ELi8ELi32ELc67ELc67EKPKS2_S5_KPS2_EEvlllT_PT11_llSA_llS8_PT12_llPT13_lli.has_indirect_call, 0
	.section	.AMDGPU.csdata,"",@progbits
; Kernel info:
; codeLenInByte = 3196
; TotalNumSgprs: 58
; NumVgprs: 56
; NumAgprs: 0
; TotalNumVgprs: 56
; ScratchSize: 0
; MemoryBound: 0
; FloatMode: 240
; IeeeMode: 1
; LDSByteSize: 8192 bytes/workgroup (compile time only)
; SGPRBlocks: 7
; VGPRBlocks: 6
; NumSGPRsForWavesPerEU: 58
; NumVGPRsForWavesPerEU: 56
; AccumOffset: 56
; Occupancy: 8
; WaveLimiterHint : 1
; COMPUTE_PGM_RSRC2:SCRATCH_EN: 0
; COMPUTE_PGM_RSRC2:USER_SGPR: 2
; COMPUTE_PGM_RSRC2:TRAP_HANDLER: 0
; COMPUTE_PGM_RSRC2:TGID_X_EN: 1
; COMPUTE_PGM_RSRC2:TGID_Y_EN: 1
; COMPUTE_PGM_RSRC2:TGID_Z_EN: 1
; COMPUTE_PGM_RSRC2:TIDIG_COMP_CNT: 1
; COMPUTE_PGM_RSRC3_GFX90A:ACCUM_OFFSET: 13
; COMPUTE_PGM_RSRC3_GFX90A:TG_SPLIT: 0
	.section	.text._ZN12_GLOBAL__N_127rocblas_gemm_batched_kernelI19rocblas_complex_numIdELi16ELi16ELi32ELi32ELi8ELi32ELi8ELi8ELi32ELc67ELc78EKPKS2_S5_KPS2_EEvlllT_PT11_llSA_llS8_PT12_llPT13_lli,"axG",@progbits,_ZN12_GLOBAL__N_127rocblas_gemm_batched_kernelI19rocblas_complex_numIdELi16ELi16ELi32ELi32ELi8ELi32ELi8ELi8ELi32ELc67ELc78EKPKS2_S5_KPS2_EEvlllT_PT11_llSA_llS8_PT12_llPT13_lli,comdat
	.globl	_ZN12_GLOBAL__N_127rocblas_gemm_batched_kernelI19rocblas_complex_numIdELi16ELi16ELi32ELi32ELi8ELi32ELi8ELi8ELi32ELc67ELc78EKPKS2_S5_KPS2_EEvlllT_PT11_llSA_llS8_PT12_llPT13_lli ; -- Begin function _ZN12_GLOBAL__N_127rocblas_gemm_batched_kernelI19rocblas_complex_numIdELi16ELi16ELi32ELi32ELi8ELi32ELi8ELi8ELi32ELc67ELc78EKPKS2_S5_KPS2_EEvlllT_PT11_llSA_llS8_PT12_llPT13_lli
	.p2align	8
	.type	_ZN12_GLOBAL__N_127rocblas_gemm_batched_kernelI19rocblas_complex_numIdELi16ELi16ELi32ELi32ELi8ELi32ELi8ELi8ELi32ELc67ELc78EKPKS2_S5_KPS2_EEvlllT_PT11_llSA_llS8_PT12_llPT13_lli,@function
_ZN12_GLOBAL__N_127rocblas_gemm_batched_kernelI19rocblas_complex_numIdELi16ELi16ELi32ELi32ELi8ELi32ELi8ELi8ELi32ELc67ELc78EKPKS2_S5_KPS2_EEvlllT_PT11_llSA_llS8_PT12_llPT13_lli: ; @_ZN12_GLOBAL__N_127rocblas_gemm_batched_kernelI19rocblas_complex_numIdELi16ELi16ELi32ELi32ELi8ELi32ELi8ELi8ELi32ELc67ELc78EKPKS2_S5_KPS2_EEvlllT_PT11_llSA_llS8_PT12_llPT13_lli
; %bb.0:
	s_load_dwordx16 s[36:51], s[0:1], 0x10
	s_load_dwordx16 s[8:23], s[0:1], 0x50
	s_mov_b32 s5, 0
	s_lshl_b64 s[24:25], s[4:5], 3
	s_mov_b32 s26, s3
	v_mov_b32_e32 v3, 0
	s_waitcnt lgkmcnt(0)
	s_add_u32 s4, s14, s24
	s_addc_u32 s5, s15, s25
	s_add_u32 s6, s20, s24
	s_addc_u32 s7, s21, s25
	s_load_dwordx2 s[4:5], s[4:5], 0x0
	s_ashr_i32 s3, s2, 31
	s_load_dwordx2 s[6:7], s[6:7], 0x0
	s_ashr_i32 s27, s26, 31
	v_cmp_lt_i64_e64 s[20:21], s[36:37], 1
	v_bfe_u32 v2, v0, 10, 10
	v_and_b32_e32 v0, 0x3ff, v0
	v_mov_b32_e32 v1, v3
	s_lshl_b64 s[2:3], s[2:3], 5
	s_lshl_b64 s[14:15], s[26:27], 5
	s_and_b64 vcc, exec, s[20:21]
	s_cbranch_vccnz .LBB277_3
; %bb.1:
	v_lshl_add_u32 v10, v2, 4, v0
	v_lshrrev_b32_e32 v4, 3, v10
	v_mov_b32_e32 v5, v3
	v_and_b32_e32 v8, 31, v10
	v_lshl_add_u64 v[6:7], v[4:5], 0, s[14:15]
	v_and_b32_e32 v5, 7, v0
	v_lshrrev_b32_e32 v11, 5, v10
	v_lshlrev_b32_e32 v10, 4, v8
	v_lshl_or_b32 v26, v11, 9, v10
	v_lshlrev_b32_e32 v10, 4, v5
	s_add_u32 s20, s42, s24
	v_lshl_or_b32 v4, v4, 7, v10
	s_addc_u32 s21, s43, s25
	v_mov_b32_e32 v9, v3
	v_add_u32_e32 v27, 0x1000, v4
	v_mov_b32_e32 v4, 0x1000
	s_load_dwordx2 s[20:21], s[20:21], 0x0
	v_lshl_add_u32 v29, v2, 7, v4
	v_lshl_add_u64 v[4:5], s[2:3], 0, v[8:9]
	s_add_u32 s24, s48, s24
	v_mul_lo_u32 v8, s45, v4
	v_mul_lo_u32 v9, s44, v5
	v_mad_u64_u32 v[4:5], s[26:27], s44, v4, 0
	s_addc_u32 s25, s49, s25
	v_add3_u32 v5, v5, v9, v8
	s_lshl_b64 s[26:27], s[46:47], 4
	v_lshl_add_u64 v[4:5], v[4:5], 4, s[26:27]
	v_lshlrev_b32_e32 v8, 4, v11
	v_mov_b32_e32 v9, v3
	s_load_dwordx2 s[24:25], s[24:25], 0x0
	v_lshl_add_u64 v[4:5], v[4:5], 0, v[8:9]
	s_waitcnt lgkmcnt(0)
	v_lshl_add_u64 v[4:5], s[20:21], 0, v[4:5]
	v_mul_lo_u32 v8, s51, v6
	v_mul_lo_u32 v9, s50, v7
	v_mad_u64_u32 v[6:7], s[20:21], s50, v6, 0
	v_add3_u32 v7, v7, v9, v8
	s_lshl_b64 s[8:9], s[8:9], 4
	v_lshl_add_u64 v[6:7], v[6:7], 4, s[8:9]
	v_mov_b32_e32 v11, v3
	v_lshl_add_u64 v[6:7], v[6:7], 0, v[10:11]
	v_lshlrev_b32_e32 v28, 4, v0
	v_lshl_add_u64 v[6:7], s[24:25], 0, v[6:7]
	s_mov_b64 s[8:9], 0
	v_mov_b64_e32 v[12:13], 0
	s_mov_b64 s[20:21], 0x80
	v_mov_b64_e32 v[8:9], s[36:37]
	v_mov_b64_e32 v[10:11], 0
	;; [unrolled: 1-line block ×8, first 2 shown]
.LBB277_2:                              ; =>This Inner Loop Header: Depth=1
	flat_load_dwordx4 v[30:33], v[4:5]
	s_add_u32 s8, s8, 8
	s_addc_u32 s9, s9, 0
	v_cmp_lt_i64_e32 vcc, s[8:9], v[8:9]
	v_lshl_add_u64 v[4:5], v[4:5], 0, s[20:21]
	s_and_b64 vcc, exec, vcc
	s_waitcnt vmcnt(0) lgkmcnt(0)
	v_xor_b32_e32 v33, 0x80000000, v33
	ds_write_b128 v26, v[30:33]
	flat_load_dwordx4 v[30:33], v[6:7]
	v_lshl_add_u64 v[6:7], v[6:7], 0, s[20:21]
	s_waitcnt vmcnt(0) lgkmcnt(0)
	ds_write2_b64 v27, v[30:31], v[32:33] offset1:1
	s_waitcnt lgkmcnt(0)
	s_barrier
	ds_read_b128 v[30:33], v29
	ds_read_b128 v[34:37], v29 offset:16
	ds_read_b128 v[38:41], v29 offset:32
	;; [unrolled: 1-line block ×3, first 2 shown]
	ds_read_b128 v[46:49], v28
	s_waitcnt lgkmcnt(0)
	v_mul_f64 v[50:51], v[32:33], v[48:49]
	v_mul_f64 v[52:53], v[30:31], v[48:49]
	v_fma_f64 v[50:51], v[30:31], v[46:47], -v[50:51]
	v_fmac_f64_e32 v[52:53], v[32:33], v[46:47]
	v_add_f64 v[50:51], v[22:23], v[50:51]
	v_add_f64 v[52:53], v[52:53], v[24:25]
	ds_read_b128 v[22:25], v28 offset:256
	s_waitcnt lgkmcnt(0)
	v_mul_f64 v[54:55], v[32:33], v[24:25]
	v_fma_f64 v[54:55], v[30:31], v[22:23], -v[54:55]
	v_mul_f64 v[30:31], v[30:31], v[24:25]
	v_fmac_f64_e32 v[30:31], v[32:33], v[22:23]
	v_add_f64 v[32:33], v[14:15], v[54:55]
	v_add_f64 v[30:31], v[30:31], v[16:17]
	ds_read_b128 v[14:17], v29 offset:2048
	s_waitcnt lgkmcnt(0)
	v_mul_f64 v[54:55], v[16:17], v[48:49]
	v_fma_f64 v[54:55], v[14:15], v[46:47], -v[54:55]
	v_mul_f64 v[48:49], v[14:15], v[48:49]
	v_fmac_f64_e32 v[48:49], v[16:17], v[46:47]
	v_add_f64 v[46:47], v[18:19], v[54:55]
	v_mul_f64 v[18:19], v[16:17], v[24:25]
	v_fma_f64 v[18:19], v[14:15], v[22:23], -v[18:19]
	v_mul_f64 v[14:15], v[14:15], v[24:25]
	v_fmac_f64_e32 v[14:15], v[16:17], v[22:23]
	v_add_f64 v[22:23], v[10:11], v[18:19]
	v_add_f64 v[24:25], v[14:15], v[12:13]
	ds_read_b128 v[10:13], v28 offset:512
	v_add_f64 v[48:49], v[48:49], v[20:21]
	s_waitcnt lgkmcnt(0)
	v_mul_f64 v[14:15], v[36:37], v[12:13]
	v_mul_f64 v[16:17], v[34:35], v[12:13]
	v_fma_f64 v[14:15], v[34:35], v[10:11], -v[14:15]
	v_fmac_f64_e32 v[16:17], v[36:37], v[10:11]
	v_add_f64 v[50:51], v[50:51], v[14:15]
	v_add_f64 v[52:53], v[16:17], v[52:53]
	ds_read_b128 v[14:17], v28 offset:768
	s_waitcnt lgkmcnt(0)
	v_mul_f64 v[18:19], v[36:37], v[16:17]
	v_mul_f64 v[20:21], v[34:35], v[16:17]
	v_fma_f64 v[18:19], v[34:35], v[14:15], -v[18:19]
	v_fmac_f64_e32 v[20:21], v[36:37], v[14:15]
	v_add_f64 v[32:33], v[32:33], v[18:19]
	v_add_f64 v[30:31], v[20:21], v[30:31]
	ds_read_b128 v[18:21], v29 offset:2064
	s_waitcnt lgkmcnt(0)
	v_mul_f64 v[34:35], v[20:21], v[12:13]
	v_mul_f64 v[12:13], v[18:19], v[12:13]
	v_fmac_f64_e32 v[12:13], v[20:21], v[10:11]
	v_fma_f64 v[34:35], v[18:19], v[10:11], -v[34:35]
	v_add_f64 v[36:37], v[12:13], v[48:49]
	v_mul_f64 v[10:11], v[20:21], v[16:17]
	v_mul_f64 v[12:13], v[18:19], v[16:17]
	v_fma_f64 v[10:11], v[18:19], v[14:15], -v[10:11]
	v_fmac_f64_e32 v[12:13], v[20:21], v[14:15]
	v_add_f64 v[22:23], v[22:23], v[10:11]
	v_add_f64 v[24:25], v[12:13], v[24:25]
	ds_read_b128 v[10:13], v28 offset:1024
	v_add_f64 v[34:35], v[46:47], v[34:35]
	s_waitcnt lgkmcnt(0)
	v_mul_f64 v[14:15], v[40:41], v[12:13]
	v_mul_f64 v[16:17], v[38:39], v[12:13]
	v_fma_f64 v[14:15], v[38:39], v[10:11], -v[14:15]
	v_fmac_f64_e32 v[16:17], v[40:41], v[10:11]
	v_add_f64 v[46:47], v[50:51], v[14:15]
	v_add_f64 v[48:49], v[16:17], v[52:53]
	ds_read_b128 v[14:17], v28 offset:1280
	s_waitcnt lgkmcnt(0)
	v_mul_f64 v[18:19], v[40:41], v[16:17]
	v_mul_f64 v[20:21], v[38:39], v[16:17]
	v_fma_f64 v[18:19], v[38:39], v[14:15], -v[18:19]
	v_fmac_f64_e32 v[20:21], v[40:41], v[14:15]
	v_add_f64 v[32:33], v[32:33], v[18:19]
	v_add_f64 v[30:31], v[20:21], v[30:31]
	ds_read_b128 v[18:21], v29 offset:2080
	s_waitcnt lgkmcnt(0)
	v_mul_f64 v[38:39], v[20:21], v[12:13]
	v_mul_f64 v[12:13], v[18:19], v[12:13]
	v_fmac_f64_e32 v[12:13], v[20:21], v[10:11]
	v_fma_f64 v[38:39], v[18:19], v[10:11], -v[38:39]
	v_add_f64 v[36:37], v[12:13], v[36:37]
	v_mul_f64 v[10:11], v[20:21], v[16:17]
	v_mul_f64 v[12:13], v[18:19], v[16:17]
	v_fma_f64 v[10:11], v[18:19], v[14:15], -v[10:11]
	;; [unrolled: 30-line block ×3, first 2 shown]
	v_fmac_f64_e32 v[12:13], v[20:21], v[14:15]
	v_add_f64 v[22:23], v[22:23], v[10:11]
	v_add_f64 v[24:25], v[12:13], v[24:25]
	ds_read_b128 v[10:13], v29 offset:64
	ds_read_b128 v[14:17], v28 offset:2048
	v_add_f64 v[34:35], v[34:35], v[42:43]
	s_waitcnt lgkmcnt(0)
	v_mul_f64 v[18:19], v[12:13], v[16:17]
	v_mul_f64 v[20:21], v[10:11], v[16:17]
	v_fma_f64 v[18:19], v[10:11], v[14:15], -v[18:19]
	v_fmac_f64_e32 v[20:21], v[12:13], v[14:15]
	v_add_f64 v[38:39], v[38:39], v[18:19]
	v_add_f64 v[40:41], v[20:21], v[40:41]
	ds_read_b128 v[18:21], v28 offset:2304
	s_waitcnt lgkmcnt(0)
	v_mul_f64 v[42:43], v[12:13], v[20:21]
	v_fma_f64 v[42:43], v[10:11], v[18:19], -v[42:43]
	v_mul_f64 v[10:11], v[10:11], v[20:21]
	v_fmac_f64_e32 v[10:11], v[12:13], v[18:19]
	v_add_f64 v[30:31], v[10:11], v[30:31]
	ds_read_b128 v[10:13], v29 offset:2112
	v_add_f64 v[32:33], v[32:33], v[42:43]
	s_waitcnt lgkmcnt(0)
	v_mul_f64 v[42:43], v[12:13], v[16:17]
	v_mul_f64 v[16:17], v[10:11], v[16:17]
	v_fma_f64 v[42:43], v[10:11], v[14:15], -v[42:43]
	v_fmac_f64_e32 v[16:17], v[12:13], v[14:15]
	v_mul_f64 v[14:15], v[12:13], v[20:21]
	v_fma_f64 v[14:15], v[10:11], v[18:19], -v[14:15]
	v_mul_f64 v[10:11], v[10:11], v[20:21]
	v_fmac_f64_e32 v[10:11], v[12:13], v[18:19]
	v_add_f64 v[36:37], v[16:17], v[36:37]
	v_add_f64 v[22:23], v[22:23], v[14:15]
	v_add_f64 v[24:25], v[10:11], v[24:25]
	ds_read_b128 v[10:13], v29 offset:80
	ds_read_b128 v[14:17], v28 offset:2560
	v_add_f64 v[34:35], v[34:35], v[42:43]
	s_waitcnt lgkmcnt(0)
	v_mul_f64 v[18:19], v[12:13], v[16:17]
	v_mul_f64 v[20:21], v[10:11], v[16:17]
	v_fma_f64 v[18:19], v[10:11], v[14:15], -v[18:19]
	v_fmac_f64_e32 v[20:21], v[12:13], v[14:15]
	v_add_f64 v[38:39], v[38:39], v[18:19]
	v_add_f64 v[40:41], v[20:21], v[40:41]
	ds_read_b128 v[18:21], v28 offset:2816
	s_waitcnt lgkmcnt(0)
	v_mul_f64 v[42:43], v[12:13], v[20:21]
	v_fma_f64 v[42:43], v[10:11], v[18:19], -v[42:43]
	v_mul_f64 v[10:11], v[10:11], v[20:21]
	v_fmac_f64_e32 v[10:11], v[12:13], v[18:19]
	v_add_f64 v[30:31], v[10:11], v[30:31]
	ds_read_b128 v[10:13], v29 offset:2128
	v_add_f64 v[32:33], v[32:33], v[42:43]
	s_waitcnt lgkmcnt(0)
	v_mul_f64 v[42:43], v[12:13], v[16:17]
	v_mul_f64 v[16:17], v[10:11], v[16:17]
	v_fma_f64 v[42:43], v[10:11], v[14:15], -v[42:43]
	v_fmac_f64_e32 v[16:17], v[12:13], v[14:15]
	v_mul_f64 v[14:15], v[12:13], v[20:21]
	v_fma_f64 v[14:15], v[10:11], v[18:19], -v[14:15]
	v_mul_f64 v[10:11], v[10:11], v[20:21]
	v_fmac_f64_e32 v[10:11], v[12:13], v[18:19]
	v_add_f64 v[36:37], v[16:17], v[36:37]
	;; [unrolled: 31-line block ×3, first 2 shown]
	ds_read_b128 v[10:13], v29 offset:112
	ds_read_b128 v[18:21], v28 offset:3584
	v_add_f64 v[34:35], v[34:35], v[30:31]
	ds_read_b128 v[30:33], v28 offset:3840
	v_add_f64 v[46:47], v[22:23], v[14:15]
	v_add_f64 v[36:37], v[16:17], v[36:37]
	s_waitcnt lgkmcnt(1)
	v_mul_f64 v[14:15], v[12:13], v[20:21]
	v_fma_f64 v[14:15], v[10:11], v[18:19], -v[14:15]
	v_add_f64 v[22:23], v[38:39], v[14:15]
	s_waitcnt lgkmcnt(0)
	v_mul_f64 v[14:15], v[12:13], v[32:33]
	v_mul_f64 v[16:17], v[10:11], v[20:21]
	v_fma_f64 v[14:15], v[10:11], v[30:31], -v[14:15]
	v_mul_f64 v[10:11], v[10:11], v[32:33]
	v_fmac_f64_e32 v[16:17], v[12:13], v[18:19]
	v_fmac_f64_e32 v[10:11], v[12:13], v[30:31]
	v_add_f64 v[24:25], v[16:17], v[40:41]
	v_add_f64 v[16:17], v[10:11], v[44:45]
	ds_read_b128 v[10:13], v29 offset:2160
	v_add_f64 v[14:15], v[42:43], v[14:15]
	s_waitcnt lgkmcnt(0)
	s_barrier
	v_mul_f64 v[38:39], v[12:13], v[20:21]
	v_fma_f64 v[38:39], v[10:11], v[18:19], -v[38:39]
	v_mul_f64 v[20:21], v[10:11], v[20:21]
	v_fmac_f64_e32 v[20:21], v[12:13], v[18:19]
	v_add_f64 v[18:19], v[34:35], v[38:39]
	v_mul_f64 v[34:35], v[12:13], v[32:33]
	v_mul_f64 v[32:33], v[10:11], v[32:33]
	v_fma_f64 v[34:35], v[10:11], v[30:31], -v[34:35]
	v_fmac_f64_e32 v[32:33], v[12:13], v[30:31]
	v_add_f64 v[20:21], v[20:21], v[36:37]
	v_add_f64 v[10:11], v[46:47], v[34:35]
	;; [unrolled: 1-line block ×3, first 2 shown]
	s_cbranch_vccnz .LBB277_2
	s_branch .LBB277_4
.LBB277_3:
	v_mov_b64_e32 v[22:23], 0
	v_mov_b64_e32 v[24:25], 0
	v_mov_b64_e32 v[14:15], 0
	v_mov_b64_e32 v[16:17], 0
	v_mov_b64_e32 v[18:19], 0
	v_mov_b64_e32 v[20:21], 0
	v_mov_b64_e32 v[10:11], 0
	v_mov_b64_e32 v[12:13], 0
.LBB277_4:
	s_load_dwordx2 s[0:1], s[0:1], 0x90
	v_lshl_add_u64 v[2:3], s[14:15], 0, v[2:3]
	v_cmp_neq_f64_e64 s[14:15], s[10:11], 0
	v_cmp_neq_f64_e64 s[20:21], s[12:13], 0
	s_mov_b64 s[8:9], 0
	s_waitcnt lgkmcnt(0)
	s_lshl_b64 s[0:1], s[0:1], 4
	s_add_u32 s0, s6, s0
	s_addc_u32 s1, s7, s1
	s_or_b64 s[6:7], s[14:15], s[20:21]
	v_lshl_add_u64 v[0:1], s[2:3], 0, v[0:1]
	s_and_b64 vcc, exec, s[6:7]
	s_cbranch_vccnz .LBB277_6
; %bb.5:
	v_mul_lo_u32 v6, v3, s22
	v_mul_lo_u32 v7, v2, s23
	v_mad_u64_u32 v[4:5], s[2:3], v2, s22, 0
	v_add3_u32 v5, v5, v7, v6
	v_lshl_add_u64 v[8:9], v[4:5], 4, s[0:1]
	v_mul_f64 v[4:5], s[40:41], v[24:25]
	v_mul_f64 v[6:7], s[38:39], v[24:25]
	v_lshlrev_b64 v[26:27], 4, v[0:1]
	v_fma_f64 v[4:5], s[38:39], v[22:23], -v[4:5]
	v_fmac_f64_e32 v[6:7], s[40:41], v[22:23]
	v_lshl_add_u64 v[28:29], v[8:9], 0, v[26:27]
	flat_store_dwordx4 v[28:29], v[4:7]
	s_lshl_b64 s[2:3], s[22:23], 8
	v_lshl_add_u64 v[8:9], v[8:9], 0, s[2:3]
	v_mul_f64 v[4:5], s[40:41], v[16:17]
	v_mul_f64 v[6:7], s[38:39], v[16:17]
	v_fma_f64 v[4:5], s[38:39], v[14:15], -v[4:5]
	v_fmac_f64_e32 v[6:7], s[40:41], v[14:15]
	flat_store_dwordx4 v[28:29], v[4:7] offset:256
	v_lshl_add_u64 v[8:9], v[8:9], 0, v[26:27]
	s_mov_b64 s[2:3], 0x100
	v_mul_f64 v[4:5], s[40:41], v[20:21]
	v_mul_f64 v[6:7], s[38:39], v[20:21]
	v_fma_f64 v[4:5], s[38:39], v[18:19], -v[4:5]
	v_fmac_f64_e32 v[6:7], s[40:41], v[18:19]
	flat_store_dwordx4 v[8:9], v[4:7]
	s_nop 1
	v_mul_f64 v[4:5], s[40:41], v[12:13]
	v_fma_f64 v[26:27], s[38:39], v[10:11], -v[4:5]
	v_mul_f64 v[4:5], s[38:39], v[12:13]
	v_fmac_f64_e32 v[4:5], s[40:41], v[10:11]
	v_lshl_add_u64 v[6:7], v[8:9], 0, s[2:3]
	flat_store_dwordx2 v[8:9], v[26:27] offset:256
	s_andn2_b64 vcc, exec, s[8:9]
	s_cbranch_vccz .LBB277_7
	s_branch .LBB277_8
.LBB277_6:
                                        ; implicit-def: $vgpr4_vgpr5
                                        ; implicit-def: $vgpr6_vgpr7
.LBB277_7:
	s_lshl_b64 s[2:3], s[18:19], 4
	s_add_u32 s2, s4, s2
	s_addc_u32 s3, s5, s3
	v_mul_lo_u32 v6, v3, s16
	v_mul_lo_u32 v7, v2, s17
	v_mad_u64_u32 v[4:5], s[4:5], v2, s16, 0
	v_add3_u32 v5, v5, v7, v6
	v_lshl_add_u64 v[8:9], v[4:5], 4, s[2:3]
	v_lshlrev_b64 v[26:27], 4, v[0:1]
	v_lshl_add_u64 v[28:29], v[8:9], 0, v[26:27]
	flat_load_dwordx4 v[4:7], v[28:29]
	v_mul_lo_u32 v30, v3, s22
	v_mul_lo_u32 v31, v2, s23
	v_mad_u64_u32 v[0:1], s[2:3], v2, s22, 0
	v_mul_f64 v[2:3], s[40:41], v[24:25]
	v_mul_f64 v[24:25], s[38:39], v[24:25]
	v_add3_u32 v1, v1, v31, v30
	v_fma_f64 v[2:3], s[38:39], v[22:23], -v[2:3]
	v_fmac_f64_e32 v[24:25], s[40:41], v[22:23]
	v_lshl_add_u64 v[22:23], v[0:1], 4, s[0:1]
	v_lshl_add_u64 v[30:31], v[22:23], 0, v[26:27]
	s_lshl_b64 s[0:1], s[16:17], 8
	v_lshl_add_u64 v[8:9], v[8:9], 0, s[0:1]
	v_lshl_add_u64 v[8:9], v[8:9], 0, v[26:27]
	s_lshl_b64 s[0:1], s[22:23], 8
	s_waitcnt vmcnt(0) lgkmcnt(0)
	v_mul_f64 v[0:1], s[12:13], v[6:7]
	v_mul_f64 v[6:7], s[10:11], v[6:7]
	v_fma_f64 v[0:1], s[10:11], v[4:5], -v[0:1]
	v_fmac_f64_e32 v[6:7], s[12:13], v[4:5]
	v_add_f64 v[0:1], v[2:3], v[0:1]
	v_add_f64 v[2:3], v[24:25], v[6:7]
	flat_store_dwordx4 v[30:31], v[0:3]
	flat_load_dwordx4 v[0:3], v[28:29] offset:256
	v_mul_f64 v[4:5], s[40:41], v[16:17]
	v_mul_f64 v[6:7], s[38:39], v[16:17]
	v_fma_f64 v[4:5], s[38:39], v[14:15], -v[4:5]
	v_fmac_f64_e32 v[6:7], s[40:41], v[14:15]
	s_waitcnt vmcnt(0) lgkmcnt(0)
	v_mul_f64 v[14:15], s[12:13], v[2:3]
	v_mul_f64 v[2:3], s[10:11], v[2:3]
	v_fma_f64 v[14:15], s[10:11], v[0:1], -v[14:15]
	v_fmac_f64_e32 v[2:3], s[12:13], v[0:1]
	v_add_f64 v[0:1], v[4:5], v[14:15]
	v_add_f64 v[2:3], v[6:7], v[2:3]
	flat_store_dwordx4 v[30:31], v[0:3] offset:256
	flat_load_dwordx4 v[0:3], v[8:9]
	v_mul_f64 v[4:5], s[40:41], v[20:21]
	v_mul_f64 v[6:7], s[38:39], v[20:21]
	v_fma_f64 v[4:5], s[38:39], v[18:19], -v[4:5]
	v_fmac_f64_e32 v[6:7], s[40:41], v[18:19]
	v_lshl_add_u64 v[14:15], v[22:23], 0, s[0:1]
	v_lshl_add_u64 v[14:15], v[14:15], 0, v[26:27]
	s_mov_b64 s[0:1], 0x100
	s_waitcnt vmcnt(0) lgkmcnt(0)
	v_mul_f64 v[16:17], s[12:13], v[2:3]
	v_mul_f64 v[2:3], s[10:11], v[2:3]
	v_fma_f64 v[16:17], s[10:11], v[0:1], -v[16:17]
	v_fmac_f64_e32 v[2:3], s[12:13], v[0:1]
	v_add_f64 v[0:1], v[4:5], v[16:17]
	v_add_f64 v[2:3], v[6:7], v[2:3]
	flat_store_dwordx4 v[14:15], v[0:3]
	flat_load_dwordx4 v[0:3], v[8:9] offset:256
	v_mul_f64 v[4:5], s[40:41], v[12:13]
	v_mul_f64 v[6:7], s[38:39], v[12:13]
	v_fma_f64 v[4:5], s[38:39], v[10:11], -v[4:5]
	v_fmac_f64_e32 v[6:7], s[40:41], v[10:11]
	s_waitcnt vmcnt(0) lgkmcnt(0)
	v_mul_f64 v[8:9], s[12:13], v[2:3]
	v_mul_f64 v[2:3], s[10:11], v[2:3]
	v_fma_f64 v[8:9], s[10:11], v[0:1], -v[8:9]
	v_fmac_f64_e32 v[2:3], s[12:13], v[0:1]
	v_add_f64 v[0:1], v[4:5], v[8:9]
	v_add_f64 v[4:5], v[6:7], v[2:3]
	v_lshl_add_u64 v[6:7], v[14:15], 0, s[0:1]
	flat_store_dwordx2 v[14:15], v[0:1] offset:256
.LBB277_8:
	flat_store_dwordx2 v[6:7], v[4:5] offset:8
	s_endpgm
	.section	.rodata,"a",@progbits
	.p2align	6, 0x0
	.amdhsa_kernel _ZN12_GLOBAL__N_127rocblas_gemm_batched_kernelI19rocblas_complex_numIdELi16ELi16ELi32ELi32ELi8ELi32ELi8ELi8ELi32ELc67ELc78EKPKS2_S5_KPS2_EEvlllT_PT11_llSA_llS8_PT12_llPT13_lli
		.amdhsa_group_segment_fixed_size 8192
		.amdhsa_private_segment_fixed_size 0
		.amdhsa_kernarg_size 156
		.amdhsa_user_sgpr_count 2
		.amdhsa_user_sgpr_dispatch_ptr 0
		.amdhsa_user_sgpr_queue_ptr 0
		.amdhsa_user_sgpr_kernarg_segment_ptr 1
		.amdhsa_user_sgpr_dispatch_id 0
		.amdhsa_user_sgpr_kernarg_preload_length 0
		.amdhsa_user_sgpr_kernarg_preload_offset 0
		.amdhsa_user_sgpr_private_segment_size 0
		.amdhsa_uses_dynamic_stack 0
		.amdhsa_enable_private_segment 0
		.amdhsa_system_sgpr_workgroup_id_x 1
		.amdhsa_system_sgpr_workgroup_id_y 1
		.amdhsa_system_sgpr_workgroup_id_z 1
		.amdhsa_system_sgpr_workgroup_info 0
		.amdhsa_system_vgpr_workitem_id 1
		.amdhsa_next_free_vgpr 56
		.amdhsa_next_free_sgpr 52
		.amdhsa_accum_offset 56
		.amdhsa_reserve_vcc 1
		.amdhsa_float_round_mode_32 0
		.amdhsa_float_round_mode_16_64 0
		.amdhsa_float_denorm_mode_32 3
		.amdhsa_float_denorm_mode_16_64 3
		.amdhsa_dx10_clamp 1
		.amdhsa_ieee_mode 1
		.amdhsa_fp16_overflow 0
		.amdhsa_tg_split 0
		.amdhsa_exception_fp_ieee_invalid_op 0
		.amdhsa_exception_fp_denorm_src 0
		.amdhsa_exception_fp_ieee_div_zero 0
		.amdhsa_exception_fp_ieee_overflow 0
		.amdhsa_exception_fp_ieee_underflow 0
		.amdhsa_exception_fp_ieee_inexact 0
		.amdhsa_exception_int_div_zero 0
	.end_amdhsa_kernel
	.section	.text._ZN12_GLOBAL__N_127rocblas_gemm_batched_kernelI19rocblas_complex_numIdELi16ELi16ELi32ELi32ELi8ELi32ELi8ELi8ELi32ELc67ELc78EKPKS2_S5_KPS2_EEvlllT_PT11_llSA_llS8_PT12_llPT13_lli,"axG",@progbits,_ZN12_GLOBAL__N_127rocblas_gemm_batched_kernelI19rocblas_complex_numIdELi16ELi16ELi32ELi32ELi8ELi32ELi8ELi8ELi32ELc67ELc78EKPKS2_S5_KPS2_EEvlllT_PT11_llSA_llS8_PT12_llPT13_lli,comdat
.Lfunc_end277:
	.size	_ZN12_GLOBAL__N_127rocblas_gemm_batched_kernelI19rocblas_complex_numIdELi16ELi16ELi32ELi32ELi8ELi32ELi8ELi8ELi32ELc67ELc78EKPKS2_S5_KPS2_EEvlllT_PT11_llSA_llS8_PT12_llPT13_lli, .Lfunc_end277-_ZN12_GLOBAL__N_127rocblas_gemm_batched_kernelI19rocblas_complex_numIdELi16ELi16ELi32ELi32ELi8ELi32ELi8ELi8ELi32ELc67ELc78EKPKS2_S5_KPS2_EEvlllT_PT11_llSA_llS8_PT12_llPT13_lli
                                        ; -- End function
	.set _ZN12_GLOBAL__N_127rocblas_gemm_batched_kernelI19rocblas_complex_numIdELi16ELi16ELi32ELi32ELi8ELi32ELi8ELi8ELi32ELc67ELc78EKPKS2_S5_KPS2_EEvlllT_PT11_llSA_llS8_PT12_llPT13_lli.num_vgpr, 56
	.set _ZN12_GLOBAL__N_127rocblas_gemm_batched_kernelI19rocblas_complex_numIdELi16ELi16ELi32ELi32ELi8ELi32ELi8ELi8ELi32ELc67ELc78EKPKS2_S5_KPS2_EEvlllT_PT11_llSA_llS8_PT12_llPT13_lli.num_agpr, 0
	.set _ZN12_GLOBAL__N_127rocblas_gemm_batched_kernelI19rocblas_complex_numIdELi16ELi16ELi32ELi32ELi8ELi32ELi8ELi8ELi32ELc67ELc78EKPKS2_S5_KPS2_EEvlllT_PT11_llSA_llS8_PT12_llPT13_lli.numbered_sgpr, 52
	.set _ZN12_GLOBAL__N_127rocblas_gemm_batched_kernelI19rocblas_complex_numIdELi16ELi16ELi32ELi32ELi8ELi32ELi8ELi8ELi32ELc67ELc78EKPKS2_S5_KPS2_EEvlllT_PT11_llSA_llS8_PT12_llPT13_lli.num_named_barrier, 0
	.set _ZN12_GLOBAL__N_127rocblas_gemm_batched_kernelI19rocblas_complex_numIdELi16ELi16ELi32ELi32ELi8ELi32ELi8ELi8ELi32ELc67ELc78EKPKS2_S5_KPS2_EEvlllT_PT11_llSA_llS8_PT12_llPT13_lli.private_seg_size, 0
	.set _ZN12_GLOBAL__N_127rocblas_gemm_batched_kernelI19rocblas_complex_numIdELi16ELi16ELi32ELi32ELi8ELi32ELi8ELi8ELi32ELc67ELc78EKPKS2_S5_KPS2_EEvlllT_PT11_llSA_llS8_PT12_llPT13_lli.uses_vcc, 1
	.set _ZN12_GLOBAL__N_127rocblas_gemm_batched_kernelI19rocblas_complex_numIdELi16ELi16ELi32ELi32ELi8ELi32ELi8ELi8ELi32ELc67ELc78EKPKS2_S5_KPS2_EEvlllT_PT11_llSA_llS8_PT12_llPT13_lli.uses_flat_scratch, 0
	.set _ZN12_GLOBAL__N_127rocblas_gemm_batched_kernelI19rocblas_complex_numIdELi16ELi16ELi32ELi32ELi8ELi32ELi8ELi8ELi32ELc67ELc78EKPKS2_S5_KPS2_EEvlllT_PT11_llSA_llS8_PT12_llPT13_lli.has_dyn_sized_stack, 0
	.set _ZN12_GLOBAL__N_127rocblas_gemm_batched_kernelI19rocblas_complex_numIdELi16ELi16ELi32ELi32ELi8ELi32ELi8ELi8ELi32ELc67ELc78EKPKS2_S5_KPS2_EEvlllT_PT11_llSA_llS8_PT12_llPT13_lli.has_recursion, 0
	.set _ZN12_GLOBAL__N_127rocblas_gemm_batched_kernelI19rocblas_complex_numIdELi16ELi16ELi32ELi32ELi8ELi32ELi8ELi8ELi32ELc67ELc78EKPKS2_S5_KPS2_EEvlllT_PT11_llSA_llS8_PT12_llPT13_lli.has_indirect_call, 0
	.section	.AMDGPU.csdata,"",@progbits
; Kernel info:
; codeLenInByte = 3204
; TotalNumSgprs: 58
; NumVgprs: 56
; NumAgprs: 0
; TotalNumVgprs: 56
; ScratchSize: 0
; MemoryBound: 0
; FloatMode: 240
; IeeeMode: 1
; LDSByteSize: 8192 bytes/workgroup (compile time only)
; SGPRBlocks: 7
; VGPRBlocks: 6
; NumSGPRsForWavesPerEU: 58
; NumVGPRsForWavesPerEU: 56
; AccumOffset: 56
; Occupancy: 8
; WaveLimiterHint : 1
; COMPUTE_PGM_RSRC2:SCRATCH_EN: 0
; COMPUTE_PGM_RSRC2:USER_SGPR: 2
; COMPUTE_PGM_RSRC2:TRAP_HANDLER: 0
; COMPUTE_PGM_RSRC2:TGID_X_EN: 1
; COMPUTE_PGM_RSRC2:TGID_Y_EN: 1
; COMPUTE_PGM_RSRC2:TGID_Z_EN: 1
; COMPUTE_PGM_RSRC2:TIDIG_COMP_CNT: 1
; COMPUTE_PGM_RSRC3_GFX90A:ACCUM_OFFSET: 13
; COMPUTE_PGM_RSRC3_GFX90A:TG_SPLIT: 0
	.section	.text._ZN12_GLOBAL__N_127rocblas_gemm_batched_kernelI19rocblas_complex_numIdELi16ELi16ELi32ELi32ELi8ELi32ELi8ELi8ELi32ELc67ELc84EKPKS2_S5_KPS2_EEvlllT_PT11_llSA_llS8_PT12_llPT13_lli,"axG",@progbits,_ZN12_GLOBAL__N_127rocblas_gemm_batched_kernelI19rocblas_complex_numIdELi16ELi16ELi32ELi32ELi8ELi32ELi8ELi8ELi32ELc67ELc84EKPKS2_S5_KPS2_EEvlllT_PT11_llSA_llS8_PT12_llPT13_lli,comdat
	.globl	_ZN12_GLOBAL__N_127rocblas_gemm_batched_kernelI19rocblas_complex_numIdELi16ELi16ELi32ELi32ELi8ELi32ELi8ELi8ELi32ELc67ELc84EKPKS2_S5_KPS2_EEvlllT_PT11_llSA_llS8_PT12_llPT13_lli ; -- Begin function _ZN12_GLOBAL__N_127rocblas_gemm_batched_kernelI19rocblas_complex_numIdELi16ELi16ELi32ELi32ELi8ELi32ELi8ELi8ELi32ELc67ELc84EKPKS2_S5_KPS2_EEvlllT_PT11_llSA_llS8_PT12_llPT13_lli
	.p2align	8
	.type	_ZN12_GLOBAL__N_127rocblas_gemm_batched_kernelI19rocblas_complex_numIdELi16ELi16ELi32ELi32ELi8ELi32ELi8ELi8ELi32ELc67ELc84EKPKS2_S5_KPS2_EEvlllT_PT11_llSA_llS8_PT12_llPT13_lli,@function
_ZN12_GLOBAL__N_127rocblas_gemm_batched_kernelI19rocblas_complex_numIdELi16ELi16ELi32ELi32ELi8ELi32ELi8ELi8ELi32ELc67ELc84EKPKS2_S5_KPS2_EEvlllT_PT11_llSA_llS8_PT12_llPT13_lli: ; @_ZN12_GLOBAL__N_127rocblas_gemm_batched_kernelI19rocblas_complex_numIdELi16ELi16ELi32ELi32ELi8ELi32ELi8ELi8ELi32ELc67ELc84EKPKS2_S5_KPS2_EEvlllT_PT11_llSA_llS8_PT12_llPT13_lli
; %bb.0:
	s_load_dwordx16 s[36:51], s[0:1], 0x10
	s_load_dwordx16 s[8:23], s[0:1], 0x50
	s_mov_b32 s5, 0
	s_lshl_b64 s[24:25], s[4:5], 3
	s_mov_b32 s26, s3
	v_mov_b32_e32 v3, 0
	s_waitcnt lgkmcnt(0)
	s_add_u32 s4, s14, s24
	s_addc_u32 s5, s15, s25
	s_add_u32 s6, s20, s24
	s_addc_u32 s7, s21, s25
	s_load_dwordx2 s[4:5], s[4:5], 0x0
	s_ashr_i32 s3, s2, 31
	s_load_dwordx2 s[6:7], s[6:7], 0x0
	s_ashr_i32 s27, s26, 31
	v_cmp_lt_i64_e64 s[20:21], s[36:37], 1
	v_bfe_u32 v2, v0, 10, 10
	v_and_b32_e32 v0, 0x3ff, v0
	v_mov_b32_e32 v1, v3
	s_lshl_b64 s[2:3], s[2:3], 5
	s_lshl_b64 s[14:15], s[26:27], 5
	s_and_b64 vcc, exec, s[20:21]
	s_cbranch_vccnz .LBB278_3
; %bb.1:
	v_lshl_add_u32 v10, v2, 4, v0
	v_lshrrev_b32_e32 v4, 3, v10
	v_mov_b32_e32 v5, v3
	s_add_u32 s20, s42, s24
	v_lshl_add_u64 v[6:7], v[4:5], 0, s[14:15]
	v_and_b32_e32 v5, 7, v0
	s_addc_u32 s21, s43, s25
	v_mad_u64_u32 v[6:7], s[26:27], s50, v5, v[6:7]
	s_add_u32 s24, s48, s24
	v_mov_b32_e32 v8, v7
	s_addc_u32 s25, s49, s25
	v_mad_u64_u32 v[8:9], s[26:27], s51, v5, v[8:9]
	v_lshlrev_b32_e32 v5, 4, v5
	s_load_dwordx2 s[24:25], s[24:25], 0x0
	v_lshl_or_b32 v4, v4, 7, v5
	v_mov_b32_e32 v7, v8
	v_and_b32_e32 v8, 31, v10
	v_mov_b32_e32 v9, v3
	v_add_u32_e32 v27, 0x1000, v4
	v_mov_b32_e32 v4, 0x1000
	s_load_dwordx2 s[20:21], s[20:21], 0x0
	v_lshl_add_u32 v29, v2, 7, v4
	v_lshl_add_u64 v[4:5], s[2:3], 0, v[8:9]
	v_lshlrev_b32_e32 v11, 4, v8
	v_mul_lo_u32 v8, s45, v4
	v_mul_lo_u32 v9, s44, v5
	v_mad_u64_u32 v[4:5], s[26:27], s44, v4, 0
	v_lshrrev_b32_e32 v10, 5, v10
	v_add3_u32 v5, v5, v9, v8
	s_lshl_b64 s[26:27], s[46:47], 4
	s_lshl_b64 s[8:9], s[8:9], 4
	v_lshl_add_u64 v[4:5], v[4:5], 4, s[26:27]
	v_lshlrev_b32_e32 v8, 4, v10
	v_mov_b32_e32 v9, v3
	s_waitcnt lgkmcnt(0)
	s_add_u32 s8, s24, s8
	v_lshl_add_u64 v[4:5], v[4:5], 0, v[8:9]
	s_addc_u32 s9, s25, s9
	v_lshl_or_b32 v26, v10, 9, v11
	v_lshlrev_b32_e32 v28, 4, v0
	v_lshl_add_u64 v[4:5], s[20:21], 0, v[4:5]
	v_lshl_add_u64 v[6:7], v[6:7], 4, s[8:9]
	s_lshl_b64 s[8:9], s[50:51], 7
	s_mov_b64 s[20:21], 0
	v_mov_b64_e32 v[12:13], 0
	s_mov_b64 s[24:25], 0x80
	v_mov_b64_e32 v[8:9], s[36:37]
	v_mov_b64_e32 v[10:11], 0
	;; [unrolled: 1-line block ×8, first 2 shown]
.LBB278_2:                              ; =>This Inner Loop Header: Depth=1
	flat_load_dwordx4 v[30:33], v[4:5]
	s_add_u32 s20, s20, 8
	s_addc_u32 s21, s21, 0
	v_cmp_lt_i64_e32 vcc, s[20:21], v[8:9]
	v_lshl_add_u64 v[4:5], v[4:5], 0, s[24:25]
	s_and_b64 vcc, exec, vcc
	s_waitcnt vmcnt(0) lgkmcnt(0)
	v_xor_b32_e32 v33, 0x80000000, v33
	ds_write_b128 v26, v[30:33]
	flat_load_dwordx4 v[30:33], v[6:7]
	v_lshl_add_u64 v[6:7], v[6:7], 0, s[8:9]
	s_waitcnt vmcnt(0) lgkmcnt(0)
	ds_write2_b64 v27, v[30:31], v[32:33] offset1:1
	s_waitcnt lgkmcnt(0)
	s_barrier
	ds_read_b128 v[30:33], v29
	ds_read_b128 v[34:37], v29 offset:16
	ds_read_b128 v[38:41], v29 offset:32
	;; [unrolled: 1-line block ×3, first 2 shown]
	ds_read_b128 v[46:49], v28
	s_waitcnt lgkmcnt(0)
	v_mul_f64 v[50:51], v[32:33], v[48:49]
	v_mul_f64 v[52:53], v[30:31], v[48:49]
	v_fma_f64 v[50:51], v[30:31], v[46:47], -v[50:51]
	v_fmac_f64_e32 v[52:53], v[32:33], v[46:47]
	v_add_f64 v[50:51], v[22:23], v[50:51]
	v_add_f64 v[52:53], v[52:53], v[24:25]
	ds_read_b128 v[22:25], v28 offset:256
	s_waitcnt lgkmcnt(0)
	v_mul_f64 v[54:55], v[32:33], v[24:25]
	v_fma_f64 v[54:55], v[30:31], v[22:23], -v[54:55]
	v_mul_f64 v[30:31], v[30:31], v[24:25]
	v_fmac_f64_e32 v[30:31], v[32:33], v[22:23]
	v_add_f64 v[32:33], v[14:15], v[54:55]
	v_add_f64 v[30:31], v[30:31], v[16:17]
	ds_read_b128 v[14:17], v29 offset:2048
	s_waitcnt lgkmcnt(0)
	v_mul_f64 v[54:55], v[16:17], v[48:49]
	v_fma_f64 v[54:55], v[14:15], v[46:47], -v[54:55]
	v_mul_f64 v[48:49], v[14:15], v[48:49]
	v_fmac_f64_e32 v[48:49], v[16:17], v[46:47]
	v_add_f64 v[46:47], v[18:19], v[54:55]
	v_mul_f64 v[18:19], v[16:17], v[24:25]
	v_fma_f64 v[18:19], v[14:15], v[22:23], -v[18:19]
	v_mul_f64 v[14:15], v[14:15], v[24:25]
	v_fmac_f64_e32 v[14:15], v[16:17], v[22:23]
	v_add_f64 v[22:23], v[10:11], v[18:19]
	v_add_f64 v[24:25], v[14:15], v[12:13]
	ds_read_b128 v[10:13], v28 offset:512
	v_add_f64 v[48:49], v[48:49], v[20:21]
	s_waitcnt lgkmcnt(0)
	v_mul_f64 v[14:15], v[36:37], v[12:13]
	v_mul_f64 v[16:17], v[34:35], v[12:13]
	v_fma_f64 v[14:15], v[34:35], v[10:11], -v[14:15]
	v_fmac_f64_e32 v[16:17], v[36:37], v[10:11]
	v_add_f64 v[50:51], v[50:51], v[14:15]
	v_add_f64 v[52:53], v[16:17], v[52:53]
	ds_read_b128 v[14:17], v28 offset:768
	s_waitcnt lgkmcnt(0)
	v_mul_f64 v[18:19], v[36:37], v[16:17]
	v_mul_f64 v[20:21], v[34:35], v[16:17]
	v_fma_f64 v[18:19], v[34:35], v[14:15], -v[18:19]
	v_fmac_f64_e32 v[20:21], v[36:37], v[14:15]
	v_add_f64 v[32:33], v[32:33], v[18:19]
	v_add_f64 v[30:31], v[20:21], v[30:31]
	ds_read_b128 v[18:21], v29 offset:2064
	s_waitcnt lgkmcnt(0)
	v_mul_f64 v[34:35], v[20:21], v[12:13]
	v_mul_f64 v[12:13], v[18:19], v[12:13]
	v_fmac_f64_e32 v[12:13], v[20:21], v[10:11]
	v_fma_f64 v[34:35], v[18:19], v[10:11], -v[34:35]
	v_add_f64 v[36:37], v[12:13], v[48:49]
	v_mul_f64 v[10:11], v[20:21], v[16:17]
	v_mul_f64 v[12:13], v[18:19], v[16:17]
	v_fma_f64 v[10:11], v[18:19], v[14:15], -v[10:11]
	v_fmac_f64_e32 v[12:13], v[20:21], v[14:15]
	v_add_f64 v[22:23], v[22:23], v[10:11]
	v_add_f64 v[24:25], v[12:13], v[24:25]
	ds_read_b128 v[10:13], v28 offset:1024
	v_add_f64 v[34:35], v[46:47], v[34:35]
	s_waitcnt lgkmcnt(0)
	v_mul_f64 v[14:15], v[40:41], v[12:13]
	v_mul_f64 v[16:17], v[38:39], v[12:13]
	v_fma_f64 v[14:15], v[38:39], v[10:11], -v[14:15]
	v_fmac_f64_e32 v[16:17], v[40:41], v[10:11]
	v_add_f64 v[46:47], v[50:51], v[14:15]
	v_add_f64 v[48:49], v[16:17], v[52:53]
	ds_read_b128 v[14:17], v28 offset:1280
	s_waitcnt lgkmcnt(0)
	v_mul_f64 v[18:19], v[40:41], v[16:17]
	v_mul_f64 v[20:21], v[38:39], v[16:17]
	v_fma_f64 v[18:19], v[38:39], v[14:15], -v[18:19]
	v_fmac_f64_e32 v[20:21], v[40:41], v[14:15]
	v_add_f64 v[32:33], v[32:33], v[18:19]
	v_add_f64 v[30:31], v[20:21], v[30:31]
	ds_read_b128 v[18:21], v29 offset:2080
	s_waitcnt lgkmcnt(0)
	v_mul_f64 v[38:39], v[20:21], v[12:13]
	v_mul_f64 v[12:13], v[18:19], v[12:13]
	v_fmac_f64_e32 v[12:13], v[20:21], v[10:11]
	v_fma_f64 v[38:39], v[18:19], v[10:11], -v[38:39]
	v_add_f64 v[36:37], v[12:13], v[36:37]
	v_mul_f64 v[10:11], v[20:21], v[16:17]
	v_mul_f64 v[12:13], v[18:19], v[16:17]
	v_fma_f64 v[10:11], v[18:19], v[14:15], -v[10:11]
	;; [unrolled: 30-line block ×3, first 2 shown]
	v_fmac_f64_e32 v[12:13], v[20:21], v[14:15]
	v_add_f64 v[22:23], v[22:23], v[10:11]
	v_add_f64 v[24:25], v[12:13], v[24:25]
	ds_read_b128 v[10:13], v29 offset:64
	ds_read_b128 v[14:17], v28 offset:2048
	v_add_f64 v[34:35], v[34:35], v[42:43]
	s_waitcnt lgkmcnt(0)
	v_mul_f64 v[18:19], v[12:13], v[16:17]
	v_mul_f64 v[20:21], v[10:11], v[16:17]
	v_fma_f64 v[18:19], v[10:11], v[14:15], -v[18:19]
	v_fmac_f64_e32 v[20:21], v[12:13], v[14:15]
	v_add_f64 v[38:39], v[38:39], v[18:19]
	v_add_f64 v[40:41], v[20:21], v[40:41]
	ds_read_b128 v[18:21], v28 offset:2304
	s_waitcnt lgkmcnt(0)
	v_mul_f64 v[42:43], v[12:13], v[20:21]
	v_fma_f64 v[42:43], v[10:11], v[18:19], -v[42:43]
	v_mul_f64 v[10:11], v[10:11], v[20:21]
	v_fmac_f64_e32 v[10:11], v[12:13], v[18:19]
	v_add_f64 v[30:31], v[10:11], v[30:31]
	ds_read_b128 v[10:13], v29 offset:2112
	v_add_f64 v[32:33], v[32:33], v[42:43]
	s_waitcnt lgkmcnt(0)
	v_mul_f64 v[42:43], v[12:13], v[16:17]
	v_mul_f64 v[16:17], v[10:11], v[16:17]
	v_fma_f64 v[42:43], v[10:11], v[14:15], -v[42:43]
	v_fmac_f64_e32 v[16:17], v[12:13], v[14:15]
	v_mul_f64 v[14:15], v[12:13], v[20:21]
	v_fma_f64 v[14:15], v[10:11], v[18:19], -v[14:15]
	v_mul_f64 v[10:11], v[10:11], v[20:21]
	v_fmac_f64_e32 v[10:11], v[12:13], v[18:19]
	v_add_f64 v[36:37], v[16:17], v[36:37]
	v_add_f64 v[22:23], v[22:23], v[14:15]
	v_add_f64 v[24:25], v[10:11], v[24:25]
	ds_read_b128 v[10:13], v29 offset:80
	ds_read_b128 v[14:17], v28 offset:2560
	v_add_f64 v[34:35], v[34:35], v[42:43]
	s_waitcnt lgkmcnt(0)
	v_mul_f64 v[18:19], v[12:13], v[16:17]
	v_mul_f64 v[20:21], v[10:11], v[16:17]
	v_fma_f64 v[18:19], v[10:11], v[14:15], -v[18:19]
	v_fmac_f64_e32 v[20:21], v[12:13], v[14:15]
	v_add_f64 v[38:39], v[38:39], v[18:19]
	v_add_f64 v[40:41], v[20:21], v[40:41]
	ds_read_b128 v[18:21], v28 offset:2816
	s_waitcnt lgkmcnt(0)
	v_mul_f64 v[42:43], v[12:13], v[20:21]
	v_fma_f64 v[42:43], v[10:11], v[18:19], -v[42:43]
	v_mul_f64 v[10:11], v[10:11], v[20:21]
	v_fmac_f64_e32 v[10:11], v[12:13], v[18:19]
	v_add_f64 v[30:31], v[10:11], v[30:31]
	ds_read_b128 v[10:13], v29 offset:2128
	v_add_f64 v[32:33], v[32:33], v[42:43]
	s_waitcnt lgkmcnt(0)
	v_mul_f64 v[42:43], v[12:13], v[16:17]
	v_mul_f64 v[16:17], v[10:11], v[16:17]
	v_fma_f64 v[42:43], v[10:11], v[14:15], -v[42:43]
	v_fmac_f64_e32 v[16:17], v[12:13], v[14:15]
	v_mul_f64 v[14:15], v[12:13], v[20:21]
	v_fma_f64 v[14:15], v[10:11], v[18:19], -v[14:15]
	v_mul_f64 v[10:11], v[10:11], v[20:21]
	v_fmac_f64_e32 v[10:11], v[12:13], v[18:19]
	v_add_f64 v[36:37], v[16:17], v[36:37]
	;; [unrolled: 31-line block ×3, first 2 shown]
	ds_read_b128 v[10:13], v29 offset:112
	ds_read_b128 v[18:21], v28 offset:3584
	v_add_f64 v[34:35], v[34:35], v[30:31]
	ds_read_b128 v[30:33], v28 offset:3840
	v_add_f64 v[46:47], v[22:23], v[14:15]
	v_add_f64 v[36:37], v[16:17], v[36:37]
	s_waitcnt lgkmcnt(1)
	v_mul_f64 v[14:15], v[12:13], v[20:21]
	v_fma_f64 v[14:15], v[10:11], v[18:19], -v[14:15]
	v_add_f64 v[22:23], v[38:39], v[14:15]
	s_waitcnt lgkmcnt(0)
	v_mul_f64 v[14:15], v[12:13], v[32:33]
	v_mul_f64 v[16:17], v[10:11], v[20:21]
	v_fma_f64 v[14:15], v[10:11], v[30:31], -v[14:15]
	v_mul_f64 v[10:11], v[10:11], v[32:33]
	v_fmac_f64_e32 v[16:17], v[12:13], v[18:19]
	v_fmac_f64_e32 v[10:11], v[12:13], v[30:31]
	v_add_f64 v[24:25], v[16:17], v[40:41]
	v_add_f64 v[16:17], v[10:11], v[44:45]
	ds_read_b128 v[10:13], v29 offset:2160
	v_add_f64 v[14:15], v[42:43], v[14:15]
	s_waitcnt lgkmcnt(0)
	s_barrier
	v_mul_f64 v[38:39], v[12:13], v[20:21]
	v_fma_f64 v[38:39], v[10:11], v[18:19], -v[38:39]
	v_mul_f64 v[20:21], v[10:11], v[20:21]
	v_fmac_f64_e32 v[20:21], v[12:13], v[18:19]
	v_add_f64 v[18:19], v[34:35], v[38:39]
	v_mul_f64 v[34:35], v[12:13], v[32:33]
	v_mul_f64 v[32:33], v[10:11], v[32:33]
	v_fma_f64 v[34:35], v[10:11], v[30:31], -v[34:35]
	v_fmac_f64_e32 v[32:33], v[12:13], v[30:31]
	v_add_f64 v[20:21], v[20:21], v[36:37]
	v_add_f64 v[10:11], v[46:47], v[34:35]
	;; [unrolled: 1-line block ×3, first 2 shown]
	s_cbranch_vccnz .LBB278_2
	s_branch .LBB278_4
.LBB278_3:
	v_mov_b64_e32 v[22:23], 0
	v_mov_b64_e32 v[24:25], 0
	;; [unrolled: 1-line block ×8, first 2 shown]
.LBB278_4:
	s_load_dwordx2 s[0:1], s[0:1], 0x90
	v_lshl_add_u64 v[2:3], s[14:15], 0, v[2:3]
	v_cmp_neq_f64_e64 s[14:15], s[10:11], 0
	v_cmp_neq_f64_e64 s[20:21], s[12:13], 0
	s_mov_b64 s[8:9], 0
	s_waitcnt lgkmcnt(0)
	s_lshl_b64 s[0:1], s[0:1], 4
	s_add_u32 s0, s6, s0
	s_addc_u32 s1, s7, s1
	s_or_b64 s[6:7], s[14:15], s[20:21]
	v_lshl_add_u64 v[0:1], s[2:3], 0, v[0:1]
	s_and_b64 vcc, exec, s[6:7]
	s_cbranch_vccnz .LBB278_6
; %bb.5:
	v_mul_lo_u32 v6, v3, s22
	v_mul_lo_u32 v7, v2, s23
	v_mad_u64_u32 v[4:5], s[2:3], v2, s22, 0
	v_add3_u32 v5, v5, v7, v6
	v_lshl_add_u64 v[8:9], v[4:5], 4, s[0:1]
	v_mul_f64 v[4:5], s[40:41], v[24:25]
	v_mul_f64 v[6:7], s[38:39], v[24:25]
	v_lshlrev_b64 v[26:27], 4, v[0:1]
	v_fma_f64 v[4:5], s[38:39], v[22:23], -v[4:5]
	v_fmac_f64_e32 v[6:7], s[40:41], v[22:23]
	v_lshl_add_u64 v[28:29], v[8:9], 0, v[26:27]
	flat_store_dwordx4 v[28:29], v[4:7]
	s_lshl_b64 s[2:3], s[22:23], 8
	v_lshl_add_u64 v[8:9], v[8:9], 0, s[2:3]
	v_mul_f64 v[4:5], s[40:41], v[16:17]
	v_mul_f64 v[6:7], s[38:39], v[16:17]
	v_fma_f64 v[4:5], s[38:39], v[14:15], -v[4:5]
	v_fmac_f64_e32 v[6:7], s[40:41], v[14:15]
	flat_store_dwordx4 v[28:29], v[4:7] offset:256
	v_lshl_add_u64 v[8:9], v[8:9], 0, v[26:27]
	s_mov_b64 s[2:3], 0x100
	v_mul_f64 v[4:5], s[40:41], v[20:21]
	v_mul_f64 v[6:7], s[38:39], v[20:21]
	v_fma_f64 v[4:5], s[38:39], v[18:19], -v[4:5]
	v_fmac_f64_e32 v[6:7], s[40:41], v[18:19]
	flat_store_dwordx4 v[8:9], v[4:7]
	s_nop 1
	v_mul_f64 v[4:5], s[40:41], v[12:13]
	v_fma_f64 v[26:27], s[38:39], v[10:11], -v[4:5]
	v_mul_f64 v[4:5], s[38:39], v[12:13]
	v_fmac_f64_e32 v[4:5], s[40:41], v[10:11]
	v_lshl_add_u64 v[6:7], v[8:9], 0, s[2:3]
	flat_store_dwordx2 v[8:9], v[26:27] offset:256
	s_andn2_b64 vcc, exec, s[8:9]
	s_cbranch_vccz .LBB278_7
	s_branch .LBB278_8
.LBB278_6:
                                        ; implicit-def: $vgpr4_vgpr5
                                        ; implicit-def: $vgpr6_vgpr7
.LBB278_7:
	s_lshl_b64 s[2:3], s[18:19], 4
	s_add_u32 s2, s4, s2
	s_addc_u32 s3, s5, s3
	v_mul_lo_u32 v6, v3, s16
	v_mul_lo_u32 v7, v2, s17
	v_mad_u64_u32 v[4:5], s[4:5], v2, s16, 0
	v_add3_u32 v5, v5, v7, v6
	v_lshl_add_u64 v[8:9], v[4:5], 4, s[2:3]
	v_lshlrev_b64 v[26:27], 4, v[0:1]
	v_lshl_add_u64 v[28:29], v[8:9], 0, v[26:27]
	flat_load_dwordx4 v[4:7], v[28:29]
	v_mul_lo_u32 v30, v3, s22
	v_mul_lo_u32 v31, v2, s23
	v_mad_u64_u32 v[0:1], s[2:3], v2, s22, 0
	v_mul_f64 v[2:3], s[40:41], v[24:25]
	v_mul_f64 v[24:25], s[38:39], v[24:25]
	v_add3_u32 v1, v1, v31, v30
	v_fma_f64 v[2:3], s[38:39], v[22:23], -v[2:3]
	v_fmac_f64_e32 v[24:25], s[40:41], v[22:23]
	v_lshl_add_u64 v[22:23], v[0:1], 4, s[0:1]
	v_lshl_add_u64 v[30:31], v[22:23], 0, v[26:27]
	s_lshl_b64 s[0:1], s[16:17], 8
	v_lshl_add_u64 v[8:9], v[8:9], 0, s[0:1]
	v_lshl_add_u64 v[8:9], v[8:9], 0, v[26:27]
	s_lshl_b64 s[0:1], s[22:23], 8
	s_waitcnt vmcnt(0) lgkmcnt(0)
	v_mul_f64 v[0:1], s[12:13], v[6:7]
	v_mul_f64 v[6:7], s[10:11], v[6:7]
	v_fma_f64 v[0:1], s[10:11], v[4:5], -v[0:1]
	v_fmac_f64_e32 v[6:7], s[12:13], v[4:5]
	v_add_f64 v[0:1], v[2:3], v[0:1]
	v_add_f64 v[2:3], v[24:25], v[6:7]
	flat_store_dwordx4 v[30:31], v[0:3]
	flat_load_dwordx4 v[0:3], v[28:29] offset:256
	v_mul_f64 v[4:5], s[40:41], v[16:17]
	v_mul_f64 v[6:7], s[38:39], v[16:17]
	v_fma_f64 v[4:5], s[38:39], v[14:15], -v[4:5]
	v_fmac_f64_e32 v[6:7], s[40:41], v[14:15]
	s_waitcnt vmcnt(0) lgkmcnt(0)
	v_mul_f64 v[14:15], s[12:13], v[2:3]
	v_mul_f64 v[2:3], s[10:11], v[2:3]
	v_fma_f64 v[14:15], s[10:11], v[0:1], -v[14:15]
	v_fmac_f64_e32 v[2:3], s[12:13], v[0:1]
	v_add_f64 v[0:1], v[4:5], v[14:15]
	v_add_f64 v[2:3], v[6:7], v[2:3]
	flat_store_dwordx4 v[30:31], v[0:3] offset:256
	flat_load_dwordx4 v[0:3], v[8:9]
	v_mul_f64 v[4:5], s[40:41], v[20:21]
	v_mul_f64 v[6:7], s[38:39], v[20:21]
	v_fma_f64 v[4:5], s[38:39], v[18:19], -v[4:5]
	v_fmac_f64_e32 v[6:7], s[40:41], v[18:19]
	v_lshl_add_u64 v[14:15], v[22:23], 0, s[0:1]
	v_lshl_add_u64 v[14:15], v[14:15], 0, v[26:27]
	s_mov_b64 s[0:1], 0x100
	s_waitcnt vmcnt(0) lgkmcnt(0)
	v_mul_f64 v[16:17], s[12:13], v[2:3]
	v_mul_f64 v[2:3], s[10:11], v[2:3]
	v_fma_f64 v[16:17], s[10:11], v[0:1], -v[16:17]
	v_fmac_f64_e32 v[2:3], s[12:13], v[0:1]
	v_add_f64 v[0:1], v[4:5], v[16:17]
	v_add_f64 v[2:3], v[6:7], v[2:3]
	flat_store_dwordx4 v[14:15], v[0:3]
	flat_load_dwordx4 v[0:3], v[8:9] offset:256
	v_mul_f64 v[4:5], s[40:41], v[12:13]
	v_mul_f64 v[6:7], s[38:39], v[12:13]
	v_fma_f64 v[4:5], s[38:39], v[10:11], -v[4:5]
	v_fmac_f64_e32 v[6:7], s[40:41], v[10:11]
	s_waitcnt vmcnt(0) lgkmcnt(0)
	v_mul_f64 v[8:9], s[12:13], v[2:3]
	v_mul_f64 v[2:3], s[10:11], v[2:3]
	v_fma_f64 v[8:9], s[10:11], v[0:1], -v[8:9]
	v_fmac_f64_e32 v[2:3], s[12:13], v[0:1]
	v_add_f64 v[0:1], v[4:5], v[8:9]
	v_add_f64 v[4:5], v[6:7], v[2:3]
	v_lshl_add_u64 v[6:7], v[14:15], 0, s[0:1]
	flat_store_dwordx2 v[14:15], v[0:1] offset:256
.LBB278_8:
	flat_store_dwordx2 v[6:7], v[4:5] offset:8
	s_endpgm
	.section	.rodata,"a",@progbits
	.p2align	6, 0x0
	.amdhsa_kernel _ZN12_GLOBAL__N_127rocblas_gemm_batched_kernelI19rocblas_complex_numIdELi16ELi16ELi32ELi32ELi8ELi32ELi8ELi8ELi32ELc67ELc84EKPKS2_S5_KPS2_EEvlllT_PT11_llSA_llS8_PT12_llPT13_lli
		.amdhsa_group_segment_fixed_size 8192
		.amdhsa_private_segment_fixed_size 0
		.amdhsa_kernarg_size 156
		.amdhsa_user_sgpr_count 2
		.amdhsa_user_sgpr_dispatch_ptr 0
		.amdhsa_user_sgpr_queue_ptr 0
		.amdhsa_user_sgpr_kernarg_segment_ptr 1
		.amdhsa_user_sgpr_dispatch_id 0
		.amdhsa_user_sgpr_kernarg_preload_length 0
		.amdhsa_user_sgpr_kernarg_preload_offset 0
		.amdhsa_user_sgpr_private_segment_size 0
		.amdhsa_uses_dynamic_stack 0
		.amdhsa_enable_private_segment 0
		.amdhsa_system_sgpr_workgroup_id_x 1
		.amdhsa_system_sgpr_workgroup_id_y 1
		.amdhsa_system_sgpr_workgroup_id_z 1
		.amdhsa_system_sgpr_workgroup_info 0
		.amdhsa_system_vgpr_workitem_id 1
		.amdhsa_next_free_vgpr 56
		.amdhsa_next_free_sgpr 52
		.amdhsa_accum_offset 56
		.amdhsa_reserve_vcc 1
		.amdhsa_float_round_mode_32 0
		.amdhsa_float_round_mode_16_64 0
		.amdhsa_float_denorm_mode_32 3
		.amdhsa_float_denorm_mode_16_64 3
		.amdhsa_dx10_clamp 1
		.amdhsa_ieee_mode 1
		.amdhsa_fp16_overflow 0
		.amdhsa_tg_split 0
		.amdhsa_exception_fp_ieee_invalid_op 0
		.amdhsa_exception_fp_denorm_src 0
		.amdhsa_exception_fp_ieee_div_zero 0
		.amdhsa_exception_fp_ieee_overflow 0
		.amdhsa_exception_fp_ieee_underflow 0
		.amdhsa_exception_fp_ieee_inexact 0
		.amdhsa_exception_int_div_zero 0
	.end_amdhsa_kernel
	.section	.text._ZN12_GLOBAL__N_127rocblas_gemm_batched_kernelI19rocblas_complex_numIdELi16ELi16ELi32ELi32ELi8ELi32ELi8ELi8ELi32ELc67ELc84EKPKS2_S5_KPS2_EEvlllT_PT11_llSA_llS8_PT12_llPT13_lli,"axG",@progbits,_ZN12_GLOBAL__N_127rocblas_gemm_batched_kernelI19rocblas_complex_numIdELi16ELi16ELi32ELi32ELi8ELi32ELi8ELi8ELi32ELc67ELc84EKPKS2_S5_KPS2_EEvlllT_PT11_llSA_llS8_PT12_llPT13_lli,comdat
.Lfunc_end278:
	.size	_ZN12_GLOBAL__N_127rocblas_gemm_batched_kernelI19rocblas_complex_numIdELi16ELi16ELi32ELi32ELi8ELi32ELi8ELi8ELi32ELc67ELc84EKPKS2_S5_KPS2_EEvlllT_PT11_llSA_llS8_PT12_llPT13_lli, .Lfunc_end278-_ZN12_GLOBAL__N_127rocblas_gemm_batched_kernelI19rocblas_complex_numIdELi16ELi16ELi32ELi32ELi8ELi32ELi8ELi8ELi32ELc67ELc84EKPKS2_S5_KPS2_EEvlllT_PT11_llSA_llS8_PT12_llPT13_lli
                                        ; -- End function
	.set _ZN12_GLOBAL__N_127rocblas_gemm_batched_kernelI19rocblas_complex_numIdELi16ELi16ELi32ELi32ELi8ELi32ELi8ELi8ELi32ELc67ELc84EKPKS2_S5_KPS2_EEvlllT_PT11_llSA_llS8_PT12_llPT13_lli.num_vgpr, 56
	.set _ZN12_GLOBAL__N_127rocblas_gemm_batched_kernelI19rocblas_complex_numIdELi16ELi16ELi32ELi32ELi8ELi32ELi8ELi8ELi32ELc67ELc84EKPKS2_S5_KPS2_EEvlllT_PT11_llSA_llS8_PT12_llPT13_lli.num_agpr, 0
	.set _ZN12_GLOBAL__N_127rocblas_gemm_batched_kernelI19rocblas_complex_numIdELi16ELi16ELi32ELi32ELi8ELi32ELi8ELi8ELi32ELc67ELc84EKPKS2_S5_KPS2_EEvlllT_PT11_llSA_llS8_PT12_llPT13_lli.numbered_sgpr, 52
	.set _ZN12_GLOBAL__N_127rocblas_gemm_batched_kernelI19rocblas_complex_numIdELi16ELi16ELi32ELi32ELi8ELi32ELi8ELi8ELi32ELc67ELc84EKPKS2_S5_KPS2_EEvlllT_PT11_llSA_llS8_PT12_llPT13_lli.num_named_barrier, 0
	.set _ZN12_GLOBAL__N_127rocblas_gemm_batched_kernelI19rocblas_complex_numIdELi16ELi16ELi32ELi32ELi8ELi32ELi8ELi8ELi32ELc67ELc84EKPKS2_S5_KPS2_EEvlllT_PT11_llSA_llS8_PT12_llPT13_lli.private_seg_size, 0
	.set _ZN12_GLOBAL__N_127rocblas_gemm_batched_kernelI19rocblas_complex_numIdELi16ELi16ELi32ELi32ELi8ELi32ELi8ELi8ELi32ELc67ELc84EKPKS2_S5_KPS2_EEvlllT_PT11_llSA_llS8_PT12_llPT13_lli.uses_vcc, 1
	.set _ZN12_GLOBAL__N_127rocblas_gemm_batched_kernelI19rocblas_complex_numIdELi16ELi16ELi32ELi32ELi8ELi32ELi8ELi8ELi32ELc67ELc84EKPKS2_S5_KPS2_EEvlllT_PT11_llSA_llS8_PT12_llPT13_lli.uses_flat_scratch, 0
	.set _ZN12_GLOBAL__N_127rocblas_gemm_batched_kernelI19rocblas_complex_numIdELi16ELi16ELi32ELi32ELi8ELi32ELi8ELi8ELi32ELc67ELc84EKPKS2_S5_KPS2_EEvlllT_PT11_llSA_llS8_PT12_llPT13_lli.has_dyn_sized_stack, 0
	.set _ZN12_GLOBAL__N_127rocblas_gemm_batched_kernelI19rocblas_complex_numIdELi16ELi16ELi32ELi32ELi8ELi32ELi8ELi8ELi32ELc67ELc84EKPKS2_S5_KPS2_EEvlllT_PT11_llSA_llS8_PT12_llPT13_lli.has_recursion, 0
	.set _ZN12_GLOBAL__N_127rocblas_gemm_batched_kernelI19rocblas_complex_numIdELi16ELi16ELi32ELi32ELi8ELi32ELi8ELi8ELi32ELc67ELc84EKPKS2_S5_KPS2_EEvlllT_PT11_llSA_llS8_PT12_llPT13_lli.has_indirect_call, 0
	.section	.AMDGPU.csdata,"",@progbits
; Kernel info:
; codeLenInByte = 3188
; TotalNumSgprs: 58
; NumVgprs: 56
; NumAgprs: 0
; TotalNumVgprs: 56
; ScratchSize: 0
; MemoryBound: 0
; FloatMode: 240
; IeeeMode: 1
; LDSByteSize: 8192 bytes/workgroup (compile time only)
; SGPRBlocks: 7
; VGPRBlocks: 6
; NumSGPRsForWavesPerEU: 58
; NumVGPRsForWavesPerEU: 56
; AccumOffset: 56
; Occupancy: 8
; WaveLimiterHint : 1
; COMPUTE_PGM_RSRC2:SCRATCH_EN: 0
; COMPUTE_PGM_RSRC2:USER_SGPR: 2
; COMPUTE_PGM_RSRC2:TRAP_HANDLER: 0
; COMPUTE_PGM_RSRC2:TGID_X_EN: 1
; COMPUTE_PGM_RSRC2:TGID_Y_EN: 1
; COMPUTE_PGM_RSRC2:TGID_Z_EN: 1
; COMPUTE_PGM_RSRC2:TIDIG_COMP_CNT: 1
; COMPUTE_PGM_RSRC3_GFX90A:ACCUM_OFFSET: 13
; COMPUTE_PGM_RSRC3_GFX90A:TG_SPLIT: 0
	.section	.text._ZN12_GLOBAL__N_127rocblas_gemm_batched_kernelI19rocblas_complex_numIdELi16ELi16ELi32ELi32ELi8ELi32ELi8ELi8ELi32ELc78ELc67EKPKS2_S5_KPS2_EEvlllT_PT11_llSA_llS8_PT12_llPT13_lli,"axG",@progbits,_ZN12_GLOBAL__N_127rocblas_gemm_batched_kernelI19rocblas_complex_numIdELi16ELi16ELi32ELi32ELi8ELi32ELi8ELi8ELi32ELc78ELc67EKPKS2_S5_KPS2_EEvlllT_PT11_llSA_llS8_PT12_llPT13_lli,comdat
	.globl	_ZN12_GLOBAL__N_127rocblas_gemm_batched_kernelI19rocblas_complex_numIdELi16ELi16ELi32ELi32ELi8ELi32ELi8ELi8ELi32ELc78ELc67EKPKS2_S5_KPS2_EEvlllT_PT11_llSA_llS8_PT12_llPT13_lli ; -- Begin function _ZN12_GLOBAL__N_127rocblas_gemm_batched_kernelI19rocblas_complex_numIdELi16ELi16ELi32ELi32ELi8ELi32ELi8ELi8ELi32ELc78ELc67EKPKS2_S5_KPS2_EEvlllT_PT11_llSA_llS8_PT12_llPT13_lli
	.p2align	8
	.type	_ZN12_GLOBAL__N_127rocblas_gemm_batched_kernelI19rocblas_complex_numIdELi16ELi16ELi32ELi32ELi8ELi32ELi8ELi8ELi32ELc78ELc67EKPKS2_S5_KPS2_EEvlllT_PT11_llSA_llS8_PT12_llPT13_lli,@function
_ZN12_GLOBAL__N_127rocblas_gemm_batched_kernelI19rocblas_complex_numIdELi16ELi16ELi32ELi32ELi8ELi32ELi8ELi8ELi32ELc78ELc67EKPKS2_S5_KPS2_EEvlllT_PT11_llSA_llS8_PT12_llPT13_lli: ; @_ZN12_GLOBAL__N_127rocblas_gemm_batched_kernelI19rocblas_complex_numIdELi16ELi16ELi32ELi32ELi8ELi32ELi8ELi8ELi32ELc78ELc67EKPKS2_S5_KPS2_EEvlllT_PT11_llSA_llS8_PT12_llPT13_lli
; %bb.0:
	s_load_dwordx16 s[36:51], s[0:1], 0x10
	s_load_dwordx16 s[8:23], s[0:1], 0x50
	s_mov_b32 s5, 0
	s_lshl_b64 s[24:25], s[4:5], 3
	s_mov_b32 s26, s3
	v_mov_b32_e32 v3, 0
	s_waitcnt lgkmcnt(0)
	s_add_u32 s4, s14, s24
	s_addc_u32 s5, s15, s25
	s_add_u32 s6, s20, s24
	s_addc_u32 s7, s21, s25
	s_load_dwordx2 s[4:5], s[4:5], 0x0
	s_ashr_i32 s3, s2, 31
	s_load_dwordx2 s[6:7], s[6:7], 0x0
	s_ashr_i32 s27, s26, 31
	v_cmp_lt_i64_e64 s[20:21], s[36:37], 1
	v_bfe_u32 v2, v0, 10, 10
	v_and_b32_e32 v0, 0x3ff, v0
	v_mov_b32_e32 v1, v3
	s_lshl_b64 s[2:3], s[2:3], 5
	s_lshl_b64 s[14:15], s[26:27], 5
	s_and_b64 vcc, exec, s[20:21]
	s_cbranch_vccnz .LBB279_3
; %bb.1:
	v_lshl_add_u32 v10, v2, 4, v0
	v_lshrrev_b32_e32 v4, 3, v10
	v_mov_b32_e32 v5, v3
	v_lshl_add_u64 v[6:7], v[4:5], 0, s[14:15]
	v_and_b32_e32 v5, 7, v0
	v_mad_u64_u32 v[6:7], s[26:27], s50, v5, v[6:7]
	v_mov_b32_e32 v8, v7
	s_add_u32 s20, s42, s24
	v_mad_u64_u32 v[8:9], s[26:27], s51, v5, v[8:9]
	v_lshlrev_b32_e32 v5, 4, v5
	s_addc_u32 s21, s43, s25
	v_lshl_or_b32 v4, v4, 7, v5
	s_load_dwordx2 s[20:21], s[20:21], 0x0
	v_add_u32_e32 v27, 0x1000, v4
	v_mov_b32_e32 v4, 0x1000
	s_add_u32 s24, s48, s24
	v_mov_b32_e32 v7, v8
	v_and_b32_e32 v8, 31, v10
	v_lshrrev_b32_e32 v11, 5, v10
	v_lshl_add_u32 v29, v2, 7, v4
	v_mov_b64_e32 v[4:5], s[2:3]
	s_addc_u32 s25, s49, s25
	v_lshlrev_b32_e32 v10, 4, v8
	v_mad_u64_u32 v[4:5], s[28:29], s44, v11, v[4:5]
	s_load_dwordx2 s[24:25], s[24:25], 0x0
	v_lshl_or_b32 v26, v11, 9, v10
	v_mov_b32_e32 v10, v5
	s_lshl_b64 s[26:27], s[46:47], 4
	v_mad_u64_u32 v[10:11], s[28:29], s45, v11, v[10:11]
	v_mov_b32_e32 v9, v3
	v_mov_b32_e32 v5, v10
	s_waitcnt lgkmcnt(0)
	s_add_u32 s20, s20, s26
	v_lshl_add_u64 v[4:5], v[4:5], 0, v[8:9]
	s_addc_u32 s21, s21, s27
	v_lshl_add_u64 v[4:5], v[4:5], 4, s[20:21]
	s_lshl_b64 s[20:21], s[44:45], 7
	s_lshl_b64 s[8:9], s[8:9], 4
	s_add_u32 s8, s24, s8
	s_addc_u32 s9, s25, s9
	v_lshlrev_b32_e32 v28, 4, v0
	v_lshl_add_u64 v[6:7], v[6:7], 4, s[8:9]
	s_lshl_b64 s[8:9], s[50:51], 7
	s_mov_b64 s[24:25], 0
	v_mov_b64_e32 v[12:13], 0
	v_mov_b64_e32 v[8:9], s[36:37]
	;; [unrolled: 1-line block ×9, first 2 shown]
.LBB279_2:                              ; =>This Inner Loop Header: Depth=1
	flat_load_dwordx4 v[30:33], v[4:5]
	s_add_u32 s24, s24, 8
	s_addc_u32 s25, s25, 0
	v_cmp_lt_i64_e32 vcc, s[24:25], v[8:9]
	v_lshl_add_u64 v[4:5], v[4:5], 0, s[20:21]
	s_and_b64 vcc, exec, vcc
	s_waitcnt vmcnt(0) lgkmcnt(0)
	ds_write2_b64 v26, v[30:31], v[32:33] offset1:1
	flat_load_dwordx4 v[30:33], v[6:7]
	v_lshl_add_u64 v[6:7], v[6:7], 0, s[8:9]
	s_waitcnt vmcnt(0) lgkmcnt(0)
	v_xor_b32_e32 v33, 0x80000000, v33
	ds_write_b128 v27, v[30:33]
	s_waitcnt lgkmcnt(0)
	s_barrier
	ds_read_b128 v[30:33], v29
	ds_read_b128 v[34:37], v29 offset:16
	ds_read_b128 v[38:41], v29 offset:32
	;; [unrolled: 1-line block ×3, first 2 shown]
	ds_read_b128 v[46:49], v28
	s_waitcnt lgkmcnt(0)
	v_mul_f64 v[50:51], v[32:33], v[48:49]
	v_mul_f64 v[52:53], v[30:31], v[48:49]
	v_fma_f64 v[50:51], v[30:31], v[46:47], -v[50:51]
	v_fmac_f64_e32 v[52:53], v[32:33], v[46:47]
	v_add_f64 v[50:51], v[22:23], v[50:51]
	v_add_f64 v[52:53], v[52:53], v[24:25]
	ds_read_b128 v[22:25], v28 offset:256
	s_waitcnt lgkmcnt(0)
	v_mul_f64 v[54:55], v[32:33], v[24:25]
	v_fma_f64 v[54:55], v[30:31], v[22:23], -v[54:55]
	v_mul_f64 v[30:31], v[30:31], v[24:25]
	v_fmac_f64_e32 v[30:31], v[32:33], v[22:23]
	v_add_f64 v[32:33], v[14:15], v[54:55]
	v_add_f64 v[30:31], v[30:31], v[16:17]
	ds_read_b128 v[14:17], v29 offset:2048
	s_waitcnt lgkmcnt(0)
	v_mul_f64 v[54:55], v[16:17], v[48:49]
	v_fma_f64 v[54:55], v[14:15], v[46:47], -v[54:55]
	v_mul_f64 v[48:49], v[14:15], v[48:49]
	v_fmac_f64_e32 v[48:49], v[16:17], v[46:47]
	v_add_f64 v[46:47], v[18:19], v[54:55]
	v_mul_f64 v[18:19], v[16:17], v[24:25]
	v_fma_f64 v[18:19], v[14:15], v[22:23], -v[18:19]
	v_mul_f64 v[14:15], v[14:15], v[24:25]
	v_fmac_f64_e32 v[14:15], v[16:17], v[22:23]
	v_add_f64 v[22:23], v[10:11], v[18:19]
	v_add_f64 v[24:25], v[14:15], v[12:13]
	ds_read_b128 v[10:13], v28 offset:512
	v_add_f64 v[48:49], v[48:49], v[20:21]
	s_waitcnt lgkmcnt(0)
	v_mul_f64 v[14:15], v[36:37], v[12:13]
	v_mul_f64 v[16:17], v[34:35], v[12:13]
	v_fma_f64 v[14:15], v[34:35], v[10:11], -v[14:15]
	v_fmac_f64_e32 v[16:17], v[36:37], v[10:11]
	v_add_f64 v[50:51], v[50:51], v[14:15]
	v_add_f64 v[52:53], v[16:17], v[52:53]
	ds_read_b128 v[14:17], v28 offset:768
	s_waitcnt lgkmcnt(0)
	v_mul_f64 v[18:19], v[36:37], v[16:17]
	v_mul_f64 v[20:21], v[34:35], v[16:17]
	v_fma_f64 v[18:19], v[34:35], v[14:15], -v[18:19]
	v_fmac_f64_e32 v[20:21], v[36:37], v[14:15]
	v_add_f64 v[32:33], v[32:33], v[18:19]
	v_add_f64 v[30:31], v[20:21], v[30:31]
	ds_read_b128 v[18:21], v29 offset:2064
	s_waitcnt lgkmcnt(0)
	v_mul_f64 v[34:35], v[20:21], v[12:13]
	v_mul_f64 v[12:13], v[18:19], v[12:13]
	v_fmac_f64_e32 v[12:13], v[20:21], v[10:11]
	v_fma_f64 v[34:35], v[18:19], v[10:11], -v[34:35]
	v_add_f64 v[36:37], v[12:13], v[48:49]
	v_mul_f64 v[10:11], v[20:21], v[16:17]
	v_mul_f64 v[12:13], v[18:19], v[16:17]
	v_fma_f64 v[10:11], v[18:19], v[14:15], -v[10:11]
	v_fmac_f64_e32 v[12:13], v[20:21], v[14:15]
	v_add_f64 v[22:23], v[22:23], v[10:11]
	v_add_f64 v[24:25], v[12:13], v[24:25]
	ds_read_b128 v[10:13], v28 offset:1024
	v_add_f64 v[34:35], v[46:47], v[34:35]
	s_waitcnt lgkmcnt(0)
	v_mul_f64 v[14:15], v[40:41], v[12:13]
	v_mul_f64 v[16:17], v[38:39], v[12:13]
	v_fma_f64 v[14:15], v[38:39], v[10:11], -v[14:15]
	v_fmac_f64_e32 v[16:17], v[40:41], v[10:11]
	v_add_f64 v[46:47], v[50:51], v[14:15]
	v_add_f64 v[48:49], v[16:17], v[52:53]
	ds_read_b128 v[14:17], v28 offset:1280
	s_waitcnt lgkmcnt(0)
	v_mul_f64 v[18:19], v[40:41], v[16:17]
	v_mul_f64 v[20:21], v[38:39], v[16:17]
	v_fma_f64 v[18:19], v[38:39], v[14:15], -v[18:19]
	v_fmac_f64_e32 v[20:21], v[40:41], v[14:15]
	v_add_f64 v[32:33], v[32:33], v[18:19]
	v_add_f64 v[30:31], v[20:21], v[30:31]
	ds_read_b128 v[18:21], v29 offset:2080
	s_waitcnt lgkmcnt(0)
	v_mul_f64 v[38:39], v[20:21], v[12:13]
	v_mul_f64 v[12:13], v[18:19], v[12:13]
	v_fmac_f64_e32 v[12:13], v[20:21], v[10:11]
	v_fma_f64 v[38:39], v[18:19], v[10:11], -v[38:39]
	v_add_f64 v[36:37], v[12:13], v[36:37]
	v_mul_f64 v[10:11], v[20:21], v[16:17]
	v_mul_f64 v[12:13], v[18:19], v[16:17]
	v_fma_f64 v[10:11], v[18:19], v[14:15], -v[10:11]
	;; [unrolled: 30-line block ×3, first 2 shown]
	v_fmac_f64_e32 v[12:13], v[20:21], v[14:15]
	v_add_f64 v[22:23], v[22:23], v[10:11]
	v_add_f64 v[24:25], v[12:13], v[24:25]
	ds_read_b128 v[10:13], v29 offset:64
	ds_read_b128 v[14:17], v28 offset:2048
	v_add_f64 v[34:35], v[34:35], v[42:43]
	s_waitcnt lgkmcnt(0)
	v_mul_f64 v[18:19], v[12:13], v[16:17]
	v_mul_f64 v[20:21], v[10:11], v[16:17]
	v_fma_f64 v[18:19], v[10:11], v[14:15], -v[18:19]
	v_fmac_f64_e32 v[20:21], v[12:13], v[14:15]
	v_add_f64 v[38:39], v[38:39], v[18:19]
	v_add_f64 v[40:41], v[20:21], v[40:41]
	ds_read_b128 v[18:21], v28 offset:2304
	s_waitcnt lgkmcnt(0)
	v_mul_f64 v[42:43], v[12:13], v[20:21]
	v_fma_f64 v[42:43], v[10:11], v[18:19], -v[42:43]
	v_mul_f64 v[10:11], v[10:11], v[20:21]
	v_fmac_f64_e32 v[10:11], v[12:13], v[18:19]
	v_add_f64 v[30:31], v[10:11], v[30:31]
	ds_read_b128 v[10:13], v29 offset:2112
	v_add_f64 v[32:33], v[32:33], v[42:43]
	s_waitcnt lgkmcnt(0)
	v_mul_f64 v[42:43], v[12:13], v[16:17]
	v_mul_f64 v[16:17], v[10:11], v[16:17]
	v_fma_f64 v[42:43], v[10:11], v[14:15], -v[42:43]
	v_fmac_f64_e32 v[16:17], v[12:13], v[14:15]
	v_mul_f64 v[14:15], v[12:13], v[20:21]
	v_fma_f64 v[14:15], v[10:11], v[18:19], -v[14:15]
	v_mul_f64 v[10:11], v[10:11], v[20:21]
	v_fmac_f64_e32 v[10:11], v[12:13], v[18:19]
	v_add_f64 v[36:37], v[16:17], v[36:37]
	v_add_f64 v[22:23], v[22:23], v[14:15]
	v_add_f64 v[24:25], v[10:11], v[24:25]
	ds_read_b128 v[10:13], v29 offset:80
	ds_read_b128 v[14:17], v28 offset:2560
	v_add_f64 v[34:35], v[34:35], v[42:43]
	s_waitcnt lgkmcnt(0)
	v_mul_f64 v[18:19], v[12:13], v[16:17]
	v_mul_f64 v[20:21], v[10:11], v[16:17]
	v_fma_f64 v[18:19], v[10:11], v[14:15], -v[18:19]
	v_fmac_f64_e32 v[20:21], v[12:13], v[14:15]
	v_add_f64 v[38:39], v[38:39], v[18:19]
	v_add_f64 v[40:41], v[20:21], v[40:41]
	ds_read_b128 v[18:21], v28 offset:2816
	s_waitcnt lgkmcnt(0)
	v_mul_f64 v[42:43], v[12:13], v[20:21]
	v_fma_f64 v[42:43], v[10:11], v[18:19], -v[42:43]
	v_mul_f64 v[10:11], v[10:11], v[20:21]
	v_fmac_f64_e32 v[10:11], v[12:13], v[18:19]
	v_add_f64 v[30:31], v[10:11], v[30:31]
	ds_read_b128 v[10:13], v29 offset:2128
	v_add_f64 v[32:33], v[32:33], v[42:43]
	s_waitcnt lgkmcnt(0)
	v_mul_f64 v[42:43], v[12:13], v[16:17]
	v_mul_f64 v[16:17], v[10:11], v[16:17]
	v_fma_f64 v[42:43], v[10:11], v[14:15], -v[42:43]
	v_fmac_f64_e32 v[16:17], v[12:13], v[14:15]
	v_mul_f64 v[14:15], v[12:13], v[20:21]
	v_fma_f64 v[14:15], v[10:11], v[18:19], -v[14:15]
	v_mul_f64 v[10:11], v[10:11], v[20:21]
	v_fmac_f64_e32 v[10:11], v[12:13], v[18:19]
	v_add_f64 v[36:37], v[16:17], v[36:37]
	;; [unrolled: 31-line block ×3, first 2 shown]
	ds_read_b128 v[10:13], v29 offset:112
	ds_read_b128 v[18:21], v28 offset:3584
	v_add_f64 v[34:35], v[34:35], v[30:31]
	ds_read_b128 v[30:33], v28 offset:3840
	v_add_f64 v[46:47], v[22:23], v[14:15]
	v_add_f64 v[36:37], v[16:17], v[36:37]
	s_waitcnt lgkmcnt(1)
	v_mul_f64 v[14:15], v[12:13], v[20:21]
	v_fma_f64 v[14:15], v[10:11], v[18:19], -v[14:15]
	v_add_f64 v[22:23], v[38:39], v[14:15]
	s_waitcnt lgkmcnt(0)
	v_mul_f64 v[14:15], v[12:13], v[32:33]
	v_mul_f64 v[16:17], v[10:11], v[20:21]
	v_fma_f64 v[14:15], v[10:11], v[30:31], -v[14:15]
	v_mul_f64 v[10:11], v[10:11], v[32:33]
	v_fmac_f64_e32 v[16:17], v[12:13], v[18:19]
	v_fmac_f64_e32 v[10:11], v[12:13], v[30:31]
	v_add_f64 v[24:25], v[16:17], v[40:41]
	v_add_f64 v[16:17], v[10:11], v[44:45]
	ds_read_b128 v[10:13], v29 offset:2160
	v_add_f64 v[14:15], v[42:43], v[14:15]
	s_waitcnt lgkmcnt(0)
	s_barrier
	v_mul_f64 v[38:39], v[12:13], v[20:21]
	v_fma_f64 v[38:39], v[10:11], v[18:19], -v[38:39]
	v_mul_f64 v[20:21], v[10:11], v[20:21]
	v_fmac_f64_e32 v[20:21], v[12:13], v[18:19]
	v_add_f64 v[18:19], v[34:35], v[38:39]
	v_mul_f64 v[34:35], v[12:13], v[32:33]
	v_mul_f64 v[32:33], v[10:11], v[32:33]
	v_fma_f64 v[34:35], v[10:11], v[30:31], -v[34:35]
	v_fmac_f64_e32 v[32:33], v[12:13], v[30:31]
	v_add_f64 v[20:21], v[20:21], v[36:37]
	v_add_f64 v[10:11], v[46:47], v[34:35]
	;; [unrolled: 1-line block ×3, first 2 shown]
	s_cbranch_vccnz .LBB279_2
	s_branch .LBB279_4
.LBB279_3:
	v_mov_b64_e32 v[22:23], 0
	v_mov_b64_e32 v[24:25], 0
	;; [unrolled: 1-line block ×8, first 2 shown]
.LBB279_4:
	s_load_dwordx2 s[0:1], s[0:1], 0x90
	v_lshl_add_u64 v[2:3], s[14:15], 0, v[2:3]
	v_cmp_neq_f64_e64 s[14:15], s[10:11], 0
	v_cmp_neq_f64_e64 s[20:21], s[12:13], 0
	s_mov_b64 s[8:9], 0
	s_waitcnt lgkmcnt(0)
	s_lshl_b64 s[0:1], s[0:1], 4
	s_add_u32 s0, s6, s0
	s_addc_u32 s1, s7, s1
	s_or_b64 s[6:7], s[14:15], s[20:21]
	v_lshl_add_u64 v[0:1], s[2:3], 0, v[0:1]
	s_and_b64 vcc, exec, s[6:7]
	s_cbranch_vccnz .LBB279_6
; %bb.5:
	v_mul_lo_u32 v6, v3, s22
	v_mul_lo_u32 v7, v2, s23
	v_mad_u64_u32 v[4:5], s[2:3], v2, s22, 0
	v_add3_u32 v5, v5, v7, v6
	v_lshl_add_u64 v[8:9], v[4:5], 4, s[0:1]
	v_mul_f64 v[4:5], s[40:41], v[24:25]
	v_mul_f64 v[6:7], s[38:39], v[24:25]
	v_lshlrev_b64 v[26:27], 4, v[0:1]
	v_fma_f64 v[4:5], s[38:39], v[22:23], -v[4:5]
	v_fmac_f64_e32 v[6:7], s[40:41], v[22:23]
	v_lshl_add_u64 v[28:29], v[8:9], 0, v[26:27]
	flat_store_dwordx4 v[28:29], v[4:7]
	s_lshl_b64 s[2:3], s[22:23], 8
	v_lshl_add_u64 v[8:9], v[8:9], 0, s[2:3]
	v_mul_f64 v[4:5], s[40:41], v[16:17]
	v_mul_f64 v[6:7], s[38:39], v[16:17]
	v_fma_f64 v[4:5], s[38:39], v[14:15], -v[4:5]
	v_fmac_f64_e32 v[6:7], s[40:41], v[14:15]
	flat_store_dwordx4 v[28:29], v[4:7] offset:256
	v_lshl_add_u64 v[8:9], v[8:9], 0, v[26:27]
	s_mov_b64 s[2:3], 0x100
	v_mul_f64 v[4:5], s[40:41], v[20:21]
	v_mul_f64 v[6:7], s[38:39], v[20:21]
	v_fma_f64 v[4:5], s[38:39], v[18:19], -v[4:5]
	v_fmac_f64_e32 v[6:7], s[40:41], v[18:19]
	flat_store_dwordx4 v[8:9], v[4:7]
	s_nop 1
	v_mul_f64 v[4:5], s[40:41], v[12:13]
	v_fma_f64 v[26:27], s[38:39], v[10:11], -v[4:5]
	v_mul_f64 v[4:5], s[38:39], v[12:13]
	v_fmac_f64_e32 v[4:5], s[40:41], v[10:11]
	v_lshl_add_u64 v[6:7], v[8:9], 0, s[2:3]
	flat_store_dwordx2 v[8:9], v[26:27] offset:256
	s_andn2_b64 vcc, exec, s[8:9]
	s_cbranch_vccz .LBB279_7
	s_branch .LBB279_8
.LBB279_6:
                                        ; implicit-def: $vgpr4_vgpr5
                                        ; implicit-def: $vgpr6_vgpr7
.LBB279_7:
	s_lshl_b64 s[2:3], s[18:19], 4
	s_add_u32 s2, s4, s2
	s_addc_u32 s3, s5, s3
	v_mul_lo_u32 v6, v3, s16
	v_mul_lo_u32 v7, v2, s17
	v_mad_u64_u32 v[4:5], s[4:5], v2, s16, 0
	v_add3_u32 v5, v5, v7, v6
	v_lshl_add_u64 v[8:9], v[4:5], 4, s[2:3]
	v_lshlrev_b64 v[26:27], 4, v[0:1]
	v_lshl_add_u64 v[28:29], v[8:9], 0, v[26:27]
	flat_load_dwordx4 v[4:7], v[28:29]
	v_mul_lo_u32 v30, v3, s22
	v_mul_lo_u32 v31, v2, s23
	v_mad_u64_u32 v[0:1], s[2:3], v2, s22, 0
	v_mul_f64 v[2:3], s[40:41], v[24:25]
	v_mul_f64 v[24:25], s[38:39], v[24:25]
	v_add3_u32 v1, v1, v31, v30
	v_fma_f64 v[2:3], s[38:39], v[22:23], -v[2:3]
	v_fmac_f64_e32 v[24:25], s[40:41], v[22:23]
	v_lshl_add_u64 v[22:23], v[0:1], 4, s[0:1]
	v_lshl_add_u64 v[30:31], v[22:23], 0, v[26:27]
	s_lshl_b64 s[0:1], s[16:17], 8
	v_lshl_add_u64 v[8:9], v[8:9], 0, s[0:1]
	v_lshl_add_u64 v[8:9], v[8:9], 0, v[26:27]
	s_lshl_b64 s[0:1], s[22:23], 8
	s_waitcnt vmcnt(0) lgkmcnt(0)
	v_mul_f64 v[0:1], s[12:13], v[6:7]
	v_mul_f64 v[6:7], s[10:11], v[6:7]
	v_fma_f64 v[0:1], s[10:11], v[4:5], -v[0:1]
	v_fmac_f64_e32 v[6:7], s[12:13], v[4:5]
	v_add_f64 v[0:1], v[2:3], v[0:1]
	v_add_f64 v[2:3], v[24:25], v[6:7]
	flat_store_dwordx4 v[30:31], v[0:3]
	flat_load_dwordx4 v[0:3], v[28:29] offset:256
	v_mul_f64 v[4:5], s[40:41], v[16:17]
	v_mul_f64 v[6:7], s[38:39], v[16:17]
	v_fma_f64 v[4:5], s[38:39], v[14:15], -v[4:5]
	v_fmac_f64_e32 v[6:7], s[40:41], v[14:15]
	s_waitcnt vmcnt(0) lgkmcnt(0)
	v_mul_f64 v[14:15], s[12:13], v[2:3]
	v_mul_f64 v[2:3], s[10:11], v[2:3]
	v_fma_f64 v[14:15], s[10:11], v[0:1], -v[14:15]
	v_fmac_f64_e32 v[2:3], s[12:13], v[0:1]
	v_add_f64 v[0:1], v[4:5], v[14:15]
	v_add_f64 v[2:3], v[6:7], v[2:3]
	flat_store_dwordx4 v[30:31], v[0:3] offset:256
	flat_load_dwordx4 v[0:3], v[8:9]
	v_mul_f64 v[4:5], s[40:41], v[20:21]
	v_mul_f64 v[6:7], s[38:39], v[20:21]
	v_fma_f64 v[4:5], s[38:39], v[18:19], -v[4:5]
	v_fmac_f64_e32 v[6:7], s[40:41], v[18:19]
	v_lshl_add_u64 v[14:15], v[22:23], 0, s[0:1]
	v_lshl_add_u64 v[14:15], v[14:15], 0, v[26:27]
	s_mov_b64 s[0:1], 0x100
	s_waitcnt vmcnt(0) lgkmcnt(0)
	v_mul_f64 v[16:17], s[12:13], v[2:3]
	v_mul_f64 v[2:3], s[10:11], v[2:3]
	v_fma_f64 v[16:17], s[10:11], v[0:1], -v[16:17]
	v_fmac_f64_e32 v[2:3], s[12:13], v[0:1]
	v_add_f64 v[0:1], v[4:5], v[16:17]
	v_add_f64 v[2:3], v[6:7], v[2:3]
	flat_store_dwordx4 v[14:15], v[0:3]
	flat_load_dwordx4 v[0:3], v[8:9] offset:256
	v_mul_f64 v[4:5], s[40:41], v[12:13]
	v_mul_f64 v[6:7], s[38:39], v[12:13]
	v_fma_f64 v[4:5], s[38:39], v[10:11], -v[4:5]
	v_fmac_f64_e32 v[6:7], s[40:41], v[10:11]
	s_waitcnt vmcnt(0) lgkmcnt(0)
	v_mul_f64 v[8:9], s[12:13], v[2:3]
	v_mul_f64 v[2:3], s[10:11], v[2:3]
	v_fma_f64 v[8:9], s[10:11], v[0:1], -v[8:9]
	v_fmac_f64_e32 v[2:3], s[12:13], v[0:1]
	v_add_f64 v[0:1], v[4:5], v[8:9]
	v_add_f64 v[4:5], v[6:7], v[2:3]
	v_lshl_add_u64 v[6:7], v[14:15], 0, s[0:1]
	flat_store_dwordx2 v[14:15], v[0:1] offset:256
.LBB279_8:
	flat_store_dwordx2 v[6:7], v[4:5] offset:8
	s_endpgm
	.section	.rodata,"a",@progbits
	.p2align	6, 0x0
	.amdhsa_kernel _ZN12_GLOBAL__N_127rocblas_gemm_batched_kernelI19rocblas_complex_numIdELi16ELi16ELi32ELi32ELi8ELi32ELi8ELi8ELi32ELc78ELc67EKPKS2_S5_KPS2_EEvlllT_PT11_llSA_llS8_PT12_llPT13_lli
		.amdhsa_group_segment_fixed_size 8192
		.amdhsa_private_segment_fixed_size 0
		.amdhsa_kernarg_size 156
		.amdhsa_user_sgpr_count 2
		.amdhsa_user_sgpr_dispatch_ptr 0
		.amdhsa_user_sgpr_queue_ptr 0
		.amdhsa_user_sgpr_kernarg_segment_ptr 1
		.amdhsa_user_sgpr_dispatch_id 0
		.amdhsa_user_sgpr_kernarg_preload_length 0
		.amdhsa_user_sgpr_kernarg_preload_offset 0
		.amdhsa_user_sgpr_private_segment_size 0
		.amdhsa_uses_dynamic_stack 0
		.amdhsa_enable_private_segment 0
		.amdhsa_system_sgpr_workgroup_id_x 1
		.amdhsa_system_sgpr_workgroup_id_y 1
		.amdhsa_system_sgpr_workgroup_id_z 1
		.amdhsa_system_sgpr_workgroup_info 0
		.amdhsa_system_vgpr_workitem_id 1
		.amdhsa_next_free_vgpr 56
		.amdhsa_next_free_sgpr 52
		.amdhsa_accum_offset 56
		.amdhsa_reserve_vcc 1
		.amdhsa_float_round_mode_32 0
		.amdhsa_float_round_mode_16_64 0
		.amdhsa_float_denorm_mode_32 3
		.amdhsa_float_denorm_mode_16_64 3
		.amdhsa_dx10_clamp 1
		.amdhsa_ieee_mode 1
		.amdhsa_fp16_overflow 0
		.amdhsa_tg_split 0
		.amdhsa_exception_fp_ieee_invalid_op 0
		.amdhsa_exception_fp_denorm_src 0
		.amdhsa_exception_fp_ieee_div_zero 0
		.amdhsa_exception_fp_ieee_overflow 0
		.amdhsa_exception_fp_ieee_underflow 0
		.amdhsa_exception_fp_ieee_inexact 0
		.amdhsa_exception_int_div_zero 0
	.end_amdhsa_kernel
	.section	.text._ZN12_GLOBAL__N_127rocblas_gemm_batched_kernelI19rocblas_complex_numIdELi16ELi16ELi32ELi32ELi8ELi32ELi8ELi8ELi32ELc78ELc67EKPKS2_S5_KPS2_EEvlllT_PT11_llSA_llS8_PT12_llPT13_lli,"axG",@progbits,_ZN12_GLOBAL__N_127rocblas_gemm_batched_kernelI19rocblas_complex_numIdELi16ELi16ELi32ELi32ELi8ELi32ELi8ELi8ELi32ELc78ELc67EKPKS2_S5_KPS2_EEvlllT_PT11_llSA_llS8_PT12_llPT13_lli,comdat
.Lfunc_end279:
	.size	_ZN12_GLOBAL__N_127rocblas_gemm_batched_kernelI19rocblas_complex_numIdELi16ELi16ELi32ELi32ELi8ELi32ELi8ELi8ELi32ELc78ELc67EKPKS2_S5_KPS2_EEvlllT_PT11_llSA_llS8_PT12_llPT13_lli, .Lfunc_end279-_ZN12_GLOBAL__N_127rocblas_gemm_batched_kernelI19rocblas_complex_numIdELi16ELi16ELi32ELi32ELi8ELi32ELi8ELi8ELi32ELc78ELc67EKPKS2_S5_KPS2_EEvlllT_PT11_llSA_llS8_PT12_llPT13_lli
                                        ; -- End function
	.set _ZN12_GLOBAL__N_127rocblas_gemm_batched_kernelI19rocblas_complex_numIdELi16ELi16ELi32ELi32ELi8ELi32ELi8ELi8ELi32ELc78ELc67EKPKS2_S5_KPS2_EEvlllT_PT11_llSA_llS8_PT12_llPT13_lli.num_vgpr, 56
	.set _ZN12_GLOBAL__N_127rocblas_gemm_batched_kernelI19rocblas_complex_numIdELi16ELi16ELi32ELi32ELi8ELi32ELi8ELi8ELi32ELc78ELc67EKPKS2_S5_KPS2_EEvlllT_PT11_llSA_llS8_PT12_llPT13_lli.num_agpr, 0
	.set _ZN12_GLOBAL__N_127rocblas_gemm_batched_kernelI19rocblas_complex_numIdELi16ELi16ELi32ELi32ELi8ELi32ELi8ELi8ELi32ELc78ELc67EKPKS2_S5_KPS2_EEvlllT_PT11_llSA_llS8_PT12_llPT13_lli.numbered_sgpr, 52
	.set _ZN12_GLOBAL__N_127rocblas_gemm_batched_kernelI19rocblas_complex_numIdELi16ELi16ELi32ELi32ELi8ELi32ELi8ELi8ELi32ELc78ELc67EKPKS2_S5_KPS2_EEvlllT_PT11_llSA_llS8_PT12_llPT13_lli.num_named_barrier, 0
	.set _ZN12_GLOBAL__N_127rocblas_gemm_batched_kernelI19rocblas_complex_numIdELi16ELi16ELi32ELi32ELi8ELi32ELi8ELi8ELi32ELc78ELc67EKPKS2_S5_KPS2_EEvlllT_PT11_llSA_llS8_PT12_llPT13_lli.private_seg_size, 0
	.set _ZN12_GLOBAL__N_127rocblas_gemm_batched_kernelI19rocblas_complex_numIdELi16ELi16ELi32ELi32ELi8ELi32ELi8ELi8ELi32ELc78ELc67EKPKS2_S5_KPS2_EEvlllT_PT11_llSA_llS8_PT12_llPT13_lli.uses_vcc, 1
	.set _ZN12_GLOBAL__N_127rocblas_gemm_batched_kernelI19rocblas_complex_numIdELi16ELi16ELi32ELi32ELi8ELi32ELi8ELi8ELi32ELc78ELc67EKPKS2_S5_KPS2_EEvlllT_PT11_llSA_llS8_PT12_llPT13_lli.uses_flat_scratch, 0
	.set _ZN12_GLOBAL__N_127rocblas_gemm_batched_kernelI19rocblas_complex_numIdELi16ELi16ELi32ELi32ELi8ELi32ELi8ELi8ELi32ELc78ELc67EKPKS2_S5_KPS2_EEvlllT_PT11_llSA_llS8_PT12_llPT13_lli.has_dyn_sized_stack, 0
	.set _ZN12_GLOBAL__N_127rocblas_gemm_batched_kernelI19rocblas_complex_numIdELi16ELi16ELi32ELi32ELi8ELi32ELi8ELi8ELi32ELc78ELc67EKPKS2_S5_KPS2_EEvlllT_PT11_llSA_llS8_PT12_llPT13_lli.has_recursion, 0
	.set _ZN12_GLOBAL__N_127rocblas_gemm_batched_kernelI19rocblas_complex_numIdELi16ELi16ELi32ELi32ELi8ELi32ELi8ELi8ELi32ELc78ELc67EKPKS2_S5_KPS2_EEvlllT_PT11_llSA_llS8_PT12_llPT13_lli.has_indirect_call, 0
	.section	.AMDGPU.csdata,"",@progbits
; Kernel info:
; codeLenInByte = 3164
; TotalNumSgprs: 58
; NumVgprs: 56
; NumAgprs: 0
; TotalNumVgprs: 56
; ScratchSize: 0
; MemoryBound: 0
; FloatMode: 240
; IeeeMode: 1
; LDSByteSize: 8192 bytes/workgroup (compile time only)
; SGPRBlocks: 7
; VGPRBlocks: 6
; NumSGPRsForWavesPerEU: 58
; NumVGPRsForWavesPerEU: 56
; AccumOffset: 56
; Occupancy: 8
; WaveLimiterHint : 1
; COMPUTE_PGM_RSRC2:SCRATCH_EN: 0
; COMPUTE_PGM_RSRC2:USER_SGPR: 2
; COMPUTE_PGM_RSRC2:TRAP_HANDLER: 0
; COMPUTE_PGM_RSRC2:TGID_X_EN: 1
; COMPUTE_PGM_RSRC2:TGID_Y_EN: 1
; COMPUTE_PGM_RSRC2:TGID_Z_EN: 1
; COMPUTE_PGM_RSRC2:TIDIG_COMP_CNT: 1
; COMPUTE_PGM_RSRC3_GFX90A:ACCUM_OFFSET: 13
; COMPUTE_PGM_RSRC3_GFX90A:TG_SPLIT: 0
	.section	.text._ZN12_GLOBAL__N_127rocblas_gemm_batched_kernelI19rocblas_complex_numIdELi16ELi16ELi32ELi32ELi8ELi32ELi8ELi8ELi32ELc84ELc67EKPKS2_S5_KPS2_EEvlllT_PT11_llSA_llS8_PT12_llPT13_lli,"axG",@progbits,_ZN12_GLOBAL__N_127rocblas_gemm_batched_kernelI19rocblas_complex_numIdELi16ELi16ELi32ELi32ELi8ELi32ELi8ELi8ELi32ELc84ELc67EKPKS2_S5_KPS2_EEvlllT_PT11_llSA_llS8_PT12_llPT13_lli,comdat
	.globl	_ZN12_GLOBAL__N_127rocblas_gemm_batched_kernelI19rocblas_complex_numIdELi16ELi16ELi32ELi32ELi8ELi32ELi8ELi8ELi32ELc84ELc67EKPKS2_S5_KPS2_EEvlllT_PT11_llSA_llS8_PT12_llPT13_lli ; -- Begin function _ZN12_GLOBAL__N_127rocblas_gemm_batched_kernelI19rocblas_complex_numIdELi16ELi16ELi32ELi32ELi8ELi32ELi8ELi8ELi32ELc84ELc67EKPKS2_S5_KPS2_EEvlllT_PT11_llSA_llS8_PT12_llPT13_lli
	.p2align	8
	.type	_ZN12_GLOBAL__N_127rocblas_gemm_batched_kernelI19rocblas_complex_numIdELi16ELi16ELi32ELi32ELi8ELi32ELi8ELi8ELi32ELc84ELc67EKPKS2_S5_KPS2_EEvlllT_PT11_llSA_llS8_PT12_llPT13_lli,@function
_ZN12_GLOBAL__N_127rocblas_gemm_batched_kernelI19rocblas_complex_numIdELi16ELi16ELi32ELi32ELi8ELi32ELi8ELi8ELi32ELc84ELc67EKPKS2_S5_KPS2_EEvlllT_PT11_llSA_llS8_PT12_llPT13_lli: ; @_ZN12_GLOBAL__N_127rocblas_gemm_batched_kernelI19rocblas_complex_numIdELi16ELi16ELi32ELi32ELi8ELi32ELi8ELi8ELi32ELc84ELc67EKPKS2_S5_KPS2_EEvlllT_PT11_llSA_llS8_PT12_llPT13_lli
; %bb.0:
	s_load_dwordx16 s[36:51], s[0:1], 0x10
	s_load_dwordx16 s[8:23], s[0:1], 0x50
	s_mov_b32 s5, 0
	s_lshl_b64 s[24:25], s[4:5], 3
	s_mov_b32 s26, s3
	v_mov_b32_e32 v3, 0
	s_waitcnt lgkmcnt(0)
	s_add_u32 s4, s14, s24
	s_addc_u32 s5, s15, s25
	s_add_u32 s6, s20, s24
	s_addc_u32 s7, s21, s25
	s_load_dwordx2 s[4:5], s[4:5], 0x0
	s_ashr_i32 s3, s2, 31
	s_load_dwordx2 s[6:7], s[6:7], 0x0
	s_ashr_i32 s27, s26, 31
	v_cmp_lt_i64_e64 s[20:21], s[36:37], 1
	v_bfe_u32 v2, v0, 10, 10
	v_and_b32_e32 v0, 0x3ff, v0
	v_mov_b32_e32 v1, v3
	s_lshl_b64 s[2:3], s[2:3], 5
	s_lshl_b64 s[14:15], s[26:27], 5
	s_and_b64 vcc, exec, s[20:21]
	s_cbranch_vccnz .LBB280_3
; %bb.1:
	v_lshl_add_u32 v10, v2, 4, v0
	v_lshrrev_b32_e32 v4, 3, v10
	v_mov_b32_e32 v5, v3
	s_add_u32 s20, s42, s24
	v_lshl_add_u64 v[6:7], v[4:5], 0, s[14:15]
	v_and_b32_e32 v5, 7, v0
	s_addc_u32 s21, s43, s25
	v_mad_u64_u32 v[6:7], s[26:27], s50, v5, v[6:7]
	s_add_u32 s24, s48, s24
	v_mov_b32_e32 v8, v7
	s_addc_u32 s25, s49, s25
	v_mad_u64_u32 v[8:9], s[26:27], s51, v5, v[8:9]
	v_lshlrev_b32_e32 v5, 4, v5
	s_load_dwordx2 s[24:25], s[24:25], 0x0
	v_lshl_or_b32 v4, v4, 7, v5
	v_mov_b32_e32 v7, v8
	v_and_b32_e32 v8, 31, v10
	v_mov_b32_e32 v9, v3
	v_add_u32_e32 v27, 0x1000, v4
	v_mov_b32_e32 v4, 0x1000
	s_load_dwordx2 s[20:21], s[20:21], 0x0
	v_lshl_add_u32 v29, v2, 7, v4
	v_lshl_add_u64 v[4:5], s[2:3], 0, v[8:9]
	v_lshlrev_b32_e32 v11, 4, v8
	v_mul_lo_u32 v8, s45, v4
	v_mul_lo_u32 v9, s44, v5
	v_mad_u64_u32 v[4:5], s[26:27], s44, v4, 0
	v_lshrrev_b32_e32 v10, 5, v10
	v_add3_u32 v5, v5, v9, v8
	s_lshl_b64 s[26:27], s[46:47], 4
	s_lshl_b64 s[8:9], s[8:9], 4
	v_lshl_add_u64 v[4:5], v[4:5], 4, s[26:27]
	v_lshlrev_b32_e32 v8, 4, v10
	v_mov_b32_e32 v9, v3
	s_waitcnt lgkmcnt(0)
	s_add_u32 s8, s24, s8
	v_lshl_add_u64 v[4:5], v[4:5], 0, v[8:9]
	s_addc_u32 s9, s25, s9
	v_lshl_or_b32 v26, v10, 9, v11
	v_lshlrev_b32_e32 v28, 4, v0
	v_lshl_add_u64 v[4:5], s[20:21], 0, v[4:5]
	v_lshl_add_u64 v[6:7], v[6:7], 4, s[8:9]
	s_lshl_b64 s[8:9], s[50:51], 7
	s_mov_b64 s[20:21], 0
	v_mov_b64_e32 v[12:13], 0
	s_mov_b64 s[24:25], 0x80
	v_mov_b64_e32 v[8:9], s[36:37]
	v_mov_b64_e32 v[10:11], 0
	;; [unrolled: 1-line block ×8, first 2 shown]
.LBB280_2:                              ; =>This Inner Loop Header: Depth=1
	flat_load_dwordx4 v[30:33], v[4:5]
	s_add_u32 s20, s20, 8
	s_addc_u32 s21, s21, 0
	v_cmp_lt_i64_e32 vcc, s[20:21], v[8:9]
	v_lshl_add_u64 v[4:5], v[4:5], 0, s[24:25]
	s_and_b64 vcc, exec, vcc
	s_waitcnt vmcnt(0) lgkmcnt(0)
	ds_write2_b64 v26, v[30:31], v[32:33] offset1:1
	flat_load_dwordx4 v[30:33], v[6:7]
	v_lshl_add_u64 v[6:7], v[6:7], 0, s[8:9]
	s_waitcnt vmcnt(0) lgkmcnt(0)
	v_xor_b32_e32 v33, 0x80000000, v33
	ds_write_b128 v27, v[30:33]
	s_waitcnt lgkmcnt(0)
	s_barrier
	ds_read_b128 v[30:33], v29
	ds_read_b128 v[34:37], v29 offset:16
	ds_read_b128 v[38:41], v29 offset:32
	;; [unrolled: 1-line block ×3, first 2 shown]
	ds_read_b128 v[46:49], v28
	s_waitcnt lgkmcnt(0)
	v_mul_f64 v[50:51], v[32:33], v[48:49]
	v_mul_f64 v[52:53], v[30:31], v[48:49]
	v_fma_f64 v[50:51], v[30:31], v[46:47], -v[50:51]
	v_fmac_f64_e32 v[52:53], v[32:33], v[46:47]
	v_add_f64 v[50:51], v[22:23], v[50:51]
	v_add_f64 v[52:53], v[52:53], v[24:25]
	ds_read_b128 v[22:25], v28 offset:256
	s_waitcnt lgkmcnt(0)
	v_mul_f64 v[54:55], v[32:33], v[24:25]
	v_fma_f64 v[54:55], v[30:31], v[22:23], -v[54:55]
	v_mul_f64 v[30:31], v[30:31], v[24:25]
	v_fmac_f64_e32 v[30:31], v[32:33], v[22:23]
	v_add_f64 v[32:33], v[14:15], v[54:55]
	v_add_f64 v[30:31], v[30:31], v[16:17]
	ds_read_b128 v[14:17], v29 offset:2048
	s_waitcnt lgkmcnt(0)
	v_mul_f64 v[54:55], v[16:17], v[48:49]
	v_fma_f64 v[54:55], v[14:15], v[46:47], -v[54:55]
	v_mul_f64 v[48:49], v[14:15], v[48:49]
	v_fmac_f64_e32 v[48:49], v[16:17], v[46:47]
	v_add_f64 v[46:47], v[18:19], v[54:55]
	v_mul_f64 v[18:19], v[16:17], v[24:25]
	v_fma_f64 v[18:19], v[14:15], v[22:23], -v[18:19]
	v_mul_f64 v[14:15], v[14:15], v[24:25]
	v_fmac_f64_e32 v[14:15], v[16:17], v[22:23]
	v_add_f64 v[22:23], v[10:11], v[18:19]
	v_add_f64 v[24:25], v[14:15], v[12:13]
	ds_read_b128 v[10:13], v28 offset:512
	v_add_f64 v[48:49], v[48:49], v[20:21]
	s_waitcnt lgkmcnt(0)
	v_mul_f64 v[14:15], v[36:37], v[12:13]
	v_mul_f64 v[16:17], v[34:35], v[12:13]
	v_fma_f64 v[14:15], v[34:35], v[10:11], -v[14:15]
	v_fmac_f64_e32 v[16:17], v[36:37], v[10:11]
	v_add_f64 v[50:51], v[50:51], v[14:15]
	v_add_f64 v[52:53], v[16:17], v[52:53]
	ds_read_b128 v[14:17], v28 offset:768
	s_waitcnt lgkmcnt(0)
	v_mul_f64 v[18:19], v[36:37], v[16:17]
	v_mul_f64 v[20:21], v[34:35], v[16:17]
	v_fma_f64 v[18:19], v[34:35], v[14:15], -v[18:19]
	v_fmac_f64_e32 v[20:21], v[36:37], v[14:15]
	v_add_f64 v[32:33], v[32:33], v[18:19]
	v_add_f64 v[30:31], v[20:21], v[30:31]
	ds_read_b128 v[18:21], v29 offset:2064
	s_waitcnt lgkmcnt(0)
	v_mul_f64 v[34:35], v[20:21], v[12:13]
	v_mul_f64 v[12:13], v[18:19], v[12:13]
	v_fmac_f64_e32 v[12:13], v[20:21], v[10:11]
	v_fma_f64 v[34:35], v[18:19], v[10:11], -v[34:35]
	v_add_f64 v[36:37], v[12:13], v[48:49]
	v_mul_f64 v[10:11], v[20:21], v[16:17]
	v_mul_f64 v[12:13], v[18:19], v[16:17]
	v_fma_f64 v[10:11], v[18:19], v[14:15], -v[10:11]
	v_fmac_f64_e32 v[12:13], v[20:21], v[14:15]
	v_add_f64 v[22:23], v[22:23], v[10:11]
	v_add_f64 v[24:25], v[12:13], v[24:25]
	ds_read_b128 v[10:13], v28 offset:1024
	v_add_f64 v[34:35], v[46:47], v[34:35]
	s_waitcnt lgkmcnt(0)
	v_mul_f64 v[14:15], v[40:41], v[12:13]
	v_mul_f64 v[16:17], v[38:39], v[12:13]
	v_fma_f64 v[14:15], v[38:39], v[10:11], -v[14:15]
	v_fmac_f64_e32 v[16:17], v[40:41], v[10:11]
	v_add_f64 v[46:47], v[50:51], v[14:15]
	v_add_f64 v[48:49], v[16:17], v[52:53]
	ds_read_b128 v[14:17], v28 offset:1280
	s_waitcnt lgkmcnt(0)
	v_mul_f64 v[18:19], v[40:41], v[16:17]
	v_mul_f64 v[20:21], v[38:39], v[16:17]
	v_fma_f64 v[18:19], v[38:39], v[14:15], -v[18:19]
	v_fmac_f64_e32 v[20:21], v[40:41], v[14:15]
	v_add_f64 v[32:33], v[32:33], v[18:19]
	v_add_f64 v[30:31], v[20:21], v[30:31]
	ds_read_b128 v[18:21], v29 offset:2080
	s_waitcnt lgkmcnt(0)
	v_mul_f64 v[38:39], v[20:21], v[12:13]
	v_mul_f64 v[12:13], v[18:19], v[12:13]
	v_fmac_f64_e32 v[12:13], v[20:21], v[10:11]
	v_fma_f64 v[38:39], v[18:19], v[10:11], -v[38:39]
	v_add_f64 v[36:37], v[12:13], v[36:37]
	v_mul_f64 v[10:11], v[20:21], v[16:17]
	v_mul_f64 v[12:13], v[18:19], v[16:17]
	v_fma_f64 v[10:11], v[18:19], v[14:15], -v[10:11]
	;; [unrolled: 30-line block ×3, first 2 shown]
	v_fmac_f64_e32 v[12:13], v[20:21], v[14:15]
	v_add_f64 v[22:23], v[22:23], v[10:11]
	v_add_f64 v[24:25], v[12:13], v[24:25]
	ds_read_b128 v[10:13], v29 offset:64
	ds_read_b128 v[14:17], v28 offset:2048
	v_add_f64 v[34:35], v[34:35], v[42:43]
	s_waitcnt lgkmcnt(0)
	v_mul_f64 v[18:19], v[12:13], v[16:17]
	v_mul_f64 v[20:21], v[10:11], v[16:17]
	v_fma_f64 v[18:19], v[10:11], v[14:15], -v[18:19]
	v_fmac_f64_e32 v[20:21], v[12:13], v[14:15]
	v_add_f64 v[38:39], v[38:39], v[18:19]
	v_add_f64 v[40:41], v[20:21], v[40:41]
	ds_read_b128 v[18:21], v28 offset:2304
	s_waitcnt lgkmcnt(0)
	v_mul_f64 v[42:43], v[12:13], v[20:21]
	v_fma_f64 v[42:43], v[10:11], v[18:19], -v[42:43]
	v_mul_f64 v[10:11], v[10:11], v[20:21]
	v_fmac_f64_e32 v[10:11], v[12:13], v[18:19]
	v_add_f64 v[30:31], v[10:11], v[30:31]
	ds_read_b128 v[10:13], v29 offset:2112
	v_add_f64 v[32:33], v[32:33], v[42:43]
	s_waitcnt lgkmcnt(0)
	v_mul_f64 v[42:43], v[12:13], v[16:17]
	v_mul_f64 v[16:17], v[10:11], v[16:17]
	v_fma_f64 v[42:43], v[10:11], v[14:15], -v[42:43]
	v_fmac_f64_e32 v[16:17], v[12:13], v[14:15]
	v_mul_f64 v[14:15], v[12:13], v[20:21]
	v_fma_f64 v[14:15], v[10:11], v[18:19], -v[14:15]
	v_mul_f64 v[10:11], v[10:11], v[20:21]
	v_fmac_f64_e32 v[10:11], v[12:13], v[18:19]
	v_add_f64 v[36:37], v[16:17], v[36:37]
	v_add_f64 v[22:23], v[22:23], v[14:15]
	v_add_f64 v[24:25], v[10:11], v[24:25]
	ds_read_b128 v[10:13], v29 offset:80
	ds_read_b128 v[14:17], v28 offset:2560
	v_add_f64 v[34:35], v[34:35], v[42:43]
	s_waitcnt lgkmcnt(0)
	v_mul_f64 v[18:19], v[12:13], v[16:17]
	v_mul_f64 v[20:21], v[10:11], v[16:17]
	v_fma_f64 v[18:19], v[10:11], v[14:15], -v[18:19]
	v_fmac_f64_e32 v[20:21], v[12:13], v[14:15]
	v_add_f64 v[38:39], v[38:39], v[18:19]
	v_add_f64 v[40:41], v[20:21], v[40:41]
	ds_read_b128 v[18:21], v28 offset:2816
	s_waitcnt lgkmcnt(0)
	v_mul_f64 v[42:43], v[12:13], v[20:21]
	v_fma_f64 v[42:43], v[10:11], v[18:19], -v[42:43]
	v_mul_f64 v[10:11], v[10:11], v[20:21]
	v_fmac_f64_e32 v[10:11], v[12:13], v[18:19]
	v_add_f64 v[30:31], v[10:11], v[30:31]
	ds_read_b128 v[10:13], v29 offset:2128
	v_add_f64 v[32:33], v[32:33], v[42:43]
	s_waitcnt lgkmcnt(0)
	v_mul_f64 v[42:43], v[12:13], v[16:17]
	v_mul_f64 v[16:17], v[10:11], v[16:17]
	v_fma_f64 v[42:43], v[10:11], v[14:15], -v[42:43]
	v_fmac_f64_e32 v[16:17], v[12:13], v[14:15]
	v_mul_f64 v[14:15], v[12:13], v[20:21]
	v_fma_f64 v[14:15], v[10:11], v[18:19], -v[14:15]
	v_mul_f64 v[10:11], v[10:11], v[20:21]
	v_fmac_f64_e32 v[10:11], v[12:13], v[18:19]
	v_add_f64 v[36:37], v[16:17], v[36:37]
	;; [unrolled: 31-line block ×3, first 2 shown]
	ds_read_b128 v[10:13], v29 offset:112
	ds_read_b128 v[18:21], v28 offset:3584
	v_add_f64 v[34:35], v[34:35], v[30:31]
	ds_read_b128 v[30:33], v28 offset:3840
	v_add_f64 v[46:47], v[22:23], v[14:15]
	v_add_f64 v[36:37], v[16:17], v[36:37]
	s_waitcnt lgkmcnt(1)
	v_mul_f64 v[14:15], v[12:13], v[20:21]
	v_fma_f64 v[14:15], v[10:11], v[18:19], -v[14:15]
	v_add_f64 v[22:23], v[38:39], v[14:15]
	s_waitcnt lgkmcnt(0)
	v_mul_f64 v[14:15], v[12:13], v[32:33]
	v_mul_f64 v[16:17], v[10:11], v[20:21]
	v_fma_f64 v[14:15], v[10:11], v[30:31], -v[14:15]
	v_mul_f64 v[10:11], v[10:11], v[32:33]
	v_fmac_f64_e32 v[16:17], v[12:13], v[18:19]
	v_fmac_f64_e32 v[10:11], v[12:13], v[30:31]
	v_add_f64 v[24:25], v[16:17], v[40:41]
	v_add_f64 v[16:17], v[10:11], v[44:45]
	ds_read_b128 v[10:13], v29 offset:2160
	v_add_f64 v[14:15], v[42:43], v[14:15]
	s_waitcnt lgkmcnt(0)
	s_barrier
	v_mul_f64 v[38:39], v[12:13], v[20:21]
	v_fma_f64 v[38:39], v[10:11], v[18:19], -v[38:39]
	v_mul_f64 v[20:21], v[10:11], v[20:21]
	v_fmac_f64_e32 v[20:21], v[12:13], v[18:19]
	v_add_f64 v[18:19], v[34:35], v[38:39]
	v_mul_f64 v[34:35], v[12:13], v[32:33]
	v_mul_f64 v[32:33], v[10:11], v[32:33]
	v_fma_f64 v[34:35], v[10:11], v[30:31], -v[34:35]
	v_fmac_f64_e32 v[32:33], v[12:13], v[30:31]
	v_add_f64 v[20:21], v[20:21], v[36:37]
	v_add_f64 v[10:11], v[46:47], v[34:35]
	;; [unrolled: 1-line block ×3, first 2 shown]
	s_cbranch_vccnz .LBB280_2
	s_branch .LBB280_4
.LBB280_3:
	v_mov_b64_e32 v[22:23], 0
	v_mov_b64_e32 v[24:25], 0
	;; [unrolled: 1-line block ×8, first 2 shown]
.LBB280_4:
	s_load_dwordx2 s[0:1], s[0:1], 0x90
	v_lshl_add_u64 v[2:3], s[14:15], 0, v[2:3]
	v_cmp_neq_f64_e64 s[14:15], s[10:11], 0
	v_cmp_neq_f64_e64 s[20:21], s[12:13], 0
	s_mov_b64 s[8:9], 0
	s_waitcnt lgkmcnt(0)
	s_lshl_b64 s[0:1], s[0:1], 4
	s_add_u32 s0, s6, s0
	s_addc_u32 s1, s7, s1
	s_or_b64 s[6:7], s[14:15], s[20:21]
	v_lshl_add_u64 v[0:1], s[2:3], 0, v[0:1]
	s_and_b64 vcc, exec, s[6:7]
	s_cbranch_vccnz .LBB280_6
; %bb.5:
	v_mul_lo_u32 v6, v3, s22
	v_mul_lo_u32 v7, v2, s23
	v_mad_u64_u32 v[4:5], s[2:3], v2, s22, 0
	v_add3_u32 v5, v5, v7, v6
	v_lshl_add_u64 v[8:9], v[4:5], 4, s[0:1]
	v_mul_f64 v[4:5], s[40:41], v[24:25]
	v_mul_f64 v[6:7], s[38:39], v[24:25]
	v_lshlrev_b64 v[26:27], 4, v[0:1]
	v_fma_f64 v[4:5], s[38:39], v[22:23], -v[4:5]
	v_fmac_f64_e32 v[6:7], s[40:41], v[22:23]
	v_lshl_add_u64 v[28:29], v[8:9], 0, v[26:27]
	flat_store_dwordx4 v[28:29], v[4:7]
	s_lshl_b64 s[2:3], s[22:23], 8
	v_lshl_add_u64 v[8:9], v[8:9], 0, s[2:3]
	v_mul_f64 v[4:5], s[40:41], v[16:17]
	v_mul_f64 v[6:7], s[38:39], v[16:17]
	v_fma_f64 v[4:5], s[38:39], v[14:15], -v[4:5]
	v_fmac_f64_e32 v[6:7], s[40:41], v[14:15]
	flat_store_dwordx4 v[28:29], v[4:7] offset:256
	v_lshl_add_u64 v[8:9], v[8:9], 0, v[26:27]
	s_mov_b64 s[2:3], 0x100
	v_mul_f64 v[4:5], s[40:41], v[20:21]
	v_mul_f64 v[6:7], s[38:39], v[20:21]
	v_fma_f64 v[4:5], s[38:39], v[18:19], -v[4:5]
	v_fmac_f64_e32 v[6:7], s[40:41], v[18:19]
	flat_store_dwordx4 v[8:9], v[4:7]
	s_nop 1
	v_mul_f64 v[4:5], s[40:41], v[12:13]
	v_fma_f64 v[26:27], s[38:39], v[10:11], -v[4:5]
	v_mul_f64 v[4:5], s[38:39], v[12:13]
	v_fmac_f64_e32 v[4:5], s[40:41], v[10:11]
	v_lshl_add_u64 v[6:7], v[8:9], 0, s[2:3]
	flat_store_dwordx2 v[8:9], v[26:27] offset:256
	s_andn2_b64 vcc, exec, s[8:9]
	s_cbranch_vccz .LBB280_7
	s_branch .LBB280_8
.LBB280_6:
                                        ; implicit-def: $vgpr4_vgpr5
                                        ; implicit-def: $vgpr6_vgpr7
.LBB280_7:
	s_lshl_b64 s[2:3], s[18:19], 4
	s_add_u32 s2, s4, s2
	s_addc_u32 s3, s5, s3
	v_mul_lo_u32 v6, v3, s16
	v_mul_lo_u32 v7, v2, s17
	v_mad_u64_u32 v[4:5], s[4:5], v2, s16, 0
	v_add3_u32 v5, v5, v7, v6
	v_lshl_add_u64 v[8:9], v[4:5], 4, s[2:3]
	v_lshlrev_b64 v[26:27], 4, v[0:1]
	v_lshl_add_u64 v[28:29], v[8:9], 0, v[26:27]
	flat_load_dwordx4 v[4:7], v[28:29]
	v_mul_lo_u32 v30, v3, s22
	v_mul_lo_u32 v31, v2, s23
	v_mad_u64_u32 v[0:1], s[2:3], v2, s22, 0
	v_mul_f64 v[2:3], s[40:41], v[24:25]
	v_mul_f64 v[24:25], s[38:39], v[24:25]
	v_add3_u32 v1, v1, v31, v30
	v_fma_f64 v[2:3], s[38:39], v[22:23], -v[2:3]
	v_fmac_f64_e32 v[24:25], s[40:41], v[22:23]
	v_lshl_add_u64 v[22:23], v[0:1], 4, s[0:1]
	v_lshl_add_u64 v[30:31], v[22:23], 0, v[26:27]
	s_lshl_b64 s[0:1], s[16:17], 8
	v_lshl_add_u64 v[8:9], v[8:9], 0, s[0:1]
	v_lshl_add_u64 v[8:9], v[8:9], 0, v[26:27]
	s_lshl_b64 s[0:1], s[22:23], 8
	s_waitcnt vmcnt(0) lgkmcnt(0)
	v_mul_f64 v[0:1], s[12:13], v[6:7]
	v_mul_f64 v[6:7], s[10:11], v[6:7]
	v_fma_f64 v[0:1], s[10:11], v[4:5], -v[0:1]
	v_fmac_f64_e32 v[6:7], s[12:13], v[4:5]
	v_add_f64 v[0:1], v[2:3], v[0:1]
	v_add_f64 v[2:3], v[24:25], v[6:7]
	flat_store_dwordx4 v[30:31], v[0:3]
	flat_load_dwordx4 v[0:3], v[28:29] offset:256
	v_mul_f64 v[4:5], s[40:41], v[16:17]
	v_mul_f64 v[6:7], s[38:39], v[16:17]
	v_fma_f64 v[4:5], s[38:39], v[14:15], -v[4:5]
	v_fmac_f64_e32 v[6:7], s[40:41], v[14:15]
	s_waitcnt vmcnt(0) lgkmcnt(0)
	v_mul_f64 v[14:15], s[12:13], v[2:3]
	v_mul_f64 v[2:3], s[10:11], v[2:3]
	v_fma_f64 v[14:15], s[10:11], v[0:1], -v[14:15]
	v_fmac_f64_e32 v[2:3], s[12:13], v[0:1]
	v_add_f64 v[0:1], v[4:5], v[14:15]
	v_add_f64 v[2:3], v[6:7], v[2:3]
	flat_store_dwordx4 v[30:31], v[0:3] offset:256
	flat_load_dwordx4 v[0:3], v[8:9]
	v_mul_f64 v[4:5], s[40:41], v[20:21]
	v_mul_f64 v[6:7], s[38:39], v[20:21]
	v_fma_f64 v[4:5], s[38:39], v[18:19], -v[4:5]
	v_fmac_f64_e32 v[6:7], s[40:41], v[18:19]
	v_lshl_add_u64 v[14:15], v[22:23], 0, s[0:1]
	v_lshl_add_u64 v[14:15], v[14:15], 0, v[26:27]
	s_mov_b64 s[0:1], 0x100
	s_waitcnt vmcnt(0) lgkmcnt(0)
	v_mul_f64 v[16:17], s[12:13], v[2:3]
	v_mul_f64 v[2:3], s[10:11], v[2:3]
	v_fma_f64 v[16:17], s[10:11], v[0:1], -v[16:17]
	v_fmac_f64_e32 v[2:3], s[12:13], v[0:1]
	v_add_f64 v[0:1], v[4:5], v[16:17]
	v_add_f64 v[2:3], v[6:7], v[2:3]
	flat_store_dwordx4 v[14:15], v[0:3]
	flat_load_dwordx4 v[0:3], v[8:9] offset:256
	v_mul_f64 v[4:5], s[40:41], v[12:13]
	v_mul_f64 v[6:7], s[38:39], v[12:13]
	v_fma_f64 v[4:5], s[38:39], v[10:11], -v[4:5]
	v_fmac_f64_e32 v[6:7], s[40:41], v[10:11]
	s_waitcnt vmcnt(0) lgkmcnt(0)
	v_mul_f64 v[8:9], s[12:13], v[2:3]
	v_mul_f64 v[2:3], s[10:11], v[2:3]
	v_fma_f64 v[8:9], s[10:11], v[0:1], -v[8:9]
	v_fmac_f64_e32 v[2:3], s[12:13], v[0:1]
	v_add_f64 v[0:1], v[4:5], v[8:9]
	v_add_f64 v[4:5], v[6:7], v[2:3]
	v_lshl_add_u64 v[6:7], v[14:15], 0, s[0:1]
	flat_store_dwordx2 v[14:15], v[0:1] offset:256
.LBB280_8:
	flat_store_dwordx2 v[6:7], v[4:5] offset:8
	s_endpgm
	.section	.rodata,"a",@progbits
	.p2align	6, 0x0
	.amdhsa_kernel _ZN12_GLOBAL__N_127rocblas_gemm_batched_kernelI19rocblas_complex_numIdELi16ELi16ELi32ELi32ELi8ELi32ELi8ELi8ELi32ELc84ELc67EKPKS2_S5_KPS2_EEvlllT_PT11_llSA_llS8_PT12_llPT13_lli
		.amdhsa_group_segment_fixed_size 8192
		.amdhsa_private_segment_fixed_size 0
		.amdhsa_kernarg_size 156
		.amdhsa_user_sgpr_count 2
		.amdhsa_user_sgpr_dispatch_ptr 0
		.amdhsa_user_sgpr_queue_ptr 0
		.amdhsa_user_sgpr_kernarg_segment_ptr 1
		.amdhsa_user_sgpr_dispatch_id 0
		.amdhsa_user_sgpr_kernarg_preload_length 0
		.amdhsa_user_sgpr_kernarg_preload_offset 0
		.amdhsa_user_sgpr_private_segment_size 0
		.amdhsa_uses_dynamic_stack 0
		.amdhsa_enable_private_segment 0
		.amdhsa_system_sgpr_workgroup_id_x 1
		.amdhsa_system_sgpr_workgroup_id_y 1
		.amdhsa_system_sgpr_workgroup_id_z 1
		.amdhsa_system_sgpr_workgroup_info 0
		.amdhsa_system_vgpr_workitem_id 1
		.amdhsa_next_free_vgpr 56
		.amdhsa_next_free_sgpr 52
		.amdhsa_accum_offset 56
		.amdhsa_reserve_vcc 1
		.amdhsa_float_round_mode_32 0
		.amdhsa_float_round_mode_16_64 0
		.amdhsa_float_denorm_mode_32 3
		.amdhsa_float_denorm_mode_16_64 3
		.amdhsa_dx10_clamp 1
		.amdhsa_ieee_mode 1
		.amdhsa_fp16_overflow 0
		.amdhsa_tg_split 0
		.amdhsa_exception_fp_ieee_invalid_op 0
		.amdhsa_exception_fp_denorm_src 0
		.amdhsa_exception_fp_ieee_div_zero 0
		.amdhsa_exception_fp_ieee_overflow 0
		.amdhsa_exception_fp_ieee_underflow 0
		.amdhsa_exception_fp_ieee_inexact 0
		.amdhsa_exception_int_div_zero 0
	.end_amdhsa_kernel
	.section	.text._ZN12_GLOBAL__N_127rocblas_gemm_batched_kernelI19rocblas_complex_numIdELi16ELi16ELi32ELi32ELi8ELi32ELi8ELi8ELi32ELc84ELc67EKPKS2_S5_KPS2_EEvlllT_PT11_llSA_llS8_PT12_llPT13_lli,"axG",@progbits,_ZN12_GLOBAL__N_127rocblas_gemm_batched_kernelI19rocblas_complex_numIdELi16ELi16ELi32ELi32ELi8ELi32ELi8ELi8ELi32ELc84ELc67EKPKS2_S5_KPS2_EEvlllT_PT11_llSA_llS8_PT12_llPT13_lli,comdat
.Lfunc_end280:
	.size	_ZN12_GLOBAL__N_127rocblas_gemm_batched_kernelI19rocblas_complex_numIdELi16ELi16ELi32ELi32ELi8ELi32ELi8ELi8ELi32ELc84ELc67EKPKS2_S5_KPS2_EEvlllT_PT11_llSA_llS8_PT12_llPT13_lli, .Lfunc_end280-_ZN12_GLOBAL__N_127rocblas_gemm_batched_kernelI19rocblas_complex_numIdELi16ELi16ELi32ELi32ELi8ELi32ELi8ELi8ELi32ELc84ELc67EKPKS2_S5_KPS2_EEvlllT_PT11_llSA_llS8_PT12_llPT13_lli
                                        ; -- End function
	.set _ZN12_GLOBAL__N_127rocblas_gemm_batched_kernelI19rocblas_complex_numIdELi16ELi16ELi32ELi32ELi8ELi32ELi8ELi8ELi32ELc84ELc67EKPKS2_S5_KPS2_EEvlllT_PT11_llSA_llS8_PT12_llPT13_lli.num_vgpr, 56
	.set _ZN12_GLOBAL__N_127rocblas_gemm_batched_kernelI19rocblas_complex_numIdELi16ELi16ELi32ELi32ELi8ELi32ELi8ELi8ELi32ELc84ELc67EKPKS2_S5_KPS2_EEvlllT_PT11_llSA_llS8_PT12_llPT13_lli.num_agpr, 0
	.set _ZN12_GLOBAL__N_127rocblas_gemm_batched_kernelI19rocblas_complex_numIdELi16ELi16ELi32ELi32ELi8ELi32ELi8ELi8ELi32ELc84ELc67EKPKS2_S5_KPS2_EEvlllT_PT11_llSA_llS8_PT12_llPT13_lli.numbered_sgpr, 52
	.set _ZN12_GLOBAL__N_127rocblas_gemm_batched_kernelI19rocblas_complex_numIdELi16ELi16ELi32ELi32ELi8ELi32ELi8ELi8ELi32ELc84ELc67EKPKS2_S5_KPS2_EEvlllT_PT11_llSA_llS8_PT12_llPT13_lli.num_named_barrier, 0
	.set _ZN12_GLOBAL__N_127rocblas_gemm_batched_kernelI19rocblas_complex_numIdELi16ELi16ELi32ELi32ELi8ELi32ELi8ELi8ELi32ELc84ELc67EKPKS2_S5_KPS2_EEvlllT_PT11_llSA_llS8_PT12_llPT13_lli.private_seg_size, 0
	.set _ZN12_GLOBAL__N_127rocblas_gemm_batched_kernelI19rocblas_complex_numIdELi16ELi16ELi32ELi32ELi8ELi32ELi8ELi8ELi32ELc84ELc67EKPKS2_S5_KPS2_EEvlllT_PT11_llSA_llS8_PT12_llPT13_lli.uses_vcc, 1
	.set _ZN12_GLOBAL__N_127rocblas_gemm_batched_kernelI19rocblas_complex_numIdELi16ELi16ELi32ELi32ELi8ELi32ELi8ELi8ELi32ELc84ELc67EKPKS2_S5_KPS2_EEvlllT_PT11_llSA_llS8_PT12_llPT13_lli.uses_flat_scratch, 0
	.set _ZN12_GLOBAL__N_127rocblas_gemm_batched_kernelI19rocblas_complex_numIdELi16ELi16ELi32ELi32ELi8ELi32ELi8ELi8ELi32ELc84ELc67EKPKS2_S5_KPS2_EEvlllT_PT11_llSA_llS8_PT12_llPT13_lli.has_dyn_sized_stack, 0
	.set _ZN12_GLOBAL__N_127rocblas_gemm_batched_kernelI19rocblas_complex_numIdELi16ELi16ELi32ELi32ELi8ELi32ELi8ELi8ELi32ELc84ELc67EKPKS2_S5_KPS2_EEvlllT_PT11_llSA_llS8_PT12_llPT13_lli.has_recursion, 0
	.set _ZN12_GLOBAL__N_127rocblas_gemm_batched_kernelI19rocblas_complex_numIdELi16ELi16ELi32ELi32ELi8ELi32ELi8ELi8ELi32ELc84ELc67EKPKS2_S5_KPS2_EEvlllT_PT11_llSA_llS8_PT12_llPT13_lli.has_indirect_call, 0
	.section	.AMDGPU.csdata,"",@progbits
; Kernel info:
; codeLenInByte = 3188
; TotalNumSgprs: 58
; NumVgprs: 56
; NumAgprs: 0
; TotalNumVgprs: 56
; ScratchSize: 0
; MemoryBound: 0
; FloatMode: 240
; IeeeMode: 1
; LDSByteSize: 8192 bytes/workgroup (compile time only)
; SGPRBlocks: 7
; VGPRBlocks: 6
; NumSGPRsForWavesPerEU: 58
; NumVGPRsForWavesPerEU: 56
; AccumOffset: 56
; Occupancy: 8
; WaveLimiterHint : 1
; COMPUTE_PGM_RSRC2:SCRATCH_EN: 0
; COMPUTE_PGM_RSRC2:USER_SGPR: 2
; COMPUTE_PGM_RSRC2:TRAP_HANDLER: 0
; COMPUTE_PGM_RSRC2:TGID_X_EN: 1
; COMPUTE_PGM_RSRC2:TGID_Y_EN: 1
; COMPUTE_PGM_RSRC2:TGID_Z_EN: 1
; COMPUTE_PGM_RSRC2:TIDIG_COMP_CNT: 1
; COMPUTE_PGM_RSRC3_GFX90A:ACCUM_OFFSET: 13
; COMPUTE_PGM_RSRC3_GFX90A:TG_SPLIT: 0
	.section	.text._ZN12_GLOBAL__N_135rocblas_gemm_batched_general_kernelI19rocblas_complex_numIdELi16ELi16ELi32ELi32ELi8ELi32ELi8ELi8ELi32ELc78ELc78EKPKS2_S5_KPS2_EEvlllT_PT11_llSA_llS8_PT12_llPT13_lli,"axG",@progbits,_ZN12_GLOBAL__N_135rocblas_gemm_batched_general_kernelI19rocblas_complex_numIdELi16ELi16ELi32ELi32ELi8ELi32ELi8ELi8ELi32ELc78ELc78EKPKS2_S5_KPS2_EEvlllT_PT11_llSA_llS8_PT12_llPT13_lli,comdat
	.globl	_ZN12_GLOBAL__N_135rocblas_gemm_batched_general_kernelI19rocblas_complex_numIdELi16ELi16ELi32ELi32ELi8ELi32ELi8ELi8ELi32ELc78ELc78EKPKS2_S5_KPS2_EEvlllT_PT11_llSA_llS8_PT12_llPT13_lli ; -- Begin function _ZN12_GLOBAL__N_135rocblas_gemm_batched_general_kernelI19rocblas_complex_numIdELi16ELi16ELi32ELi32ELi8ELi32ELi8ELi8ELi32ELc78ELc78EKPKS2_S5_KPS2_EEvlllT_PT11_llSA_llS8_PT12_llPT13_lli
	.p2align	8
	.type	_ZN12_GLOBAL__N_135rocblas_gemm_batched_general_kernelI19rocblas_complex_numIdELi16ELi16ELi32ELi32ELi8ELi32ELi8ELi8ELi32ELc78ELc78EKPKS2_S5_KPS2_EEvlllT_PT11_llSA_llS8_PT12_llPT13_lli,@function
_ZN12_GLOBAL__N_135rocblas_gemm_batched_general_kernelI19rocblas_complex_numIdELi16ELi16ELi32ELi32ELi8ELi32ELi8ELi8ELi32ELc78ELc78EKPKS2_S5_KPS2_EEvlllT_PT11_llSA_llS8_PT12_llPT13_lli: ; @_ZN12_GLOBAL__N_135rocblas_gemm_batched_general_kernelI19rocblas_complex_numIdELi16ELi16ELi32ELi32ELi8ELi32ELi8ELi8ELi32ELc78ELc78EKPKS2_S5_KPS2_EEvlllT_PT11_llSA_llS8_PT12_llPT13_lli
; %bb.0:
	s_load_dwordx16 s[36:51], s[0:1], 0x0
	s_load_dwordx16 s[8:23], s[0:1], 0x40
	s_load_dwordx2 s[28:29], s[0:1], 0x90
	s_load_dwordx4 s[24:27], s[0:1], 0x80
	s_mov_b32 s5, 0
	s_lshl_b64 s[0:1], s[4:5], 3
	s_waitcnt lgkmcnt(0)
	s_add_u32 s4, s18, s0
	s_addc_u32 s5, s19, s1
	s_load_dwordx2 s[6:7], s[4:5], 0x0
	s_add_u32 s4, s24, s0
	s_addc_u32 s5, s25, s1
	s_load_dwordx2 s[4:5], s[4:5], 0x0
	s_mov_b32 s30, s3
	s_ashr_i32 s31, s30, 31
	v_mov_b32_e32 v1, 0
	s_ashr_i32 s3, s2, 31
	s_lshl_b64 s[24:25], s[30:31], 5
	v_cmp_lt_i64_e64 s[30:31], s[40:41], 1
	v_and_b32_e32 v2, 0x3ff, v0
	v_bfe_u32 v0, v0, 10, 10
	v_mov_b32_e32 v3, v1
	s_lshl_b64 s[18:19], s[2:3], 5
	s_and_b64 vcc, exec, s[30:31]
	s_cbranch_vccnz .LBB281_11
; %bb.1:
	v_lshl_add_u32 v12, v0, 4, v2
	v_and_b32_e32 v6, 7, v2
	s_add_u32 s8, s8, s0
	s_addc_u32 s9, s9, s1
	v_lshrrev_b32_e32 v8, 3, v12
	v_mov_b32_e32 v9, v1
	v_lshlrev_b32_e32 v14, 4, v6
	s_add_u32 s0, s46, s0
	v_lshl_add_u64 v[10:11], v[8:9], 0, s[24:25]
	v_and_b32_e32 v9, 31, v12
	v_lshl_or_b32 v8, v8, 7, v14
	v_lshrrev_b32_e32 v4, 5, v12
	s_load_dwordx2 s[8:9], s[8:9], 0x0
	s_addc_u32 s1, s47, s1
	v_or_b32_e32 v12, s18, v9
	v_mov_b32_e32 v13, s19
	v_add_u32_e32 v31, 0x1000, v8
	v_mov_b32_e32 v8, 0x1000
	s_load_dwordx2 s[30:31], s[0:1], 0x0
	v_cmp_gt_i64_e32 vcc, s[36:37], v[12:13]
	v_lshlrev_b32_e32 v12, 4, v9
	v_cmp_gt_i64_e64 s[0:1], s[38:39], v[10:11]
	v_lshl_add_u32 v33, v0, 7, v8
	v_mul_lo_u32 v13, s11, v10
	v_mul_lo_u32 v11, s10, v11
	v_mad_u64_u32 v[8:9], s[10:11], s10, v10, 0
	v_add3_u32 v9, v9, v11, v13
	s_lshl_b64 s[10:11], s[12:13], 4
	v_lshl_add_u64 v[8:9], v[8:9], 4, s[10:11]
	v_mov_b32_e32 v15, v1
	v_lshl_add_u64 v[8:9], v[8:9], 0, v[14:15]
	s_waitcnt lgkmcnt(0)
	v_lshl_add_u64 v[8:9], s[8:9], 0, v[8:9]
	v_mad_u64_u32 v[10:11], s[8:9], s48, v4, 0
	v_mov_b32_e32 v14, v11
	v_mad_u64_u32 v[14:15], s[8:9], s49, v4, v[14:15]
	s_lshl_b64 s[2:3], s[2:3], 9
	s_lshl_b64 s[8:9], s[50:51], 4
	s_add_u32 s2, s8, s2
	v_mov_b32_e32 v11, v14
	s_addc_u32 s3, s9, s3
	v_lshl_add_u64 v[10:11], v[10:11], 4, s[2:3]
	v_mov_b32_e32 v13, v1
	v_lshl_add_u64 v[10:11], v[10:11], 0, v[12:13]
	v_mov_b32_e32 v5, v1
	v_mov_b32_e32 v7, v1
	v_lshl_or_b32 v30, v4, 9, v12
	v_lshlrev_b32_e32 v32, 4, v2
	v_lshl_add_u64 v[10:11], s[30:31], 0, v[10:11]
	s_lshl_b64 s[2:3], s[48:49], 7
	s_mov_b64 s[8:9], 0
	v_mov_b64_e32 v[14:15], 0
	s_xor_b64 s[10:11], vcc, -1
	s_xor_b64 s[0:1], s[0:1], -1
	s_mov_b64 s[12:13], 0x80
	v_mov_b64_e32 v[12:13], s[40:41]
	v_mov_b32_e32 v34, v1
	v_mov_b32_e32 v35, v1
	;; [unrolled: 1-line block ×4, first 2 shown]
	v_mov_b64_e32 v[16:17], 0
	v_mov_b64_e32 v[20:21], 0
	;; [unrolled: 1-line block ×7, first 2 shown]
	s_branch .LBB281_3
.LBB281_2:                              ;   in Loop: Header=BB281_3 Depth=1
	s_or_b64 exec, exec, s[30:31]
	s_waitcnt lgkmcnt(0)
	s_barrier
	ds_read_b128 v[38:41], v32
	ds_read_b128 v[42:45], v33
	ds_read_b128 v[46:49], v33 offset:16
	ds_read_b128 v[50:53], v33 offset:32
	;; [unrolled: 1-line block ×4, first 2 shown]
	s_waitcnt lgkmcnt(4)
	v_mul_f64 v[62:63], v[44:45], v[40:41]
	v_fma_f64 v[62:63], v[42:43], v[38:39], -v[62:63]
	v_mul_f64 v[64:65], v[42:43], v[40:41]
	v_fmac_f64_e32 v[64:65], v[44:45], v[38:39]
	v_add_f64 v[62:63], v[26:27], v[62:63]
	s_waitcnt lgkmcnt(0)
	v_mul_f64 v[26:27], v[44:45], v[60:61]
	v_add_f64 v[64:65], v[64:65], v[28:29]
	v_fma_f64 v[66:67], v[42:43], v[58:59], -v[26:27]
	ds_read_b128 v[26:29], v33 offset:2048
	v_mul_f64 v[42:43], v[42:43], v[60:61]
	v_fmac_f64_e32 v[42:43], v[44:45], v[58:59]
	v_add_f64 v[44:45], v[22:23], v[66:67]
	v_add_f64 v[42:43], v[42:43], v[24:25]
	ds_read_b128 v[22:25], v33 offset:2064
	s_waitcnt lgkmcnt(1)
	v_mul_f64 v[66:67], v[28:29], v[40:41]
	v_fma_f64 v[66:67], v[26:27], v[38:39], -v[66:67]
	v_mul_f64 v[40:41], v[26:27], v[40:41]
	v_fmac_f64_e32 v[40:41], v[28:29], v[38:39]
	v_add_f64 v[38:39], v[18:19], v[66:67]
	v_mul_f64 v[18:19], v[28:29], v[60:61]
	v_add_f64 v[40:41], v[40:41], v[20:21]
	v_fma_f64 v[66:67], v[26:27], v[58:59], -v[18:19]
	v_mul_f64 v[26:27], v[26:27], v[60:61]
	ds_read_b128 v[18:21], v32 offset:512
	v_fmac_f64_e32 v[26:27], v[28:29], v[58:59]
	v_add_f64 v[28:29], v[16:17], v[66:67]
	v_add_f64 v[26:27], v[26:27], v[14:15]
	ds_read_b128 v[14:17], v32 offset:768
	s_waitcnt lgkmcnt(1)
	v_mul_f64 v[58:59], v[48:49], v[20:21]
	v_fma_f64 v[58:59], v[46:47], v[18:19], -v[58:59]
	v_add_f64 v[58:59], v[62:63], v[58:59]
	v_mul_f64 v[60:61], v[46:47], v[20:21]
	s_waitcnt lgkmcnt(0)
	v_mul_f64 v[62:63], v[48:49], v[16:17]
	v_fma_f64 v[62:63], v[46:47], v[14:15], -v[62:63]
	v_mul_f64 v[46:47], v[46:47], v[16:17]
	v_fmac_f64_e32 v[46:47], v[48:49], v[14:15]
	v_add_f64 v[42:43], v[46:47], v[42:43]
	v_mul_f64 v[46:47], v[24:25], v[20:21]
	v_mul_f64 v[20:21], v[22:23], v[20:21]
	v_fmac_f64_e32 v[60:61], v[48:49], v[18:19]
	v_fma_f64 v[46:47], v[22:23], v[18:19], -v[46:47]
	v_fmac_f64_e32 v[20:21], v[24:25], v[18:19]
	v_mul_f64 v[18:19], v[24:25], v[16:17]
	v_add_f64 v[48:49], v[20:21], v[40:41]
	v_fma_f64 v[20:21], v[22:23], v[14:15], -v[18:19]
	v_mul_f64 v[22:23], v[22:23], v[16:17]
	ds_read_b128 v[16:19], v32 offset:1024
	v_fmac_f64_e32 v[22:23], v[24:25], v[14:15]
	v_add_f64 v[44:45], v[44:45], v[62:63]
	v_add_f64 v[28:29], v[28:29], v[20:21]
	v_add_f64 v[62:63], v[22:23], v[26:27]
	ds_read_b128 v[20:23], v32 offset:1280
	s_waitcnt lgkmcnt(1)
	v_mul_f64 v[24:25], v[50:51], v[18:19]
	v_add_f64 v[60:61], v[60:61], v[64:65]
	v_fmac_f64_e32 v[24:25], v[52:53], v[16:17]
	v_add_f64 v[60:61], v[24:25], v[60:61]
	ds_read_b128 v[24:27], v33 offset:2080
	v_mul_f64 v[14:15], v[52:53], v[18:19]
	v_fma_f64 v[14:15], v[50:51], v[16:17], -v[14:15]
	v_add_f64 v[46:47], v[38:39], v[46:47]
	v_add_f64 v[58:59], v[58:59], v[14:15]
	s_waitcnt lgkmcnt(1)
	v_mul_f64 v[14:15], v[52:53], v[22:23]
	v_mul_f64 v[38:39], v[50:51], v[22:23]
	v_fma_f64 v[14:15], v[50:51], v[20:21], -v[14:15]
	v_fmac_f64_e32 v[38:39], v[52:53], v[20:21]
	v_add_f64 v[44:45], v[44:45], v[14:15]
	v_add_f64 v[42:43], v[38:39], v[42:43]
	ds_read_b128 v[38:41], v33 offset:2096
	s_waitcnt lgkmcnt(1)
	v_mul_f64 v[14:15], v[26:27], v[18:19]
	v_fma_f64 v[14:15], v[24:25], v[16:17], -v[14:15]
	v_mul_f64 v[18:19], v[24:25], v[18:19]
	v_fmac_f64_e32 v[18:19], v[26:27], v[16:17]
	v_add_f64 v[46:47], v[46:47], v[14:15]
	v_mul_f64 v[14:15], v[26:27], v[22:23]
	v_add_f64 v[48:49], v[18:19], v[48:49]
	v_fma_f64 v[18:19], v[24:25], v[20:21], -v[14:15]
	ds_read_b128 v[14:17], v32 offset:1536
	v_mul_f64 v[22:23], v[24:25], v[22:23]
	v_fmac_f64_e32 v[22:23], v[26:27], v[20:21]
	v_add_f64 v[24:25], v[28:29], v[18:19]
	ds_read_b128 v[18:21], v32 offset:1792
	s_waitcnt lgkmcnt(1)
	v_mul_f64 v[26:27], v[56:57], v[16:17]
	v_fma_f64 v[26:27], v[54:55], v[14:15], -v[26:27]
	v_mul_f64 v[28:29], v[54:55], v[16:17]
	v_fmac_f64_e32 v[28:29], v[56:57], v[14:15]
	v_add_f64 v[50:51], v[58:59], v[26:27]
	s_waitcnt lgkmcnt(0)
	v_mul_f64 v[26:27], v[56:57], v[20:21]
	v_add_f64 v[52:53], v[28:29], v[60:61]
	v_fma_f64 v[26:27], v[54:55], v[18:19], -v[26:27]
	v_mul_f64 v[28:29], v[54:55], v[20:21]
	v_fmac_f64_e32 v[28:29], v[56:57], v[18:19]
	v_add_f64 v[44:45], v[44:45], v[26:27]
	v_mul_f64 v[26:27], v[40:41], v[16:17]
	v_mul_f64 v[16:17], v[38:39], v[16:17]
	v_add_f64 v[42:43], v[28:29], v[42:43]
	v_fma_f64 v[26:27], v[38:39], v[14:15], -v[26:27]
	v_fmac_f64_e32 v[16:17], v[40:41], v[14:15]
	v_mul_f64 v[14:15], v[40:41], v[20:21]
	v_mul_f64 v[28:29], v[38:39], v[20:21]
	v_add_f64 v[46:47], v[46:47], v[26:27]
	v_add_f64 v[48:49], v[16:17], v[48:49]
	v_fma_f64 v[26:27], v[38:39], v[18:19], -v[14:15]
	v_fmac_f64_e32 v[28:29], v[40:41], v[18:19]
	ds_read_b128 v[14:17], v33 offset:64
	ds_read_b128 v[18:21], v32 offset:2048
	v_add_f64 v[22:23], v[22:23], v[62:63]
	v_add_f64 v[54:55], v[24:25], v[26:27]
	;; [unrolled: 1-line block ×3, first 2 shown]
	ds_read_b128 v[22:25], v32 offset:2304
	ds_read_b128 v[26:29], v33 offset:80
	s_waitcnt lgkmcnt(2)
	v_mul_f64 v[38:39], v[16:17], v[20:21]
	v_fma_f64 v[38:39], v[14:15], v[18:19], -v[38:39]
	v_mul_f64 v[40:41], v[14:15], v[20:21]
	v_fmac_f64_e32 v[40:41], v[16:17], v[18:19]
	v_add_f64 v[50:51], v[50:51], v[38:39]
	s_waitcnt lgkmcnt(1)
	v_mul_f64 v[38:39], v[16:17], v[24:25]
	v_add_f64 v[52:53], v[40:41], v[52:53]
	v_fma_f64 v[58:59], v[14:15], v[22:23], -v[38:39]
	ds_read_b128 v[38:41], v33 offset:2112
	v_mul_f64 v[14:15], v[14:15], v[24:25]
	v_fmac_f64_e32 v[14:15], v[16:17], v[22:23]
	v_add_f64 v[44:45], v[44:45], v[58:59]
	v_add_f64 v[42:43], v[14:15], v[42:43]
	ds_read_b128 v[14:17], v33 offset:2128
	s_waitcnt lgkmcnt(1)
	v_mul_f64 v[58:59], v[40:41], v[20:21]
	v_mul_f64 v[20:21], v[38:39], v[20:21]
	v_fma_f64 v[58:59], v[38:39], v[18:19], -v[58:59]
	v_fmac_f64_e32 v[20:21], v[40:41], v[18:19]
	v_mul_f64 v[18:19], v[40:41], v[24:25]
	v_add_f64 v[46:47], v[46:47], v[58:59]
	v_add_f64 v[48:49], v[20:21], v[48:49]
	v_fma_f64 v[58:59], v[38:39], v[22:23], -v[18:19]
	v_mul_f64 v[24:25], v[38:39], v[24:25]
	ds_read_b128 v[18:21], v32 offset:2560
	v_fmac_f64_e32 v[24:25], v[40:41], v[22:23]
	v_add_f64 v[40:41], v[24:25], v[56:57]
	ds_read_b128 v[22:25], v32 offset:2816
	v_add_f64 v[38:39], v[54:55], v[58:59]
	s_waitcnt lgkmcnt(1)
	v_mul_f64 v[54:55], v[28:29], v[20:21]
	v_fma_f64 v[54:55], v[26:27], v[18:19], -v[54:55]
	v_add_f64 v[50:51], v[50:51], v[54:55]
	s_waitcnt lgkmcnt(0)
	v_mul_f64 v[54:55], v[28:29], v[24:25]
	v_mul_f64 v[56:57], v[26:27], v[20:21]
	v_fma_f64 v[54:55], v[26:27], v[22:23], -v[54:55]
	v_mul_f64 v[26:27], v[26:27], v[24:25]
	v_fmac_f64_e32 v[26:27], v[28:29], v[22:23]
	v_add_f64 v[42:43], v[26:27], v[42:43]
	v_mul_f64 v[26:27], v[16:17], v[20:21]
	v_mul_f64 v[20:21], v[14:15], v[20:21]
	v_fmac_f64_e32 v[56:57], v[28:29], v[18:19]
	v_fma_f64 v[26:27], v[14:15], v[18:19], -v[26:27]
	v_fmac_f64_e32 v[20:21], v[16:17], v[18:19]
	v_mul_f64 v[18:19], v[16:17], v[24:25]
	v_mul_f64 v[24:25], v[14:15], v[24:25]
	v_add_f64 v[46:47], v[46:47], v[26:27]
	v_add_f64 v[48:49], v[20:21], v[48:49]
	v_fma_f64 v[26:27], v[14:15], v[22:23], -v[18:19]
	v_fmac_f64_e32 v[24:25], v[16:17], v[22:23]
	ds_read_b128 v[14:17], v33 offset:96
	ds_read_b128 v[18:21], v32 offset:3072
	v_add_f64 v[52:53], v[56:57], v[52:53]
	v_add_f64 v[44:45], v[44:45], v[54:55]
	v_add_f64 v[54:55], v[38:39], v[26:27]
	v_add_f64 v[56:57], v[24:25], v[40:41]
	ds_read_b128 v[22:25], v32 offset:3328
	ds_read_b128 v[38:41], v33 offset:112
	s_waitcnt lgkmcnt(2)
	v_mul_f64 v[26:27], v[16:17], v[20:21]
	v_fma_f64 v[26:27], v[14:15], v[18:19], -v[26:27]
	v_mul_f64 v[28:29], v[14:15], v[20:21]
	v_fmac_f64_e32 v[28:29], v[16:17], v[18:19]
	v_add_f64 v[50:51], v[50:51], v[26:27]
	s_waitcnt lgkmcnt(1)
	v_mul_f64 v[26:27], v[16:17], v[24:25]
	v_add_f64 v[52:53], v[28:29], v[52:53]
	v_fma_f64 v[58:59], v[14:15], v[22:23], -v[26:27]
	ds_read_b128 v[26:29], v33 offset:2144
	v_mul_f64 v[14:15], v[14:15], v[24:25]
	v_fmac_f64_e32 v[14:15], v[16:17], v[22:23]
	v_add_f64 v[60:61], v[14:15], v[42:43]
	ds_read_b128 v[14:17], v33 offset:2160
	s_waitcnt lgkmcnt(1)
	v_mul_f64 v[42:43], v[28:29], v[20:21]
	v_mul_f64 v[20:21], v[26:27], v[20:21]
	v_fma_f64 v[42:43], v[26:27], v[18:19], -v[42:43]
	v_fmac_f64_e32 v[20:21], v[28:29], v[18:19]
	v_mul_f64 v[18:19], v[28:29], v[24:25]
	v_add_f64 v[46:47], v[46:47], v[42:43]
	v_add_f64 v[48:49], v[20:21], v[48:49]
	v_fma_f64 v[42:43], v[26:27], v[22:23], -v[18:19]
	ds_read_b128 v[18:21], v32 offset:3584
	v_add_f64 v[58:59], v[44:45], v[58:59]
	v_add_f64 v[54:55], v[54:55], v[42:43]
	ds_read_b128 v[42:45], v32 offset:3840
	v_mul_f64 v[24:25], v[26:27], v[24:25]
	v_fmac_f64_e32 v[24:25], v[28:29], v[22:23]
	s_waitcnt lgkmcnt(1)
	v_mul_f64 v[22:23], v[40:41], v[20:21]
	v_add_f64 v[56:57], v[24:25], v[56:57]
	v_fma_f64 v[22:23], v[38:39], v[18:19], -v[22:23]
	v_mul_f64 v[24:25], v[38:39], v[20:21]
	v_fmac_f64_e32 v[24:25], v[40:41], v[18:19]
	v_add_f64 v[26:27], v[50:51], v[22:23]
	s_waitcnt lgkmcnt(0)
	v_mul_f64 v[22:23], v[40:41], v[44:45]
	v_add_f64 v[28:29], v[24:25], v[52:53]
	v_fma_f64 v[22:23], v[38:39], v[42:43], -v[22:23]
	v_mul_f64 v[24:25], v[38:39], v[44:45]
	v_mul_f64 v[38:39], v[16:17], v[20:21]
	v_fma_f64 v[38:39], v[14:15], v[18:19], -v[38:39]
	v_mul_f64 v[20:21], v[14:15], v[20:21]
	v_fmac_f64_e32 v[20:21], v[16:17], v[18:19]
	v_add_f64 v[18:19], v[46:47], v[38:39]
	v_mul_f64 v[38:39], v[16:17], v[44:45]
	s_add_u32 s8, s8, 8
	v_fma_f64 v[38:39], v[14:15], v[42:43], -v[38:39]
	v_mul_f64 v[14:15], v[14:15], v[44:45]
	s_addc_u32 s9, s9, 0
	v_fmac_f64_e32 v[24:25], v[40:41], v[42:43]
	v_fmac_f64_e32 v[14:15], v[16:17], v[42:43]
	v_cmp_lt_i64_e32 vcc, s[8:9], v[12:13]
	v_add_f64 v[22:23], v[58:59], v[22:23]
	v_add_f64 v[24:25], v[24:25], v[60:61]
	;; [unrolled: 1-line block ×5, first 2 shown]
	v_lshl_add_u64 v[8:9], v[8:9], 0, s[12:13]
	v_lshl_add_u64 v[10:11], v[10:11], 0, s[2:3]
	s_barrier
	s_cbranch_vccz .LBB281_12
.LBB281_3:                              ; =>This Inner Loop Header: Depth=1
	v_lshl_add_u64 v[38:39], v[4:5], 0, s[8:9]
	v_cmp_le_i64_e32 vcc, s[40:41], v[38:39]
	s_or_b64 s[30:31], s[10:11], vcc
	s_and_saveexec_b64 s[34:35], s[30:31]
	s_xor_b64 s[30:31], exec, s[34:35]
; %bb.4:                                ;   in Loop: Header=BB281_3 Depth=1
	ds_write_b128 v30, v[34:37]
; %bb.5:                                ;   in Loop: Header=BB281_3 Depth=1
	s_andn2_saveexec_b64 s[30:31], s[30:31]
	s_cbranch_execz .LBB281_7
; %bb.6:                                ;   in Loop: Header=BB281_3 Depth=1
	flat_load_dwordx4 v[38:41], v[10:11]
	s_waitcnt vmcnt(0) lgkmcnt(0)
	ds_write2_b64 v30, v[38:39], v[40:41] offset1:1
.LBB281_7:                              ;   in Loop: Header=BB281_3 Depth=1
	s_or_b64 exec, exec, s[30:31]
	v_lshl_add_u64 v[38:39], v[6:7], 0, s[8:9]
	v_cmp_le_i64_e32 vcc, s[40:41], v[38:39]
	s_or_b64 s[30:31], vcc, s[0:1]
	s_and_saveexec_b64 s[34:35], s[30:31]
	s_xor_b64 s[30:31], exec, s[34:35]
; %bb.8:                                ;   in Loop: Header=BB281_3 Depth=1
	ds_write_b128 v31, v[34:37]
; %bb.9:                                ;   in Loop: Header=BB281_3 Depth=1
	s_andn2_saveexec_b64 s[30:31], s[30:31]
	s_cbranch_execz .LBB281_2
; %bb.10:                               ;   in Loop: Header=BB281_3 Depth=1
	flat_load_dwordx4 v[38:41], v[8:9]
	s_waitcnt vmcnt(0) lgkmcnt(0)
	ds_write2_b64 v31, v[38:39], v[40:41] offset1:1
	s_branch .LBB281_2
.LBB281_11:
	v_mov_b64_e32 v[26:27], 0
	v_mov_b64_e32 v[28:29], 0
	;; [unrolled: 1-line block ×8, first 2 shown]
.LBB281_12:
	s_lshl_b64 s[0:1], s[28:29], 4
	s_waitcnt lgkmcnt(0)
	s_add_u32 s8, s4, s0
	s_addc_u32 s9, s5, s1
	v_cmp_neq_f64_e64 s[0:1], s[14:15], 0
	v_cmp_neq_f64_e64 s[2:3], s[16:17], 0
	v_lshl_add_u64 v[0:1], s[24:25], 0, v[0:1]
	s_or_b64 s[4:5], s[0:1], s[2:3]
	v_cmp_gt_i64_e64 s[0:1], s[38:39], v[0:1]
	s_mov_b64 s[2:3], -1
	s_and_b64 vcc, exec, s[4:5]
	s_cbranch_vccnz .LBB281_24
; %bb.13:
	s_and_saveexec_b64 s[10:11], s[0:1]
	s_cbranch_execz .LBB281_23
; %bb.14:
	v_mul_lo_u32 v8, v1, s26
	v_mul_lo_u32 v9, v0, s27
	v_mad_u64_u32 v[6:7], s[2:3], v0, s26, 0
	v_add3_u32 v7, v7, v9, v8
	v_lshl_add_u64 v[4:5], s[18:19], 0, v[2:3]
	v_lshl_add_u64 v[6:7], v[6:7], 4, s[8:9]
	v_cmp_gt_i64_e32 vcc, s[36:37], v[4:5]
	v_lshl_add_u64 v[8:9], v[4:5], 4, v[6:7]
	s_and_saveexec_b64 s[2:3], vcc
	s_cbranch_execz .LBB281_16
; %bb.15:
	v_mul_f64 v[10:11], s[44:45], v[28:29]
	v_mul_f64 v[12:13], s[42:43], v[28:29]
	v_fma_f64 v[10:11], s[42:43], v[26:27], -v[10:11]
	v_fmac_f64_e32 v[12:13], s[44:45], v[26:27]
	flat_store_dwordx4 v[8:9], v[10:13]
.LBB281_16:
	s_or_b64 exec, exec, s[2:3]
	s_nop 0
	v_lshl_add_u64 v[10:11], v[4:5], 0, 16
	v_cmp_gt_i64_e64 s[2:3], s[36:37], v[10:11]
	s_and_saveexec_b64 s[4:5], s[2:3]
	s_cbranch_execz .LBB281_18
; %bb.17:
	v_mul_f64 v[10:11], s[44:45], v[24:25]
	v_mul_f64 v[12:13], s[42:43], v[24:25]
	v_fma_f64 v[10:11], s[42:43], v[22:23], -v[10:11]
	v_fmac_f64_e32 v[12:13], s[44:45], v[22:23]
	flat_store_dwordx4 v[8:9], v[10:13] offset:256
.LBB281_18:
	s_or_b64 exec, exec, s[4:5]
	v_lshl_add_u64 v[8:9], v[0:1], 0, 16
	v_cmp_gt_i64_e64 s[4:5], s[38:39], v[8:9]
	s_and_b64 exec, exec, s[4:5]
	s_cbranch_execz .LBB281_23
; %bb.19:
	s_lshl_b64 s[4:5], s[26:27], 8
	v_lshl_add_u64 v[6:7], v[6:7], 0, s[4:5]
	v_lshl_add_u64 v[4:5], v[4:5], 4, v[6:7]
	s_and_saveexec_b64 s[4:5], vcc
	s_cbranch_execz .LBB281_21
; %bb.20:
	v_mul_f64 v[6:7], s[44:45], v[20:21]
	v_mul_f64 v[8:9], s[42:43], v[20:21]
	v_fma_f64 v[6:7], s[42:43], v[18:19], -v[6:7]
	v_fmac_f64_e32 v[8:9], s[44:45], v[18:19]
	flat_store_dwordx4 v[4:5], v[6:9]
.LBB281_21:
	s_or_b64 exec, exec, s[4:5]
	s_and_b64 exec, exec, s[2:3]
	s_cbranch_execz .LBB281_23
; %bb.22:
	v_mul_f64 v[6:7], s[44:45], v[14:15]
	v_mul_f64 v[8:9], s[42:43], v[14:15]
	v_fma_f64 v[6:7], s[42:43], v[16:17], -v[6:7]
	v_fmac_f64_e32 v[8:9], s[44:45], v[16:17]
	flat_store_dwordx4 v[4:5], v[6:9] offset:256
.LBB281_23:
	s_or_b64 exec, exec, s[10:11]
	s_mov_b64 s[2:3], 0
.LBB281_24:
	s_andn2_b64 vcc, exec, s[2:3]
	s_cbranch_vccnz .LBB281_35
; %bb.25:
	s_and_saveexec_b64 s[2:3], s[0:1]
	s_cbranch_execz .LBB281_35
; %bb.26:
	s_lshl_b64 s[0:1], s[22:23], 4
	v_lshl_add_u64 v[8:9], s[18:19], 0, v[2:3]
	v_mul_lo_u32 v4, v1, s20
	v_mul_lo_u32 v5, v0, s21
	v_mad_u64_u32 v[2:3], s[2:3], v0, s20, 0
	s_add_u32 s0, s6, s0
	v_add3_u32 v3, v3, v5, v4
	v_mul_lo_u32 v6, v1, s26
	v_mul_lo_u32 v7, v0, s27
	v_mad_u64_u32 v[4:5], s[2:3], v0, s26, 0
	s_addc_u32 s1, s7, s1
	v_add3_u32 v5, v5, v7, v6
	v_cmp_gt_i64_e32 vcc, s[36:37], v[8:9]
	v_lshl_add_u64 v[6:7], v[2:3], 4, s[0:1]
	v_lshl_add_u64 v[4:5], v[4:5], 4, s[8:9]
	v_lshlrev_b64 v[2:3], 4, v[8:9]
	s_and_saveexec_b64 s[0:1], vcc
	s_cbranch_execz .LBB281_28
; %bb.27:
	v_lshl_add_u64 v[10:11], v[6:7], 0, v[2:3]
	flat_load_dwordx4 v[10:13], v[10:11]
	v_mul_f64 v[30:31], s[44:45], v[28:29]
	v_mul_f64 v[28:29], s[42:43], v[28:29]
	v_fma_f64 v[30:31], s[42:43], v[26:27], -v[30:31]
	v_fmac_f64_e32 v[28:29], s[44:45], v[26:27]
	s_waitcnt vmcnt(0) lgkmcnt(0)
	v_mul_f64 v[26:27], s[16:17], v[12:13]
	v_mul_f64 v[12:13], s[14:15], v[12:13]
	v_fma_f64 v[26:27], s[14:15], v[10:11], -v[26:27]
	v_fmac_f64_e32 v[12:13], s[16:17], v[10:11]
	v_add_f64 v[10:11], v[30:31], v[26:27]
	v_add_f64 v[12:13], v[28:29], v[12:13]
	v_lshl_add_u64 v[26:27], v[4:5], 0, v[2:3]
	flat_store_dwordx4 v[26:27], v[10:13]
.LBB281_28:
	s_or_b64 exec, exec, s[0:1]
	v_lshl_add_u64 v[8:9], v[8:9], 0, 16
	v_cmp_gt_i64_e64 s[0:1], s[36:37], v[8:9]
	s_and_saveexec_b64 s[2:3], s[0:1]
	s_cbranch_execz .LBB281_30
; %bb.29:
	v_lshl_add_u64 v[8:9], v[6:7], 0, v[2:3]
	flat_load_dwordx4 v[8:11], v[8:9] offset:256
	v_mul_f64 v[12:13], s[44:45], v[24:25]
	v_mul_f64 v[24:25], s[42:43], v[24:25]
	v_fma_f64 v[12:13], s[42:43], v[22:23], -v[12:13]
	v_fmac_f64_e32 v[24:25], s[44:45], v[22:23]
	s_waitcnt vmcnt(0) lgkmcnt(0)
	v_mul_f64 v[22:23], s[16:17], v[10:11]
	v_mul_f64 v[10:11], s[14:15], v[10:11]
	v_fma_f64 v[22:23], s[14:15], v[8:9], -v[22:23]
	v_fmac_f64_e32 v[10:11], s[16:17], v[8:9]
	v_add_f64 v[8:9], v[12:13], v[22:23]
	v_add_f64 v[10:11], v[24:25], v[10:11]
	v_lshl_add_u64 v[12:13], v[4:5], 0, v[2:3]
	flat_store_dwordx4 v[12:13], v[8:11] offset:256
.LBB281_30:
	s_or_b64 exec, exec, s[2:3]
	v_lshl_add_u64 v[0:1], v[0:1], 0, 16
	v_cmp_gt_i64_e64 s[2:3], s[38:39], v[0:1]
	s_and_b64 exec, exec, s[2:3]
	s_cbranch_execz .LBB281_35
; %bb.31:
	s_lshl_b64 s[2:3], s[20:21], 8
	v_lshl_add_u64 v[0:1], v[6:7], 0, s[2:3]
	s_lshl_b64 s[2:3], s[26:27], 8
	v_lshl_add_u64 v[6:7], v[4:5], 0, s[2:3]
	v_lshl_add_u64 v[4:5], v[0:1], 0, v[2:3]
	;; [unrolled: 1-line block ×3, first 2 shown]
	s_and_saveexec_b64 s[2:3], vcc
	s_cbranch_execz .LBB281_33
; %bb.32:
	flat_load_dwordx4 v[6:9], v[4:5]
	v_mul_f64 v[2:3], s[44:45], v[20:21]
	v_mul_f64 v[10:11], s[42:43], v[20:21]
	v_fma_f64 v[2:3], s[42:43], v[18:19], -v[2:3]
	v_fmac_f64_e32 v[10:11], s[44:45], v[18:19]
	s_waitcnt vmcnt(0) lgkmcnt(0)
	v_mul_f64 v[12:13], s[16:17], v[8:9]
	v_mul_f64 v[8:9], s[14:15], v[8:9]
	v_fma_f64 v[12:13], s[14:15], v[6:7], -v[12:13]
	v_fmac_f64_e32 v[8:9], s[16:17], v[6:7]
	v_add_f64 v[6:7], v[2:3], v[12:13]
	v_add_f64 v[8:9], v[10:11], v[8:9]
	flat_store_dwordx4 v[0:1], v[6:9]
.LBB281_33:
	s_or_b64 exec, exec, s[2:3]
	s_and_b64 exec, exec, s[0:1]
	s_cbranch_execz .LBB281_35
; %bb.34:
	flat_load_dwordx4 v[2:5], v[4:5] offset:256
	v_mul_f64 v[6:7], s[44:45], v[14:15]
	v_mul_f64 v[8:9], s[42:43], v[14:15]
	v_fma_f64 v[6:7], s[42:43], v[16:17], -v[6:7]
	v_fmac_f64_e32 v[8:9], s[44:45], v[16:17]
	s_waitcnt vmcnt(0) lgkmcnt(0)
	v_mul_f64 v[10:11], s[16:17], v[4:5]
	v_mul_f64 v[4:5], s[14:15], v[4:5]
	v_fma_f64 v[10:11], s[14:15], v[2:3], -v[10:11]
	v_fmac_f64_e32 v[4:5], s[16:17], v[2:3]
	v_add_f64 v[2:3], v[6:7], v[10:11]
	v_add_f64 v[4:5], v[8:9], v[4:5]
	flat_store_dwordx4 v[0:1], v[2:5] offset:256
.LBB281_35:
	s_endpgm
	.section	.rodata,"a",@progbits
	.p2align	6, 0x0
	.amdhsa_kernel _ZN12_GLOBAL__N_135rocblas_gemm_batched_general_kernelI19rocblas_complex_numIdELi16ELi16ELi32ELi32ELi8ELi32ELi8ELi8ELi32ELc78ELc78EKPKS2_S5_KPS2_EEvlllT_PT11_llSA_llS8_PT12_llPT13_lli
		.amdhsa_group_segment_fixed_size 8192
		.amdhsa_private_segment_fixed_size 0
		.amdhsa_kernarg_size 156
		.amdhsa_user_sgpr_count 2
		.amdhsa_user_sgpr_dispatch_ptr 0
		.amdhsa_user_sgpr_queue_ptr 0
		.amdhsa_user_sgpr_kernarg_segment_ptr 1
		.amdhsa_user_sgpr_dispatch_id 0
		.amdhsa_user_sgpr_kernarg_preload_length 0
		.amdhsa_user_sgpr_kernarg_preload_offset 0
		.amdhsa_user_sgpr_private_segment_size 0
		.amdhsa_uses_dynamic_stack 0
		.amdhsa_enable_private_segment 0
		.amdhsa_system_sgpr_workgroup_id_x 1
		.amdhsa_system_sgpr_workgroup_id_y 1
		.amdhsa_system_sgpr_workgroup_id_z 1
		.amdhsa_system_sgpr_workgroup_info 0
		.amdhsa_system_vgpr_workitem_id 1
		.amdhsa_next_free_vgpr 68
		.amdhsa_next_free_sgpr 52
		.amdhsa_accum_offset 68
		.amdhsa_reserve_vcc 1
		.amdhsa_float_round_mode_32 0
		.amdhsa_float_round_mode_16_64 0
		.amdhsa_float_denorm_mode_32 3
		.amdhsa_float_denorm_mode_16_64 3
		.amdhsa_dx10_clamp 1
		.amdhsa_ieee_mode 1
		.amdhsa_fp16_overflow 0
		.amdhsa_tg_split 0
		.amdhsa_exception_fp_ieee_invalid_op 0
		.amdhsa_exception_fp_denorm_src 0
		.amdhsa_exception_fp_ieee_div_zero 0
		.amdhsa_exception_fp_ieee_overflow 0
		.amdhsa_exception_fp_ieee_underflow 0
		.amdhsa_exception_fp_ieee_inexact 0
		.amdhsa_exception_int_div_zero 0
	.end_amdhsa_kernel
	.section	.text._ZN12_GLOBAL__N_135rocblas_gemm_batched_general_kernelI19rocblas_complex_numIdELi16ELi16ELi32ELi32ELi8ELi32ELi8ELi8ELi32ELc78ELc78EKPKS2_S5_KPS2_EEvlllT_PT11_llSA_llS8_PT12_llPT13_lli,"axG",@progbits,_ZN12_GLOBAL__N_135rocblas_gemm_batched_general_kernelI19rocblas_complex_numIdELi16ELi16ELi32ELi32ELi8ELi32ELi8ELi8ELi32ELc78ELc78EKPKS2_S5_KPS2_EEvlllT_PT11_llSA_llS8_PT12_llPT13_lli,comdat
.Lfunc_end281:
	.size	_ZN12_GLOBAL__N_135rocblas_gemm_batched_general_kernelI19rocblas_complex_numIdELi16ELi16ELi32ELi32ELi8ELi32ELi8ELi8ELi32ELc78ELc78EKPKS2_S5_KPS2_EEvlllT_PT11_llSA_llS8_PT12_llPT13_lli, .Lfunc_end281-_ZN12_GLOBAL__N_135rocblas_gemm_batched_general_kernelI19rocblas_complex_numIdELi16ELi16ELi32ELi32ELi8ELi32ELi8ELi8ELi32ELc78ELc78EKPKS2_S5_KPS2_EEvlllT_PT11_llSA_llS8_PT12_llPT13_lli
                                        ; -- End function
	.set _ZN12_GLOBAL__N_135rocblas_gemm_batched_general_kernelI19rocblas_complex_numIdELi16ELi16ELi32ELi32ELi8ELi32ELi8ELi8ELi32ELc78ELc78EKPKS2_S5_KPS2_EEvlllT_PT11_llSA_llS8_PT12_llPT13_lli.num_vgpr, 68
	.set _ZN12_GLOBAL__N_135rocblas_gemm_batched_general_kernelI19rocblas_complex_numIdELi16ELi16ELi32ELi32ELi8ELi32ELi8ELi8ELi32ELc78ELc78EKPKS2_S5_KPS2_EEvlllT_PT11_llSA_llS8_PT12_llPT13_lli.num_agpr, 0
	.set _ZN12_GLOBAL__N_135rocblas_gemm_batched_general_kernelI19rocblas_complex_numIdELi16ELi16ELi32ELi32ELi8ELi32ELi8ELi8ELi32ELc78ELc78EKPKS2_S5_KPS2_EEvlllT_PT11_llSA_llS8_PT12_llPT13_lli.numbered_sgpr, 52
	.set _ZN12_GLOBAL__N_135rocblas_gemm_batched_general_kernelI19rocblas_complex_numIdELi16ELi16ELi32ELi32ELi8ELi32ELi8ELi8ELi32ELc78ELc78EKPKS2_S5_KPS2_EEvlllT_PT11_llSA_llS8_PT12_llPT13_lli.num_named_barrier, 0
	.set _ZN12_GLOBAL__N_135rocblas_gemm_batched_general_kernelI19rocblas_complex_numIdELi16ELi16ELi32ELi32ELi8ELi32ELi8ELi8ELi32ELc78ELc78EKPKS2_S5_KPS2_EEvlllT_PT11_llSA_llS8_PT12_llPT13_lli.private_seg_size, 0
	.set _ZN12_GLOBAL__N_135rocblas_gemm_batched_general_kernelI19rocblas_complex_numIdELi16ELi16ELi32ELi32ELi8ELi32ELi8ELi8ELi32ELc78ELc78EKPKS2_S5_KPS2_EEvlllT_PT11_llSA_llS8_PT12_llPT13_lli.uses_vcc, 1
	.set _ZN12_GLOBAL__N_135rocblas_gemm_batched_general_kernelI19rocblas_complex_numIdELi16ELi16ELi32ELi32ELi8ELi32ELi8ELi8ELi32ELc78ELc78EKPKS2_S5_KPS2_EEvlllT_PT11_llSA_llS8_PT12_llPT13_lli.uses_flat_scratch, 0
	.set _ZN12_GLOBAL__N_135rocblas_gemm_batched_general_kernelI19rocblas_complex_numIdELi16ELi16ELi32ELi32ELi8ELi32ELi8ELi8ELi32ELc78ELc78EKPKS2_S5_KPS2_EEvlllT_PT11_llSA_llS8_PT12_llPT13_lli.has_dyn_sized_stack, 0
	.set _ZN12_GLOBAL__N_135rocblas_gemm_batched_general_kernelI19rocblas_complex_numIdELi16ELi16ELi32ELi32ELi8ELi32ELi8ELi8ELi32ELc78ELc78EKPKS2_S5_KPS2_EEvlllT_PT11_llSA_llS8_PT12_llPT13_lli.has_recursion, 0
	.set _ZN12_GLOBAL__N_135rocblas_gemm_batched_general_kernelI19rocblas_complex_numIdELi16ELi16ELi32ELi32ELi8ELi32ELi8ELi8ELi32ELc78ELc78EKPKS2_S5_KPS2_EEvlllT_PT11_llSA_llS8_PT12_llPT13_lli.has_indirect_call, 0
	.section	.AMDGPU.csdata,"",@progbits
; Kernel info:
; codeLenInByte = 3500
; TotalNumSgprs: 58
; NumVgprs: 68
; NumAgprs: 0
; TotalNumVgprs: 68
; ScratchSize: 0
; MemoryBound: 0
; FloatMode: 240
; IeeeMode: 1
; LDSByteSize: 8192 bytes/workgroup (compile time only)
; SGPRBlocks: 7
; VGPRBlocks: 8
; NumSGPRsForWavesPerEU: 58
; NumVGPRsForWavesPerEU: 68
; AccumOffset: 68
; Occupancy: 7
; WaveLimiterHint : 1
; COMPUTE_PGM_RSRC2:SCRATCH_EN: 0
; COMPUTE_PGM_RSRC2:USER_SGPR: 2
; COMPUTE_PGM_RSRC2:TRAP_HANDLER: 0
; COMPUTE_PGM_RSRC2:TGID_X_EN: 1
; COMPUTE_PGM_RSRC2:TGID_Y_EN: 1
; COMPUTE_PGM_RSRC2:TGID_Z_EN: 1
; COMPUTE_PGM_RSRC2:TIDIG_COMP_CNT: 1
; COMPUTE_PGM_RSRC3_GFX90A:ACCUM_OFFSET: 16
; COMPUTE_PGM_RSRC3_GFX90A:TG_SPLIT: 0
	.section	.text._ZN12_GLOBAL__N_135rocblas_gemm_batched_general_kernelI19rocblas_complex_numIdELi16ELi16ELi32ELi32ELi8ELi32ELi8ELi8ELi32ELc84ELc78EKPKS2_S5_KPS2_EEvlllT_PT11_llSA_llS8_PT12_llPT13_lli,"axG",@progbits,_ZN12_GLOBAL__N_135rocblas_gemm_batched_general_kernelI19rocblas_complex_numIdELi16ELi16ELi32ELi32ELi8ELi32ELi8ELi8ELi32ELc84ELc78EKPKS2_S5_KPS2_EEvlllT_PT11_llSA_llS8_PT12_llPT13_lli,comdat
	.globl	_ZN12_GLOBAL__N_135rocblas_gemm_batched_general_kernelI19rocblas_complex_numIdELi16ELi16ELi32ELi32ELi8ELi32ELi8ELi8ELi32ELc84ELc78EKPKS2_S5_KPS2_EEvlllT_PT11_llSA_llS8_PT12_llPT13_lli ; -- Begin function _ZN12_GLOBAL__N_135rocblas_gemm_batched_general_kernelI19rocblas_complex_numIdELi16ELi16ELi32ELi32ELi8ELi32ELi8ELi8ELi32ELc84ELc78EKPKS2_S5_KPS2_EEvlllT_PT11_llSA_llS8_PT12_llPT13_lli
	.p2align	8
	.type	_ZN12_GLOBAL__N_135rocblas_gemm_batched_general_kernelI19rocblas_complex_numIdELi16ELi16ELi32ELi32ELi8ELi32ELi8ELi8ELi32ELc84ELc78EKPKS2_S5_KPS2_EEvlllT_PT11_llSA_llS8_PT12_llPT13_lli,@function
_ZN12_GLOBAL__N_135rocblas_gemm_batched_general_kernelI19rocblas_complex_numIdELi16ELi16ELi32ELi32ELi8ELi32ELi8ELi8ELi32ELc84ELc78EKPKS2_S5_KPS2_EEvlllT_PT11_llSA_llS8_PT12_llPT13_lli: ; @_ZN12_GLOBAL__N_135rocblas_gemm_batched_general_kernelI19rocblas_complex_numIdELi16ELi16ELi32ELi32ELi8ELi32ELi8ELi8ELi32ELc84ELc78EKPKS2_S5_KPS2_EEvlllT_PT11_llSA_llS8_PT12_llPT13_lli
; %bb.0:
	s_load_dwordx16 s[36:51], s[0:1], 0x0
	s_load_dwordx16 s[8:23], s[0:1], 0x40
	s_load_dwordx2 s[28:29], s[0:1], 0x90
	s_load_dwordx4 s[24:27], s[0:1], 0x80
	s_mov_b32 s5, 0
	s_lshl_b64 s[0:1], s[4:5], 3
	s_waitcnt lgkmcnt(0)
	s_add_u32 s4, s18, s0
	s_addc_u32 s5, s19, s1
	s_load_dwordx2 s[6:7], s[4:5], 0x0
	s_add_u32 s4, s24, s0
	s_addc_u32 s5, s25, s1
	s_load_dwordx2 s[4:5], s[4:5], 0x0
	s_mov_b32 s30, s3
	v_mov_b32_e32 v1, 0
	s_ashr_i32 s3, s2, 31
	s_ashr_i32 s31, s30, 31
	v_cmp_lt_i64_e64 s[24:25], s[40:41], 1
	v_and_b32_e32 v2, 0x3ff, v0
	v_bfe_u32 v0, v0, 10, 10
	v_mov_b32_e32 v3, v1
	s_lshl_b64 s[18:19], s[2:3], 5
	s_lshl_b64 s[2:3], s[30:31], 5
	s_and_b64 vcc, exec, s[24:25]
	s_cbranch_vccnz .LBB282_11
; %bb.1:
	v_lshl_add_u32 v12, v0, 4, v2
	v_lshrrev_b32_e32 v4, 5, v12
	v_lshrrev_b32_e32 v8, 3, v12
	v_and_b32_e32 v12, 31, v12
	v_and_b32_e32 v6, 7, v2
	s_add_u32 s8, s8, s0
	v_or_b32_e32 v14, s18, v12
	v_mov_b32_e32 v15, s19
	s_addc_u32 s9, s9, s1
	v_mov_b32_e32 v9, v1
	v_cmp_gt_i64_e32 vcc, s[36:37], v[14:15]
	v_lshlrev_b32_e32 v14, 4, v6
	s_add_u32 s0, s46, s0
	v_lshl_add_u64 v[10:11], v[8:9], 0, s[2:3]
	v_lshl_or_b32 v8, v8, 7, v14
	s_load_dwordx2 s[8:9], s[8:9], 0x0
	s_addc_u32 s1, s47, s1
	v_lshlrev_b32_e32 v9, 4, v12
	v_add_u32_e32 v31, 0x1000, v8
	v_mov_b32_e32 v8, 0x1000
	s_load_dwordx2 s[24:25], s[0:1], 0x0
	v_lshl_or_b32 v30, v4, 9, v9
	v_cmp_gt_i64_e64 s[0:1], s[38:39], v[10:11]
	v_lshl_add_u32 v33, v0, 7, v8
	v_mul_lo_u32 v15, s11, v10
	v_mul_lo_u32 v11, s10, v11
	v_mad_u64_u32 v[8:9], s[10:11], s10, v10, 0
	v_add3_u32 v9, v9, v11, v15
	s_lshl_b64 s[10:11], s[12:13], 4
	v_mov_b32_e32 v13, v1
	v_lshl_add_u64 v[8:9], v[8:9], 4, s[10:11]
	v_mov_b32_e32 v15, v1
	v_lshl_add_u64 v[8:9], v[8:9], 0, v[14:15]
	v_lshl_add_u64 v[10:11], s[18:19], 0, v[12:13]
	s_waitcnt lgkmcnt(0)
	v_lshl_add_u64 v[8:9], s[8:9], 0, v[8:9]
	v_mul_lo_u32 v12, s49, v10
	v_mul_lo_u32 v13, s48, v11
	v_mad_u64_u32 v[10:11], s[8:9], s48, v10, 0
	v_add3_u32 v11, v11, v13, v12
	s_lshl_b64 s[8:9], s[50:51], 4
	v_lshl_add_u64 v[10:11], v[10:11], 4, s[8:9]
	v_lshlrev_b32_e32 v12, 4, v4
	v_mov_b32_e32 v13, v1
	v_lshl_add_u64 v[10:11], v[10:11], 0, v[12:13]
	v_mov_b32_e32 v5, v1
	v_mov_b32_e32 v7, v1
	v_lshlrev_b32_e32 v32, 4, v2
	v_lshl_add_u64 v[10:11], s[24:25], 0, v[10:11]
	s_mov_b64 s[8:9], 0
	v_mov_b64_e32 v[14:15], 0
	s_xor_b64 s[10:11], vcc, -1
	s_xor_b64 s[0:1], s[0:1], -1
	s_mov_b64 s[12:13], 0x80
	v_mov_b64_e32 v[12:13], s[40:41]
	v_mov_b32_e32 v34, v1
	v_mov_b32_e32 v35, v1
	;; [unrolled: 1-line block ×4, first 2 shown]
	v_mov_b64_e32 v[16:17], 0
	v_mov_b64_e32 v[20:21], 0
	;; [unrolled: 1-line block ×7, first 2 shown]
	s_branch .LBB282_3
.LBB282_2:                              ;   in Loop: Header=BB282_3 Depth=1
	s_or_b64 exec, exec, s[24:25]
	s_waitcnt lgkmcnt(0)
	s_barrier
	ds_read_b128 v[38:41], v32
	ds_read_b128 v[42:45], v33
	ds_read_b128 v[46:49], v33 offset:16
	ds_read_b128 v[50:53], v33 offset:32
	;; [unrolled: 1-line block ×4, first 2 shown]
	s_waitcnt lgkmcnt(4)
	v_mul_f64 v[62:63], v[44:45], v[40:41]
	v_fma_f64 v[62:63], v[42:43], v[38:39], -v[62:63]
	v_mul_f64 v[64:65], v[42:43], v[40:41]
	v_fmac_f64_e32 v[64:65], v[44:45], v[38:39]
	v_add_f64 v[62:63], v[26:27], v[62:63]
	s_waitcnt lgkmcnt(0)
	v_mul_f64 v[26:27], v[44:45], v[60:61]
	v_add_f64 v[64:65], v[64:65], v[28:29]
	v_fma_f64 v[66:67], v[42:43], v[58:59], -v[26:27]
	ds_read_b128 v[26:29], v33 offset:2048
	v_mul_f64 v[42:43], v[42:43], v[60:61]
	v_fmac_f64_e32 v[42:43], v[44:45], v[58:59]
	v_add_f64 v[44:45], v[22:23], v[66:67]
	v_add_f64 v[42:43], v[42:43], v[24:25]
	ds_read_b128 v[22:25], v33 offset:2064
	s_waitcnt lgkmcnt(1)
	v_mul_f64 v[66:67], v[28:29], v[40:41]
	v_fma_f64 v[66:67], v[26:27], v[38:39], -v[66:67]
	v_mul_f64 v[40:41], v[26:27], v[40:41]
	v_fmac_f64_e32 v[40:41], v[28:29], v[38:39]
	v_add_f64 v[38:39], v[18:19], v[66:67]
	v_mul_f64 v[18:19], v[28:29], v[60:61]
	v_add_f64 v[40:41], v[40:41], v[20:21]
	v_fma_f64 v[66:67], v[26:27], v[58:59], -v[18:19]
	v_mul_f64 v[26:27], v[26:27], v[60:61]
	ds_read_b128 v[18:21], v32 offset:512
	v_fmac_f64_e32 v[26:27], v[28:29], v[58:59]
	v_add_f64 v[28:29], v[16:17], v[66:67]
	v_add_f64 v[26:27], v[26:27], v[14:15]
	ds_read_b128 v[14:17], v32 offset:768
	s_waitcnt lgkmcnt(1)
	v_mul_f64 v[58:59], v[48:49], v[20:21]
	v_fma_f64 v[58:59], v[46:47], v[18:19], -v[58:59]
	v_add_f64 v[58:59], v[62:63], v[58:59]
	v_mul_f64 v[60:61], v[46:47], v[20:21]
	s_waitcnt lgkmcnt(0)
	v_mul_f64 v[62:63], v[48:49], v[16:17]
	v_fma_f64 v[62:63], v[46:47], v[14:15], -v[62:63]
	v_mul_f64 v[46:47], v[46:47], v[16:17]
	v_fmac_f64_e32 v[46:47], v[48:49], v[14:15]
	v_add_f64 v[42:43], v[46:47], v[42:43]
	v_mul_f64 v[46:47], v[24:25], v[20:21]
	v_mul_f64 v[20:21], v[22:23], v[20:21]
	v_fmac_f64_e32 v[60:61], v[48:49], v[18:19]
	v_fma_f64 v[46:47], v[22:23], v[18:19], -v[46:47]
	v_fmac_f64_e32 v[20:21], v[24:25], v[18:19]
	v_mul_f64 v[18:19], v[24:25], v[16:17]
	v_add_f64 v[48:49], v[20:21], v[40:41]
	v_fma_f64 v[20:21], v[22:23], v[14:15], -v[18:19]
	v_mul_f64 v[22:23], v[22:23], v[16:17]
	ds_read_b128 v[16:19], v32 offset:1024
	v_fmac_f64_e32 v[22:23], v[24:25], v[14:15]
	v_add_f64 v[44:45], v[44:45], v[62:63]
	v_add_f64 v[28:29], v[28:29], v[20:21]
	;; [unrolled: 1-line block ×3, first 2 shown]
	ds_read_b128 v[20:23], v32 offset:1280
	s_waitcnt lgkmcnt(1)
	v_mul_f64 v[24:25], v[50:51], v[18:19]
	v_add_f64 v[60:61], v[60:61], v[64:65]
	v_fmac_f64_e32 v[24:25], v[52:53], v[16:17]
	v_add_f64 v[60:61], v[24:25], v[60:61]
	ds_read_b128 v[24:27], v33 offset:2080
	v_mul_f64 v[14:15], v[52:53], v[18:19]
	v_fma_f64 v[14:15], v[50:51], v[16:17], -v[14:15]
	v_add_f64 v[46:47], v[38:39], v[46:47]
	v_add_f64 v[58:59], v[58:59], v[14:15]
	s_waitcnt lgkmcnt(1)
	v_mul_f64 v[14:15], v[52:53], v[22:23]
	v_mul_f64 v[38:39], v[50:51], v[22:23]
	v_fma_f64 v[14:15], v[50:51], v[20:21], -v[14:15]
	v_fmac_f64_e32 v[38:39], v[52:53], v[20:21]
	v_add_f64 v[44:45], v[44:45], v[14:15]
	v_add_f64 v[42:43], v[38:39], v[42:43]
	ds_read_b128 v[38:41], v33 offset:2096
	s_waitcnt lgkmcnt(1)
	v_mul_f64 v[14:15], v[26:27], v[18:19]
	v_fma_f64 v[14:15], v[24:25], v[16:17], -v[14:15]
	v_mul_f64 v[18:19], v[24:25], v[18:19]
	v_fmac_f64_e32 v[18:19], v[26:27], v[16:17]
	v_add_f64 v[46:47], v[46:47], v[14:15]
	v_mul_f64 v[14:15], v[26:27], v[22:23]
	v_add_f64 v[48:49], v[18:19], v[48:49]
	v_fma_f64 v[18:19], v[24:25], v[20:21], -v[14:15]
	ds_read_b128 v[14:17], v32 offset:1536
	v_mul_f64 v[22:23], v[24:25], v[22:23]
	v_fmac_f64_e32 v[22:23], v[26:27], v[20:21]
	v_add_f64 v[24:25], v[28:29], v[18:19]
	ds_read_b128 v[18:21], v32 offset:1792
	s_waitcnt lgkmcnt(1)
	v_mul_f64 v[26:27], v[56:57], v[16:17]
	v_fma_f64 v[26:27], v[54:55], v[14:15], -v[26:27]
	v_mul_f64 v[28:29], v[54:55], v[16:17]
	v_fmac_f64_e32 v[28:29], v[56:57], v[14:15]
	v_add_f64 v[50:51], v[58:59], v[26:27]
	s_waitcnt lgkmcnt(0)
	v_mul_f64 v[26:27], v[56:57], v[20:21]
	v_add_f64 v[52:53], v[28:29], v[60:61]
	v_fma_f64 v[26:27], v[54:55], v[18:19], -v[26:27]
	v_mul_f64 v[28:29], v[54:55], v[20:21]
	v_fmac_f64_e32 v[28:29], v[56:57], v[18:19]
	v_add_f64 v[44:45], v[44:45], v[26:27]
	v_mul_f64 v[26:27], v[40:41], v[16:17]
	v_mul_f64 v[16:17], v[38:39], v[16:17]
	v_add_f64 v[42:43], v[28:29], v[42:43]
	v_fma_f64 v[26:27], v[38:39], v[14:15], -v[26:27]
	v_fmac_f64_e32 v[16:17], v[40:41], v[14:15]
	v_mul_f64 v[14:15], v[40:41], v[20:21]
	v_mul_f64 v[28:29], v[38:39], v[20:21]
	v_add_f64 v[46:47], v[46:47], v[26:27]
	v_add_f64 v[48:49], v[16:17], v[48:49]
	v_fma_f64 v[26:27], v[38:39], v[18:19], -v[14:15]
	v_fmac_f64_e32 v[28:29], v[40:41], v[18:19]
	ds_read_b128 v[14:17], v33 offset:64
	ds_read_b128 v[18:21], v32 offset:2048
	v_add_f64 v[22:23], v[22:23], v[62:63]
	v_add_f64 v[54:55], v[24:25], v[26:27]
	;; [unrolled: 1-line block ×3, first 2 shown]
	ds_read_b128 v[22:25], v32 offset:2304
	ds_read_b128 v[26:29], v33 offset:80
	s_waitcnt lgkmcnt(2)
	v_mul_f64 v[38:39], v[16:17], v[20:21]
	v_fma_f64 v[38:39], v[14:15], v[18:19], -v[38:39]
	v_mul_f64 v[40:41], v[14:15], v[20:21]
	v_fmac_f64_e32 v[40:41], v[16:17], v[18:19]
	v_add_f64 v[50:51], v[50:51], v[38:39]
	s_waitcnt lgkmcnt(1)
	v_mul_f64 v[38:39], v[16:17], v[24:25]
	v_add_f64 v[52:53], v[40:41], v[52:53]
	v_fma_f64 v[58:59], v[14:15], v[22:23], -v[38:39]
	ds_read_b128 v[38:41], v33 offset:2112
	v_mul_f64 v[14:15], v[14:15], v[24:25]
	v_fmac_f64_e32 v[14:15], v[16:17], v[22:23]
	v_add_f64 v[44:45], v[44:45], v[58:59]
	v_add_f64 v[42:43], v[14:15], v[42:43]
	ds_read_b128 v[14:17], v33 offset:2128
	s_waitcnt lgkmcnt(1)
	v_mul_f64 v[58:59], v[40:41], v[20:21]
	v_mul_f64 v[20:21], v[38:39], v[20:21]
	v_fma_f64 v[58:59], v[38:39], v[18:19], -v[58:59]
	v_fmac_f64_e32 v[20:21], v[40:41], v[18:19]
	v_mul_f64 v[18:19], v[40:41], v[24:25]
	v_add_f64 v[46:47], v[46:47], v[58:59]
	v_add_f64 v[48:49], v[20:21], v[48:49]
	v_fma_f64 v[58:59], v[38:39], v[22:23], -v[18:19]
	v_mul_f64 v[24:25], v[38:39], v[24:25]
	ds_read_b128 v[18:21], v32 offset:2560
	v_fmac_f64_e32 v[24:25], v[40:41], v[22:23]
	v_add_f64 v[40:41], v[24:25], v[56:57]
	ds_read_b128 v[22:25], v32 offset:2816
	v_add_f64 v[38:39], v[54:55], v[58:59]
	s_waitcnt lgkmcnt(1)
	v_mul_f64 v[54:55], v[28:29], v[20:21]
	v_fma_f64 v[54:55], v[26:27], v[18:19], -v[54:55]
	v_add_f64 v[50:51], v[50:51], v[54:55]
	s_waitcnt lgkmcnt(0)
	v_mul_f64 v[54:55], v[28:29], v[24:25]
	v_mul_f64 v[56:57], v[26:27], v[20:21]
	v_fma_f64 v[54:55], v[26:27], v[22:23], -v[54:55]
	v_mul_f64 v[26:27], v[26:27], v[24:25]
	v_fmac_f64_e32 v[26:27], v[28:29], v[22:23]
	v_add_f64 v[42:43], v[26:27], v[42:43]
	v_mul_f64 v[26:27], v[16:17], v[20:21]
	v_mul_f64 v[20:21], v[14:15], v[20:21]
	v_fmac_f64_e32 v[56:57], v[28:29], v[18:19]
	v_fma_f64 v[26:27], v[14:15], v[18:19], -v[26:27]
	v_fmac_f64_e32 v[20:21], v[16:17], v[18:19]
	v_mul_f64 v[18:19], v[16:17], v[24:25]
	v_mul_f64 v[24:25], v[14:15], v[24:25]
	v_add_f64 v[46:47], v[46:47], v[26:27]
	v_add_f64 v[48:49], v[20:21], v[48:49]
	v_fma_f64 v[26:27], v[14:15], v[22:23], -v[18:19]
	v_fmac_f64_e32 v[24:25], v[16:17], v[22:23]
	ds_read_b128 v[14:17], v33 offset:96
	ds_read_b128 v[18:21], v32 offset:3072
	v_add_f64 v[52:53], v[56:57], v[52:53]
	v_add_f64 v[44:45], v[44:45], v[54:55]
	;; [unrolled: 1-line block ×4, first 2 shown]
	ds_read_b128 v[22:25], v32 offset:3328
	ds_read_b128 v[38:41], v33 offset:112
	s_waitcnt lgkmcnt(2)
	v_mul_f64 v[26:27], v[16:17], v[20:21]
	v_fma_f64 v[26:27], v[14:15], v[18:19], -v[26:27]
	v_mul_f64 v[28:29], v[14:15], v[20:21]
	v_fmac_f64_e32 v[28:29], v[16:17], v[18:19]
	v_add_f64 v[50:51], v[50:51], v[26:27]
	s_waitcnt lgkmcnt(1)
	v_mul_f64 v[26:27], v[16:17], v[24:25]
	v_add_f64 v[52:53], v[28:29], v[52:53]
	v_fma_f64 v[58:59], v[14:15], v[22:23], -v[26:27]
	ds_read_b128 v[26:29], v33 offset:2144
	v_mul_f64 v[14:15], v[14:15], v[24:25]
	v_fmac_f64_e32 v[14:15], v[16:17], v[22:23]
	v_add_f64 v[60:61], v[14:15], v[42:43]
	ds_read_b128 v[14:17], v33 offset:2160
	s_waitcnt lgkmcnt(1)
	v_mul_f64 v[42:43], v[28:29], v[20:21]
	v_mul_f64 v[20:21], v[26:27], v[20:21]
	v_fma_f64 v[42:43], v[26:27], v[18:19], -v[42:43]
	v_fmac_f64_e32 v[20:21], v[28:29], v[18:19]
	v_mul_f64 v[18:19], v[28:29], v[24:25]
	v_add_f64 v[46:47], v[46:47], v[42:43]
	v_add_f64 v[48:49], v[20:21], v[48:49]
	v_fma_f64 v[42:43], v[26:27], v[22:23], -v[18:19]
	ds_read_b128 v[18:21], v32 offset:3584
	v_add_f64 v[58:59], v[44:45], v[58:59]
	v_add_f64 v[54:55], v[54:55], v[42:43]
	ds_read_b128 v[42:45], v32 offset:3840
	v_mul_f64 v[24:25], v[26:27], v[24:25]
	v_fmac_f64_e32 v[24:25], v[28:29], v[22:23]
	s_waitcnt lgkmcnt(1)
	v_mul_f64 v[22:23], v[40:41], v[20:21]
	v_add_f64 v[56:57], v[24:25], v[56:57]
	v_fma_f64 v[22:23], v[38:39], v[18:19], -v[22:23]
	v_mul_f64 v[24:25], v[38:39], v[20:21]
	v_fmac_f64_e32 v[24:25], v[40:41], v[18:19]
	v_add_f64 v[26:27], v[50:51], v[22:23]
	s_waitcnt lgkmcnt(0)
	v_mul_f64 v[22:23], v[40:41], v[44:45]
	v_add_f64 v[28:29], v[24:25], v[52:53]
	v_fma_f64 v[22:23], v[38:39], v[42:43], -v[22:23]
	v_mul_f64 v[24:25], v[38:39], v[44:45]
	v_mul_f64 v[38:39], v[16:17], v[20:21]
	v_fma_f64 v[38:39], v[14:15], v[18:19], -v[38:39]
	v_mul_f64 v[20:21], v[14:15], v[20:21]
	v_fmac_f64_e32 v[20:21], v[16:17], v[18:19]
	v_add_f64 v[18:19], v[46:47], v[38:39]
	v_mul_f64 v[38:39], v[16:17], v[44:45]
	s_add_u32 s8, s8, 8
	v_fma_f64 v[38:39], v[14:15], v[42:43], -v[38:39]
	v_mul_f64 v[14:15], v[14:15], v[44:45]
	s_addc_u32 s9, s9, 0
	v_fmac_f64_e32 v[24:25], v[40:41], v[42:43]
	v_fmac_f64_e32 v[14:15], v[16:17], v[42:43]
	v_cmp_lt_i64_e32 vcc, s[8:9], v[12:13]
	v_add_f64 v[22:23], v[58:59], v[22:23]
	v_add_f64 v[24:25], v[24:25], v[60:61]
	;; [unrolled: 1-line block ×5, first 2 shown]
	v_lshl_add_u64 v[8:9], v[8:9], 0, s[12:13]
	v_lshl_add_u64 v[10:11], v[10:11], 0, s[12:13]
	s_barrier
	s_cbranch_vccz .LBB282_12
.LBB282_3:                              ; =>This Inner Loop Header: Depth=1
	v_lshl_add_u64 v[38:39], v[4:5], 0, s[8:9]
	v_cmp_le_i64_e32 vcc, s[40:41], v[38:39]
	s_or_b64 s[24:25], s[10:11], vcc
	s_and_saveexec_b64 s[30:31], s[24:25]
	s_xor_b64 s[24:25], exec, s[30:31]
; %bb.4:                                ;   in Loop: Header=BB282_3 Depth=1
	ds_write_b128 v30, v[34:37]
; %bb.5:                                ;   in Loop: Header=BB282_3 Depth=1
	s_andn2_saveexec_b64 s[24:25], s[24:25]
	s_cbranch_execz .LBB282_7
; %bb.6:                                ;   in Loop: Header=BB282_3 Depth=1
	flat_load_dwordx4 v[38:41], v[10:11]
	s_waitcnt vmcnt(0) lgkmcnt(0)
	ds_write2_b64 v30, v[38:39], v[40:41] offset1:1
.LBB282_7:                              ;   in Loop: Header=BB282_3 Depth=1
	s_or_b64 exec, exec, s[24:25]
	v_lshl_add_u64 v[38:39], v[6:7], 0, s[8:9]
	v_cmp_le_i64_e32 vcc, s[40:41], v[38:39]
	s_or_b64 s[24:25], vcc, s[0:1]
	s_and_saveexec_b64 s[30:31], s[24:25]
	s_xor_b64 s[24:25], exec, s[30:31]
; %bb.8:                                ;   in Loop: Header=BB282_3 Depth=1
	ds_write_b128 v31, v[34:37]
; %bb.9:                                ;   in Loop: Header=BB282_3 Depth=1
	s_andn2_saveexec_b64 s[24:25], s[24:25]
	s_cbranch_execz .LBB282_2
; %bb.10:                               ;   in Loop: Header=BB282_3 Depth=1
	flat_load_dwordx4 v[38:41], v[8:9]
	s_waitcnt vmcnt(0) lgkmcnt(0)
	ds_write2_b64 v31, v[38:39], v[40:41] offset1:1
	s_branch .LBB282_2
.LBB282_11:
	v_mov_b64_e32 v[26:27], 0
	v_mov_b64_e32 v[28:29], 0
	;; [unrolled: 1-line block ×8, first 2 shown]
.LBB282_12:
	s_lshl_b64 s[0:1], s[28:29], 4
	s_waitcnt lgkmcnt(0)
	s_add_u32 s8, s4, s0
	s_addc_u32 s9, s5, s1
	v_lshl_add_u64 v[0:1], s[2:3], 0, v[0:1]
	v_cmp_neq_f64_e64 s[0:1], s[14:15], 0
	v_cmp_neq_f64_e64 s[2:3], s[16:17], 0
	s_or_b64 s[4:5], s[0:1], s[2:3]
	v_cmp_gt_i64_e64 s[0:1], s[38:39], v[0:1]
	s_mov_b64 s[2:3], -1
	s_and_b64 vcc, exec, s[4:5]
	s_cbranch_vccnz .LBB282_24
; %bb.13:
	s_and_saveexec_b64 s[10:11], s[0:1]
	s_cbranch_execz .LBB282_23
; %bb.14:
	v_mul_lo_u32 v8, v1, s26
	v_mul_lo_u32 v9, v0, s27
	v_mad_u64_u32 v[6:7], s[2:3], v0, s26, 0
	v_add3_u32 v7, v7, v9, v8
	v_lshl_add_u64 v[4:5], s[18:19], 0, v[2:3]
	v_lshl_add_u64 v[6:7], v[6:7], 4, s[8:9]
	v_cmp_gt_i64_e32 vcc, s[36:37], v[4:5]
	v_lshl_add_u64 v[8:9], v[4:5], 4, v[6:7]
	s_and_saveexec_b64 s[2:3], vcc
	s_cbranch_execz .LBB282_16
; %bb.15:
	v_mul_f64 v[10:11], s[44:45], v[28:29]
	v_mul_f64 v[12:13], s[42:43], v[28:29]
	v_fma_f64 v[10:11], s[42:43], v[26:27], -v[10:11]
	v_fmac_f64_e32 v[12:13], s[44:45], v[26:27]
	flat_store_dwordx4 v[8:9], v[10:13]
.LBB282_16:
	s_or_b64 exec, exec, s[2:3]
	s_nop 0
	v_lshl_add_u64 v[10:11], v[4:5], 0, 16
	v_cmp_gt_i64_e64 s[2:3], s[36:37], v[10:11]
	s_and_saveexec_b64 s[4:5], s[2:3]
	s_cbranch_execz .LBB282_18
; %bb.17:
	v_mul_f64 v[10:11], s[44:45], v[24:25]
	v_mul_f64 v[12:13], s[42:43], v[24:25]
	v_fma_f64 v[10:11], s[42:43], v[22:23], -v[10:11]
	v_fmac_f64_e32 v[12:13], s[44:45], v[22:23]
	flat_store_dwordx4 v[8:9], v[10:13] offset:256
.LBB282_18:
	s_or_b64 exec, exec, s[4:5]
	v_lshl_add_u64 v[8:9], v[0:1], 0, 16
	v_cmp_gt_i64_e64 s[4:5], s[38:39], v[8:9]
	s_and_b64 exec, exec, s[4:5]
	s_cbranch_execz .LBB282_23
; %bb.19:
	s_lshl_b64 s[4:5], s[26:27], 8
	v_lshl_add_u64 v[6:7], v[6:7], 0, s[4:5]
	v_lshl_add_u64 v[4:5], v[4:5], 4, v[6:7]
	s_and_saveexec_b64 s[4:5], vcc
	s_cbranch_execz .LBB282_21
; %bb.20:
	v_mul_f64 v[6:7], s[44:45], v[20:21]
	v_mul_f64 v[8:9], s[42:43], v[20:21]
	v_fma_f64 v[6:7], s[42:43], v[18:19], -v[6:7]
	v_fmac_f64_e32 v[8:9], s[44:45], v[18:19]
	flat_store_dwordx4 v[4:5], v[6:9]
.LBB282_21:
	s_or_b64 exec, exec, s[4:5]
	s_and_b64 exec, exec, s[2:3]
	s_cbranch_execz .LBB282_23
; %bb.22:
	v_mul_f64 v[6:7], s[44:45], v[14:15]
	v_mul_f64 v[8:9], s[42:43], v[14:15]
	v_fma_f64 v[6:7], s[42:43], v[16:17], -v[6:7]
	v_fmac_f64_e32 v[8:9], s[44:45], v[16:17]
	flat_store_dwordx4 v[4:5], v[6:9] offset:256
.LBB282_23:
	s_or_b64 exec, exec, s[10:11]
	s_mov_b64 s[2:3], 0
.LBB282_24:
	s_andn2_b64 vcc, exec, s[2:3]
	s_cbranch_vccnz .LBB282_35
; %bb.25:
	s_and_saveexec_b64 s[2:3], s[0:1]
	s_cbranch_execz .LBB282_35
; %bb.26:
	s_lshl_b64 s[0:1], s[22:23], 4
	v_lshl_add_u64 v[8:9], s[18:19], 0, v[2:3]
	v_mul_lo_u32 v4, v1, s20
	v_mul_lo_u32 v5, v0, s21
	v_mad_u64_u32 v[2:3], s[2:3], v0, s20, 0
	s_add_u32 s0, s6, s0
	v_add3_u32 v3, v3, v5, v4
	v_mul_lo_u32 v6, v1, s26
	v_mul_lo_u32 v7, v0, s27
	v_mad_u64_u32 v[4:5], s[2:3], v0, s26, 0
	s_addc_u32 s1, s7, s1
	v_add3_u32 v5, v5, v7, v6
	v_cmp_gt_i64_e32 vcc, s[36:37], v[8:9]
	v_lshl_add_u64 v[6:7], v[2:3], 4, s[0:1]
	v_lshl_add_u64 v[4:5], v[4:5], 4, s[8:9]
	v_lshlrev_b64 v[2:3], 4, v[8:9]
	s_and_saveexec_b64 s[0:1], vcc
	s_cbranch_execz .LBB282_28
; %bb.27:
	v_lshl_add_u64 v[10:11], v[6:7], 0, v[2:3]
	flat_load_dwordx4 v[10:13], v[10:11]
	v_mul_f64 v[30:31], s[44:45], v[28:29]
	v_mul_f64 v[28:29], s[42:43], v[28:29]
	v_fma_f64 v[30:31], s[42:43], v[26:27], -v[30:31]
	v_fmac_f64_e32 v[28:29], s[44:45], v[26:27]
	s_waitcnt vmcnt(0) lgkmcnt(0)
	v_mul_f64 v[26:27], s[16:17], v[12:13]
	v_mul_f64 v[12:13], s[14:15], v[12:13]
	v_fma_f64 v[26:27], s[14:15], v[10:11], -v[26:27]
	v_fmac_f64_e32 v[12:13], s[16:17], v[10:11]
	v_add_f64 v[10:11], v[30:31], v[26:27]
	v_add_f64 v[12:13], v[28:29], v[12:13]
	v_lshl_add_u64 v[26:27], v[4:5], 0, v[2:3]
	flat_store_dwordx4 v[26:27], v[10:13]
.LBB282_28:
	s_or_b64 exec, exec, s[0:1]
	v_lshl_add_u64 v[8:9], v[8:9], 0, 16
	v_cmp_gt_i64_e64 s[0:1], s[36:37], v[8:9]
	s_and_saveexec_b64 s[2:3], s[0:1]
	s_cbranch_execz .LBB282_30
; %bb.29:
	v_lshl_add_u64 v[8:9], v[6:7], 0, v[2:3]
	flat_load_dwordx4 v[8:11], v[8:9] offset:256
	v_mul_f64 v[12:13], s[44:45], v[24:25]
	v_mul_f64 v[24:25], s[42:43], v[24:25]
	v_fma_f64 v[12:13], s[42:43], v[22:23], -v[12:13]
	v_fmac_f64_e32 v[24:25], s[44:45], v[22:23]
	s_waitcnt vmcnt(0) lgkmcnt(0)
	v_mul_f64 v[22:23], s[16:17], v[10:11]
	v_mul_f64 v[10:11], s[14:15], v[10:11]
	v_fma_f64 v[22:23], s[14:15], v[8:9], -v[22:23]
	v_fmac_f64_e32 v[10:11], s[16:17], v[8:9]
	v_add_f64 v[8:9], v[12:13], v[22:23]
	v_add_f64 v[10:11], v[24:25], v[10:11]
	v_lshl_add_u64 v[12:13], v[4:5], 0, v[2:3]
	flat_store_dwordx4 v[12:13], v[8:11] offset:256
.LBB282_30:
	s_or_b64 exec, exec, s[2:3]
	v_lshl_add_u64 v[0:1], v[0:1], 0, 16
	v_cmp_gt_i64_e64 s[2:3], s[38:39], v[0:1]
	s_and_b64 exec, exec, s[2:3]
	s_cbranch_execz .LBB282_35
; %bb.31:
	s_lshl_b64 s[2:3], s[20:21], 8
	v_lshl_add_u64 v[0:1], v[6:7], 0, s[2:3]
	s_lshl_b64 s[2:3], s[26:27], 8
	v_lshl_add_u64 v[6:7], v[4:5], 0, s[2:3]
	v_lshl_add_u64 v[4:5], v[0:1], 0, v[2:3]
	;; [unrolled: 1-line block ×3, first 2 shown]
	s_and_saveexec_b64 s[2:3], vcc
	s_cbranch_execz .LBB282_33
; %bb.32:
	flat_load_dwordx4 v[6:9], v[4:5]
	v_mul_f64 v[2:3], s[44:45], v[20:21]
	v_mul_f64 v[10:11], s[42:43], v[20:21]
	v_fma_f64 v[2:3], s[42:43], v[18:19], -v[2:3]
	v_fmac_f64_e32 v[10:11], s[44:45], v[18:19]
	s_waitcnt vmcnt(0) lgkmcnt(0)
	v_mul_f64 v[12:13], s[16:17], v[8:9]
	v_mul_f64 v[8:9], s[14:15], v[8:9]
	v_fma_f64 v[12:13], s[14:15], v[6:7], -v[12:13]
	v_fmac_f64_e32 v[8:9], s[16:17], v[6:7]
	v_add_f64 v[6:7], v[2:3], v[12:13]
	v_add_f64 v[8:9], v[10:11], v[8:9]
	flat_store_dwordx4 v[0:1], v[6:9]
.LBB282_33:
	s_or_b64 exec, exec, s[2:3]
	s_and_b64 exec, exec, s[0:1]
	s_cbranch_execz .LBB282_35
; %bb.34:
	flat_load_dwordx4 v[2:5], v[4:5] offset:256
	v_mul_f64 v[6:7], s[44:45], v[14:15]
	v_mul_f64 v[8:9], s[42:43], v[14:15]
	v_fma_f64 v[6:7], s[42:43], v[16:17], -v[6:7]
	v_fmac_f64_e32 v[8:9], s[44:45], v[16:17]
	s_waitcnt vmcnt(0) lgkmcnt(0)
	v_mul_f64 v[10:11], s[16:17], v[4:5]
	v_mul_f64 v[4:5], s[14:15], v[4:5]
	v_fma_f64 v[10:11], s[14:15], v[2:3], -v[10:11]
	v_fmac_f64_e32 v[4:5], s[16:17], v[2:3]
	v_add_f64 v[2:3], v[6:7], v[10:11]
	v_add_f64 v[4:5], v[8:9], v[4:5]
	flat_store_dwordx4 v[0:1], v[2:5] offset:256
.LBB282_35:
	s_endpgm
	.section	.rodata,"a",@progbits
	.p2align	6, 0x0
	.amdhsa_kernel _ZN12_GLOBAL__N_135rocblas_gemm_batched_general_kernelI19rocblas_complex_numIdELi16ELi16ELi32ELi32ELi8ELi32ELi8ELi8ELi32ELc84ELc78EKPKS2_S5_KPS2_EEvlllT_PT11_llSA_llS8_PT12_llPT13_lli
		.amdhsa_group_segment_fixed_size 8192
		.amdhsa_private_segment_fixed_size 0
		.amdhsa_kernarg_size 156
		.amdhsa_user_sgpr_count 2
		.amdhsa_user_sgpr_dispatch_ptr 0
		.amdhsa_user_sgpr_queue_ptr 0
		.amdhsa_user_sgpr_kernarg_segment_ptr 1
		.amdhsa_user_sgpr_dispatch_id 0
		.amdhsa_user_sgpr_kernarg_preload_length 0
		.amdhsa_user_sgpr_kernarg_preload_offset 0
		.amdhsa_user_sgpr_private_segment_size 0
		.amdhsa_uses_dynamic_stack 0
		.amdhsa_enable_private_segment 0
		.amdhsa_system_sgpr_workgroup_id_x 1
		.amdhsa_system_sgpr_workgroup_id_y 1
		.amdhsa_system_sgpr_workgroup_id_z 1
		.amdhsa_system_sgpr_workgroup_info 0
		.amdhsa_system_vgpr_workitem_id 1
		.amdhsa_next_free_vgpr 68
		.amdhsa_next_free_sgpr 52
		.amdhsa_accum_offset 68
		.amdhsa_reserve_vcc 1
		.amdhsa_float_round_mode_32 0
		.amdhsa_float_round_mode_16_64 0
		.amdhsa_float_denorm_mode_32 3
		.amdhsa_float_denorm_mode_16_64 3
		.amdhsa_dx10_clamp 1
		.amdhsa_ieee_mode 1
		.amdhsa_fp16_overflow 0
		.amdhsa_tg_split 0
		.amdhsa_exception_fp_ieee_invalid_op 0
		.amdhsa_exception_fp_denorm_src 0
		.amdhsa_exception_fp_ieee_div_zero 0
		.amdhsa_exception_fp_ieee_overflow 0
		.amdhsa_exception_fp_ieee_underflow 0
		.amdhsa_exception_fp_ieee_inexact 0
		.amdhsa_exception_int_div_zero 0
	.end_amdhsa_kernel
	.section	.text._ZN12_GLOBAL__N_135rocblas_gemm_batched_general_kernelI19rocblas_complex_numIdELi16ELi16ELi32ELi32ELi8ELi32ELi8ELi8ELi32ELc84ELc78EKPKS2_S5_KPS2_EEvlllT_PT11_llSA_llS8_PT12_llPT13_lli,"axG",@progbits,_ZN12_GLOBAL__N_135rocblas_gemm_batched_general_kernelI19rocblas_complex_numIdELi16ELi16ELi32ELi32ELi8ELi32ELi8ELi8ELi32ELc84ELc78EKPKS2_S5_KPS2_EEvlllT_PT11_llSA_llS8_PT12_llPT13_lli,comdat
.Lfunc_end282:
	.size	_ZN12_GLOBAL__N_135rocblas_gemm_batched_general_kernelI19rocblas_complex_numIdELi16ELi16ELi32ELi32ELi8ELi32ELi8ELi8ELi32ELc84ELc78EKPKS2_S5_KPS2_EEvlllT_PT11_llSA_llS8_PT12_llPT13_lli, .Lfunc_end282-_ZN12_GLOBAL__N_135rocblas_gemm_batched_general_kernelI19rocblas_complex_numIdELi16ELi16ELi32ELi32ELi8ELi32ELi8ELi8ELi32ELc84ELc78EKPKS2_S5_KPS2_EEvlllT_PT11_llSA_llS8_PT12_llPT13_lli
                                        ; -- End function
	.set _ZN12_GLOBAL__N_135rocblas_gemm_batched_general_kernelI19rocblas_complex_numIdELi16ELi16ELi32ELi32ELi8ELi32ELi8ELi8ELi32ELc84ELc78EKPKS2_S5_KPS2_EEvlllT_PT11_llSA_llS8_PT12_llPT13_lli.num_vgpr, 68
	.set _ZN12_GLOBAL__N_135rocblas_gemm_batched_general_kernelI19rocblas_complex_numIdELi16ELi16ELi32ELi32ELi8ELi32ELi8ELi8ELi32ELc84ELc78EKPKS2_S5_KPS2_EEvlllT_PT11_llSA_llS8_PT12_llPT13_lli.num_agpr, 0
	.set _ZN12_GLOBAL__N_135rocblas_gemm_batched_general_kernelI19rocblas_complex_numIdELi16ELi16ELi32ELi32ELi8ELi32ELi8ELi8ELi32ELc84ELc78EKPKS2_S5_KPS2_EEvlllT_PT11_llSA_llS8_PT12_llPT13_lli.numbered_sgpr, 52
	.set _ZN12_GLOBAL__N_135rocblas_gemm_batched_general_kernelI19rocblas_complex_numIdELi16ELi16ELi32ELi32ELi8ELi32ELi8ELi8ELi32ELc84ELc78EKPKS2_S5_KPS2_EEvlllT_PT11_llSA_llS8_PT12_llPT13_lli.num_named_barrier, 0
	.set _ZN12_GLOBAL__N_135rocblas_gemm_batched_general_kernelI19rocblas_complex_numIdELi16ELi16ELi32ELi32ELi8ELi32ELi8ELi8ELi32ELc84ELc78EKPKS2_S5_KPS2_EEvlllT_PT11_llSA_llS8_PT12_llPT13_lli.private_seg_size, 0
	.set _ZN12_GLOBAL__N_135rocblas_gemm_batched_general_kernelI19rocblas_complex_numIdELi16ELi16ELi32ELi32ELi8ELi32ELi8ELi8ELi32ELc84ELc78EKPKS2_S5_KPS2_EEvlllT_PT11_llSA_llS8_PT12_llPT13_lli.uses_vcc, 1
	.set _ZN12_GLOBAL__N_135rocblas_gemm_batched_general_kernelI19rocblas_complex_numIdELi16ELi16ELi32ELi32ELi8ELi32ELi8ELi8ELi32ELc84ELc78EKPKS2_S5_KPS2_EEvlllT_PT11_llSA_llS8_PT12_llPT13_lli.uses_flat_scratch, 0
	.set _ZN12_GLOBAL__N_135rocblas_gemm_batched_general_kernelI19rocblas_complex_numIdELi16ELi16ELi32ELi32ELi8ELi32ELi8ELi8ELi32ELc84ELc78EKPKS2_S5_KPS2_EEvlllT_PT11_llSA_llS8_PT12_llPT13_lli.has_dyn_sized_stack, 0
	.set _ZN12_GLOBAL__N_135rocblas_gemm_batched_general_kernelI19rocblas_complex_numIdELi16ELi16ELi32ELi32ELi8ELi32ELi8ELi8ELi32ELc84ELc78EKPKS2_S5_KPS2_EEvlllT_PT11_llSA_llS8_PT12_llPT13_lli.has_recursion, 0
	.set _ZN12_GLOBAL__N_135rocblas_gemm_batched_general_kernelI19rocblas_complex_numIdELi16ELi16ELi32ELi32ELi8ELi32ELi8ELi8ELi32ELc84ELc78EKPKS2_S5_KPS2_EEvlllT_PT11_llSA_llS8_PT12_llPT13_lli.has_indirect_call, 0
	.section	.AMDGPU.csdata,"",@progbits
; Kernel info:
; codeLenInByte = 3508
; TotalNumSgprs: 58
; NumVgprs: 68
; NumAgprs: 0
; TotalNumVgprs: 68
; ScratchSize: 0
; MemoryBound: 0
; FloatMode: 240
; IeeeMode: 1
; LDSByteSize: 8192 bytes/workgroup (compile time only)
; SGPRBlocks: 7
; VGPRBlocks: 8
; NumSGPRsForWavesPerEU: 58
; NumVGPRsForWavesPerEU: 68
; AccumOffset: 68
; Occupancy: 7
; WaveLimiterHint : 1
; COMPUTE_PGM_RSRC2:SCRATCH_EN: 0
; COMPUTE_PGM_RSRC2:USER_SGPR: 2
; COMPUTE_PGM_RSRC2:TRAP_HANDLER: 0
; COMPUTE_PGM_RSRC2:TGID_X_EN: 1
; COMPUTE_PGM_RSRC2:TGID_Y_EN: 1
; COMPUTE_PGM_RSRC2:TGID_Z_EN: 1
; COMPUTE_PGM_RSRC2:TIDIG_COMP_CNT: 1
; COMPUTE_PGM_RSRC3_GFX90A:ACCUM_OFFSET: 16
; COMPUTE_PGM_RSRC3_GFX90A:TG_SPLIT: 0
	.section	.text._ZN12_GLOBAL__N_135rocblas_gemm_batched_general_kernelI19rocblas_complex_numIdELi16ELi16ELi32ELi32ELi8ELi32ELi8ELi8ELi32ELc78ELc84EKPKS2_S5_KPS2_EEvlllT_PT11_llSA_llS8_PT12_llPT13_lli,"axG",@progbits,_ZN12_GLOBAL__N_135rocblas_gemm_batched_general_kernelI19rocblas_complex_numIdELi16ELi16ELi32ELi32ELi8ELi32ELi8ELi8ELi32ELc78ELc84EKPKS2_S5_KPS2_EEvlllT_PT11_llSA_llS8_PT12_llPT13_lli,comdat
	.globl	_ZN12_GLOBAL__N_135rocblas_gemm_batched_general_kernelI19rocblas_complex_numIdELi16ELi16ELi32ELi32ELi8ELi32ELi8ELi8ELi32ELc78ELc84EKPKS2_S5_KPS2_EEvlllT_PT11_llSA_llS8_PT12_llPT13_lli ; -- Begin function _ZN12_GLOBAL__N_135rocblas_gemm_batched_general_kernelI19rocblas_complex_numIdELi16ELi16ELi32ELi32ELi8ELi32ELi8ELi8ELi32ELc78ELc84EKPKS2_S5_KPS2_EEvlllT_PT11_llSA_llS8_PT12_llPT13_lli
	.p2align	8
	.type	_ZN12_GLOBAL__N_135rocblas_gemm_batched_general_kernelI19rocblas_complex_numIdELi16ELi16ELi32ELi32ELi8ELi32ELi8ELi8ELi32ELc78ELc84EKPKS2_S5_KPS2_EEvlllT_PT11_llSA_llS8_PT12_llPT13_lli,@function
_ZN12_GLOBAL__N_135rocblas_gemm_batched_general_kernelI19rocblas_complex_numIdELi16ELi16ELi32ELi32ELi8ELi32ELi8ELi8ELi32ELc78ELc84EKPKS2_S5_KPS2_EEvlllT_PT11_llSA_llS8_PT12_llPT13_lli: ; @_ZN12_GLOBAL__N_135rocblas_gemm_batched_general_kernelI19rocblas_complex_numIdELi16ELi16ELi32ELi32ELi8ELi32ELi8ELi8ELi32ELc78ELc84EKPKS2_S5_KPS2_EEvlllT_PT11_llSA_llS8_PT12_llPT13_lli
; %bb.0:
	s_load_dwordx16 s[36:51], s[0:1], 0x0
	s_load_dwordx16 s[8:23], s[0:1], 0x40
	s_load_dwordx2 s[28:29], s[0:1], 0x90
	s_load_dwordx4 s[24:27], s[0:1], 0x80
	s_mov_b32 s5, 0
	s_lshl_b64 s[0:1], s[4:5], 3
	s_waitcnt lgkmcnt(0)
	s_add_u32 s4, s18, s0
	s_addc_u32 s5, s19, s1
	s_load_dwordx2 s[6:7], s[4:5], 0x0
	s_add_u32 s4, s24, s0
	s_addc_u32 s5, s25, s1
	s_load_dwordx2 s[4:5], s[4:5], 0x0
	s_mov_b32 s30, s3
	v_mov_b32_e32 v1, 0
	s_ashr_i32 s3, s2, 31
	s_ashr_i32 s31, s30, 31
	v_cmp_lt_i64_e64 s[34:35], s[40:41], 1
	v_and_b32_e32 v2, 0x3ff, v0
	v_bfe_u32 v0, v0, 10, 10
	v_mov_b32_e32 v3, v1
	s_lshl_b64 s[18:19], s[2:3], 5
	s_lshl_b64 s[24:25], s[30:31], 5
	s_and_b64 vcc, exec, s[34:35]
	s_cbranch_vccnz .LBB283_11
; %bb.1:
	s_add_u32 s8, s8, s0
	v_lshl_add_u32 v12, v0, 4, v2
	s_addc_u32 s9, s9, s1
	s_add_u32 s0, s46, s0
	v_lshrrev_b32_e32 v8, 3, v12
	v_mov_b32_e32 v9, v1
	v_and_b32_e32 v6, 7, v2
	s_addc_u32 s1, s47, s1
	v_lshl_add_u64 v[10:11], v[8:9], 0, s[24:25]
	v_and_b32_e32 v9, 31, v12
	v_lshrrev_b32_e32 v4, 5, v12
	s_load_dwordx2 s[34:35], s[0:1], 0x0
	v_or_b32_e32 v12, s18, v9
	v_mov_b32_e32 v13, s19
	v_cmp_gt_i64_e64 s[0:1], s[38:39], v[10:11]
	v_mad_u64_u32 v[10:11], s[46:47], s10, v6, 0
	s_load_dwordx2 s[8:9], s[8:9], 0x0
	v_cmp_gt_i64_e32 vcc, s[36:37], v[12:13]
	v_lshlrev_b32_e32 v12, 4, v9
	v_lshlrev_b32_e32 v9, 4, v6
	v_mov_b32_e32 v14, v11
	s_lshl_b64 s[30:31], s[30:31], 9
	s_lshl_b64 s[12:13], s[12:13], 4
	v_lshl_or_b32 v9, v8, 7, v9
	v_mad_u64_u32 v[14:15], s[46:47], s11, v6, v[14:15]
	s_add_u32 s12, s12, s30
	v_add_u32_e32 v31, 0x1000, v9
	v_mov_b32_e32 v9, 0x1000
	v_mov_b32_e32 v11, v14
	s_addc_u32 s13, s13, s31
	v_lshl_add_u32 v33, v0, 7, v9
	v_lshl_add_u64 v[10:11], v[10:11], 4, s[12:13]
	v_lshlrev_b32_e32 v8, 4, v8
	v_mov_b32_e32 v9, v1
	v_lshl_add_u64 v[8:9], v[10:11], 0, v[8:9]
	s_waitcnt lgkmcnt(0)
	v_lshl_add_u64 v[8:9], s[8:9], 0, v[8:9]
	s_lshl_b64 s[8:9], s[10:11], 7
	v_mad_u64_u32 v[10:11], s[10:11], s48, v4, 0
	v_mov_b32_e32 v14, v11
	v_mad_u64_u32 v[14:15], s[10:11], s49, v4, v[14:15]
	s_lshl_b64 s[2:3], s[2:3], 9
	s_lshl_b64 s[10:11], s[50:51], 4
	s_add_u32 s2, s10, s2
	v_mov_b32_e32 v11, v14
	s_addc_u32 s3, s11, s3
	v_lshl_add_u64 v[10:11], v[10:11], 4, s[2:3]
	v_mov_b32_e32 v13, v1
	v_lshl_add_u64 v[10:11], v[10:11], 0, v[12:13]
	v_mov_b32_e32 v5, v1
	v_mov_b32_e32 v7, v1
	v_lshl_or_b32 v30, v4, 9, v12
	v_lshlrev_b32_e32 v32, 4, v2
	v_lshl_add_u64 v[10:11], s[34:35], 0, v[10:11]
	s_lshl_b64 s[2:3], s[48:49], 7
	s_mov_b64 s[10:11], 0
	v_mov_b64_e32 v[14:15], 0
	s_xor_b64 s[12:13], vcc, -1
	s_xor_b64 s[0:1], s[0:1], -1
	v_mov_b64_e32 v[12:13], s[40:41]
	v_mov_b32_e32 v34, v1
	v_mov_b32_e32 v35, v1
	;; [unrolled: 1-line block ×4, first 2 shown]
	v_mov_b64_e32 v[16:17], 0
	v_mov_b64_e32 v[20:21], 0
	;; [unrolled: 1-line block ×7, first 2 shown]
	s_branch .LBB283_3
.LBB283_2:                              ;   in Loop: Header=BB283_3 Depth=1
	s_or_b64 exec, exec, s[30:31]
	s_waitcnt lgkmcnt(0)
	s_barrier
	ds_read_b128 v[38:41], v32
	ds_read_b128 v[42:45], v33
	ds_read_b128 v[46:49], v33 offset:16
	ds_read_b128 v[50:53], v33 offset:32
	ds_read_b128 v[54:57], v33 offset:48
	ds_read_b128 v[58:61], v32 offset:256
	s_waitcnt lgkmcnt(4)
	v_mul_f64 v[62:63], v[44:45], v[40:41]
	v_fma_f64 v[62:63], v[42:43], v[38:39], -v[62:63]
	v_mul_f64 v[64:65], v[42:43], v[40:41]
	v_fmac_f64_e32 v[64:65], v[44:45], v[38:39]
	v_add_f64 v[62:63], v[26:27], v[62:63]
	s_waitcnt lgkmcnt(0)
	v_mul_f64 v[26:27], v[44:45], v[60:61]
	v_add_f64 v[64:65], v[64:65], v[28:29]
	v_fma_f64 v[66:67], v[42:43], v[58:59], -v[26:27]
	ds_read_b128 v[26:29], v33 offset:2048
	v_mul_f64 v[42:43], v[42:43], v[60:61]
	v_fmac_f64_e32 v[42:43], v[44:45], v[58:59]
	v_add_f64 v[44:45], v[22:23], v[66:67]
	v_add_f64 v[42:43], v[42:43], v[24:25]
	ds_read_b128 v[22:25], v33 offset:2064
	s_waitcnt lgkmcnt(1)
	v_mul_f64 v[66:67], v[28:29], v[40:41]
	v_fma_f64 v[66:67], v[26:27], v[38:39], -v[66:67]
	v_mul_f64 v[40:41], v[26:27], v[40:41]
	v_fmac_f64_e32 v[40:41], v[28:29], v[38:39]
	v_add_f64 v[38:39], v[18:19], v[66:67]
	v_mul_f64 v[18:19], v[28:29], v[60:61]
	v_add_f64 v[40:41], v[40:41], v[20:21]
	v_fma_f64 v[66:67], v[26:27], v[58:59], -v[18:19]
	v_mul_f64 v[26:27], v[26:27], v[60:61]
	ds_read_b128 v[18:21], v32 offset:512
	v_fmac_f64_e32 v[26:27], v[28:29], v[58:59]
	v_add_f64 v[28:29], v[16:17], v[66:67]
	v_add_f64 v[26:27], v[26:27], v[14:15]
	ds_read_b128 v[14:17], v32 offset:768
	s_waitcnt lgkmcnt(1)
	v_mul_f64 v[58:59], v[48:49], v[20:21]
	v_fma_f64 v[58:59], v[46:47], v[18:19], -v[58:59]
	v_add_f64 v[58:59], v[62:63], v[58:59]
	v_mul_f64 v[60:61], v[46:47], v[20:21]
	s_waitcnt lgkmcnt(0)
	v_mul_f64 v[62:63], v[48:49], v[16:17]
	v_fma_f64 v[62:63], v[46:47], v[14:15], -v[62:63]
	v_mul_f64 v[46:47], v[46:47], v[16:17]
	v_fmac_f64_e32 v[46:47], v[48:49], v[14:15]
	v_add_f64 v[42:43], v[46:47], v[42:43]
	v_mul_f64 v[46:47], v[24:25], v[20:21]
	v_mul_f64 v[20:21], v[22:23], v[20:21]
	v_fmac_f64_e32 v[60:61], v[48:49], v[18:19]
	v_fma_f64 v[46:47], v[22:23], v[18:19], -v[46:47]
	v_fmac_f64_e32 v[20:21], v[24:25], v[18:19]
	v_mul_f64 v[18:19], v[24:25], v[16:17]
	v_add_f64 v[48:49], v[20:21], v[40:41]
	v_fma_f64 v[20:21], v[22:23], v[14:15], -v[18:19]
	v_mul_f64 v[22:23], v[22:23], v[16:17]
	ds_read_b128 v[16:19], v32 offset:1024
	v_fmac_f64_e32 v[22:23], v[24:25], v[14:15]
	v_add_f64 v[44:45], v[44:45], v[62:63]
	v_add_f64 v[28:29], v[28:29], v[20:21]
	;; [unrolled: 1-line block ×3, first 2 shown]
	ds_read_b128 v[20:23], v32 offset:1280
	s_waitcnt lgkmcnt(1)
	v_mul_f64 v[24:25], v[50:51], v[18:19]
	v_add_f64 v[60:61], v[60:61], v[64:65]
	v_fmac_f64_e32 v[24:25], v[52:53], v[16:17]
	v_add_f64 v[60:61], v[24:25], v[60:61]
	ds_read_b128 v[24:27], v33 offset:2080
	v_mul_f64 v[14:15], v[52:53], v[18:19]
	v_fma_f64 v[14:15], v[50:51], v[16:17], -v[14:15]
	v_add_f64 v[46:47], v[38:39], v[46:47]
	v_add_f64 v[58:59], v[58:59], v[14:15]
	s_waitcnt lgkmcnt(1)
	v_mul_f64 v[14:15], v[52:53], v[22:23]
	v_mul_f64 v[38:39], v[50:51], v[22:23]
	v_fma_f64 v[14:15], v[50:51], v[20:21], -v[14:15]
	v_fmac_f64_e32 v[38:39], v[52:53], v[20:21]
	v_add_f64 v[44:45], v[44:45], v[14:15]
	v_add_f64 v[42:43], v[38:39], v[42:43]
	ds_read_b128 v[38:41], v33 offset:2096
	s_waitcnt lgkmcnt(1)
	v_mul_f64 v[14:15], v[26:27], v[18:19]
	v_fma_f64 v[14:15], v[24:25], v[16:17], -v[14:15]
	v_mul_f64 v[18:19], v[24:25], v[18:19]
	v_fmac_f64_e32 v[18:19], v[26:27], v[16:17]
	v_add_f64 v[46:47], v[46:47], v[14:15]
	v_mul_f64 v[14:15], v[26:27], v[22:23]
	v_add_f64 v[48:49], v[18:19], v[48:49]
	v_fma_f64 v[18:19], v[24:25], v[20:21], -v[14:15]
	ds_read_b128 v[14:17], v32 offset:1536
	v_mul_f64 v[22:23], v[24:25], v[22:23]
	v_fmac_f64_e32 v[22:23], v[26:27], v[20:21]
	v_add_f64 v[24:25], v[28:29], v[18:19]
	ds_read_b128 v[18:21], v32 offset:1792
	s_waitcnt lgkmcnt(1)
	v_mul_f64 v[26:27], v[56:57], v[16:17]
	v_fma_f64 v[26:27], v[54:55], v[14:15], -v[26:27]
	v_mul_f64 v[28:29], v[54:55], v[16:17]
	v_fmac_f64_e32 v[28:29], v[56:57], v[14:15]
	v_add_f64 v[50:51], v[58:59], v[26:27]
	s_waitcnt lgkmcnt(0)
	v_mul_f64 v[26:27], v[56:57], v[20:21]
	v_add_f64 v[52:53], v[28:29], v[60:61]
	v_fma_f64 v[26:27], v[54:55], v[18:19], -v[26:27]
	v_mul_f64 v[28:29], v[54:55], v[20:21]
	v_fmac_f64_e32 v[28:29], v[56:57], v[18:19]
	v_add_f64 v[44:45], v[44:45], v[26:27]
	v_mul_f64 v[26:27], v[40:41], v[16:17]
	v_mul_f64 v[16:17], v[38:39], v[16:17]
	v_add_f64 v[42:43], v[28:29], v[42:43]
	v_fma_f64 v[26:27], v[38:39], v[14:15], -v[26:27]
	v_fmac_f64_e32 v[16:17], v[40:41], v[14:15]
	v_mul_f64 v[14:15], v[40:41], v[20:21]
	v_mul_f64 v[28:29], v[38:39], v[20:21]
	v_add_f64 v[46:47], v[46:47], v[26:27]
	v_add_f64 v[48:49], v[16:17], v[48:49]
	v_fma_f64 v[26:27], v[38:39], v[18:19], -v[14:15]
	v_fmac_f64_e32 v[28:29], v[40:41], v[18:19]
	ds_read_b128 v[14:17], v33 offset:64
	ds_read_b128 v[18:21], v32 offset:2048
	v_add_f64 v[22:23], v[22:23], v[62:63]
	v_add_f64 v[54:55], v[24:25], v[26:27]
	v_add_f64 v[56:57], v[28:29], v[22:23]
	ds_read_b128 v[22:25], v32 offset:2304
	ds_read_b128 v[26:29], v33 offset:80
	s_waitcnt lgkmcnt(2)
	v_mul_f64 v[38:39], v[16:17], v[20:21]
	v_fma_f64 v[38:39], v[14:15], v[18:19], -v[38:39]
	v_mul_f64 v[40:41], v[14:15], v[20:21]
	v_fmac_f64_e32 v[40:41], v[16:17], v[18:19]
	v_add_f64 v[50:51], v[50:51], v[38:39]
	s_waitcnt lgkmcnt(1)
	v_mul_f64 v[38:39], v[16:17], v[24:25]
	v_add_f64 v[52:53], v[40:41], v[52:53]
	v_fma_f64 v[58:59], v[14:15], v[22:23], -v[38:39]
	ds_read_b128 v[38:41], v33 offset:2112
	v_mul_f64 v[14:15], v[14:15], v[24:25]
	v_fmac_f64_e32 v[14:15], v[16:17], v[22:23]
	v_add_f64 v[44:45], v[44:45], v[58:59]
	v_add_f64 v[42:43], v[14:15], v[42:43]
	ds_read_b128 v[14:17], v33 offset:2128
	s_waitcnt lgkmcnt(1)
	v_mul_f64 v[58:59], v[40:41], v[20:21]
	v_mul_f64 v[20:21], v[38:39], v[20:21]
	v_fma_f64 v[58:59], v[38:39], v[18:19], -v[58:59]
	v_fmac_f64_e32 v[20:21], v[40:41], v[18:19]
	v_mul_f64 v[18:19], v[40:41], v[24:25]
	v_add_f64 v[46:47], v[46:47], v[58:59]
	v_add_f64 v[48:49], v[20:21], v[48:49]
	v_fma_f64 v[58:59], v[38:39], v[22:23], -v[18:19]
	v_mul_f64 v[24:25], v[38:39], v[24:25]
	ds_read_b128 v[18:21], v32 offset:2560
	v_fmac_f64_e32 v[24:25], v[40:41], v[22:23]
	v_add_f64 v[40:41], v[24:25], v[56:57]
	ds_read_b128 v[22:25], v32 offset:2816
	v_add_f64 v[38:39], v[54:55], v[58:59]
	s_waitcnt lgkmcnt(1)
	v_mul_f64 v[54:55], v[28:29], v[20:21]
	v_fma_f64 v[54:55], v[26:27], v[18:19], -v[54:55]
	v_add_f64 v[50:51], v[50:51], v[54:55]
	s_waitcnt lgkmcnt(0)
	v_mul_f64 v[54:55], v[28:29], v[24:25]
	v_mul_f64 v[56:57], v[26:27], v[20:21]
	v_fma_f64 v[54:55], v[26:27], v[22:23], -v[54:55]
	v_mul_f64 v[26:27], v[26:27], v[24:25]
	v_fmac_f64_e32 v[26:27], v[28:29], v[22:23]
	v_add_f64 v[42:43], v[26:27], v[42:43]
	v_mul_f64 v[26:27], v[16:17], v[20:21]
	v_mul_f64 v[20:21], v[14:15], v[20:21]
	v_fmac_f64_e32 v[56:57], v[28:29], v[18:19]
	v_fma_f64 v[26:27], v[14:15], v[18:19], -v[26:27]
	v_fmac_f64_e32 v[20:21], v[16:17], v[18:19]
	v_mul_f64 v[18:19], v[16:17], v[24:25]
	v_mul_f64 v[24:25], v[14:15], v[24:25]
	v_add_f64 v[46:47], v[46:47], v[26:27]
	v_add_f64 v[48:49], v[20:21], v[48:49]
	v_fma_f64 v[26:27], v[14:15], v[22:23], -v[18:19]
	v_fmac_f64_e32 v[24:25], v[16:17], v[22:23]
	ds_read_b128 v[14:17], v33 offset:96
	ds_read_b128 v[18:21], v32 offset:3072
	v_add_f64 v[52:53], v[56:57], v[52:53]
	v_add_f64 v[44:45], v[44:45], v[54:55]
	;; [unrolled: 1-line block ×4, first 2 shown]
	ds_read_b128 v[22:25], v32 offset:3328
	ds_read_b128 v[38:41], v33 offset:112
	s_waitcnt lgkmcnt(2)
	v_mul_f64 v[26:27], v[16:17], v[20:21]
	v_fma_f64 v[26:27], v[14:15], v[18:19], -v[26:27]
	v_mul_f64 v[28:29], v[14:15], v[20:21]
	v_fmac_f64_e32 v[28:29], v[16:17], v[18:19]
	v_add_f64 v[50:51], v[50:51], v[26:27]
	s_waitcnt lgkmcnt(1)
	v_mul_f64 v[26:27], v[16:17], v[24:25]
	v_add_f64 v[52:53], v[28:29], v[52:53]
	v_fma_f64 v[58:59], v[14:15], v[22:23], -v[26:27]
	ds_read_b128 v[26:29], v33 offset:2144
	v_mul_f64 v[14:15], v[14:15], v[24:25]
	v_fmac_f64_e32 v[14:15], v[16:17], v[22:23]
	v_add_f64 v[60:61], v[14:15], v[42:43]
	ds_read_b128 v[14:17], v33 offset:2160
	s_waitcnt lgkmcnt(1)
	v_mul_f64 v[42:43], v[28:29], v[20:21]
	v_mul_f64 v[20:21], v[26:27], v[20:21]
	v_fma_f64 v[42:43], v[26:27], v[18:19], -v[42:43]
	v_fmac_f64_e32 v[20:21], v[28:29], v[18:19]
	v_mul_f64 v[18:19], v[28:29], v[24:25]
	v_add_f64 v[46:47], v[46:47], v[42:43]
	v_add_f64 v[48:49], v[20:21], v[48:49]
	v_fma_f64 v[42:43], v[26:27], v[22:23], -v[18:19]
	ds_read_b128 v[18:21], v32 offset:3584
	v_add_f64 v[58:59], v[44:45], v[58:59]
	v_add_f64 v[54:55], v[54:55], v[42:43]
	ds_read_b128 v[42:45], v32 offset:3840
	v_mul_f64 v[24:25], v[26:27], v[24:25]
	v_fmac_f64_e32 v[24:25], v[28:29], v[22:23]
	s_waitcnt lgkmcnt(1)
	v_mul_f64 v[22:23], v[40:41], v[20:21]
	v_add_f64 v[56:57], v[24:25], v[56:57]
	v_fma_f64 v[22:23], v[38:39], v[18:19], -v[22:23]
	v_mul_f64 v[24:25], v[38:39], v[20:21]
	v_fmac_f64_e32 v[24:25], v[40:41], v[18:19]
	v_add_f64 v[26:27], v[50:51], v[22:23]
	s_waitcnt lgkmcnt(0)
	v_mul_f64 v[22:23], v[40:41], v[44:45]
	v_add_f64 v[28:29], v[24:25], v[52:53]
	v_fma_f64 v[22:23], v[38:39], v[42:43], -v[22:23]
	v_mul_f64 v[24:25], v[38:39], v[44:45]
	v_mul_f64 v[38:39], v[16:17], v[20:21]
	v_fma_f64 v[38:39], v[14:15], v[18:19], -v[38:39]
	v_mul_f64 v[20:21], v[14:15], v[20:21]
	v_fmac_f64_e32 v[20:21], v[16:17], v[18:19]
	v_add_f64 v[18:19], v[46:47], v[38:39]
	v_mul_f64 v[38:39], v[16:17], v[44:45]
	s_add_u32 s10, s10, 8
	v_fma_f64 v[38:39], v[14:15], v[42:43], -v[38:39]
	v_mul_f64 v[14:15], v[14:15], v[44:45]
	s_addc_u32 s11, s11, 0
	v_fmac_f64_e32 v[24:25], v[40:41], v[42:43]
	v_fmac_f64_e32 v[14:15], v[16:17], v[42:43]
	v_cmp_lt_i64_e32 vcc, s[10:11], v[12:13]
	v_add_f64 v[22:23], v[58:59], v[22:23]
	v_add_f64 v[24:25], v[24:25], v[60:61]
	;; [unrolled: 1-line block ×5, first 2 shown]
	v_lshl_add_u64 v[8:9], v[8:9], 0, s[8:9]
	v_lshl_add_u64 v[10:11], v[10:11], 0, s[2:3]
	s_barrier
	s_cbranch_vccz .LBB283_12
.LBB283_3:                              ; =>This Inner Loop Header: Depth=1
	v_lshl_add_u64 v[38:39], v[4:5], 0, s[10:11]
	v_cmp_le_i64_e32 vcc, s[40:41], v[38:39]
	s_or_b64 s[30:31], s[12:13], vcc
	s_and_saveexec_b64 s[34:35], s[30:31]
	s_xor_b64 s[30:31], exec, s[34:35]
; %bb.4:                                ;   in Loop: Header=BB283_3 Depth=1
	ds_write_b128 v30, v[34:37]
; %bb.5:                                ;   in Loop: Header=BB283_3 Depth=1
	s_andn2_saveexec_b64 s[30:31], s[30:31]
	s_cbranch_execz .LBB283_7
; %bb.6:                                ;   in Loop: Header=BB283_3 Depth=1
	flat_load_dwordx4 v[38:41], v[10:11]
	s_waitcnt vmcnt(0) lgkmcnt(0)
	ds_write2_b64 v30, v[38:39], v[40:41] offset1:1
.LBB283_7:                              ;   in Loop: Header=BB283_3 Depth=1
	s_or_b64 exec, exec, s[30:31]
	v_lshl_add_u64 v[38:39], v[6:7], 0, s[10:11]
	v_cmp_le_i64_e32 vcc, s[40:41], v[38:39]
	s_or_b64 s[30:31], vcc, s[0:1]
	s_and_saveexec_b64 s[34:35], s[30:31]
	s_xor_b64 s[30:31], exec, s[34:35]
; %bb.8:                                ;   in Loop: Header=BB283_3 Depth=1
	ds_write_b128 v31, v[34:37]
; %bb.9:                                ;   in Loop: Header=BB283_3 Depth=1
	s_andn2_saveexec_b64 s[30:31], s[30:31]
	s_cbranch_execz .LBB283_2
; %bb.10:                               ;   in Loop: Header=BB283_3 Depth=1
	flat_load_dwordx4 v[38:41], v[8:9]
	s_waitcnt vmcnt(0) lgkmcnt(0)
	ds_write2_b64 v31, v[38:39], v[40:41] offset1:1
	s_branch .LBB283_2
.LBB283_11:
	v_mov_b64_e32 v[26:27], 0
	v_mov_b64_e32 v[28:29], 0
	;; [unrolled: 1-line block ×8, first 2 shown]
.LBB283_12:
	s_lshl_b64 s[0:1], s[28:29], 4
	s_waitcnt lgkmcnt(0)
	s_add_u32 s8, s4, s0
	s_addc_u32 s9, s5, s1
	v_cmp_neq_f64_e64 s[0:1], s[14:15], 0
	v_cmp_neq_f64_e64 s[2:3], s[16:17], 0
	v_lshl_add_u64 v[0:1], s[24:25], 0, v[0:1]
	s_or_b64 s[4:5], s[0:1], s[2:3]
	v_cmp_gt_i64_e64 s[0:1], s[38:39], v[0:1]
	s_mov_b64 s[2:3], -1
	s_and_b64 vcc, exec, s[4:5]
	s_cbranch_vccnz .LBB283_24
; %bb.13:
	s_and_saveexec_b64 s[10:11], s[0:1]
	s_cbranch_execz .LBB283_23
; %bb.14:
	v_mul_lo_u32 v8, v1, s26
	v_mul_lo_u32 v9, v0, s27
	v_mad_u64_u32 v[6:7], s[2:3], v0, s26, 0
	v_add3_u32 v7, v7, v9, v8
	v_lshl_add_u64 v[4:5], s[18:19], 0, v[2:3]
	v_lshl_add_u64 v[6:7], v[6:7], 4, s[8:9]
	v_cmp_gt_i64_e32 vcc, s[36:37], v[4:5]
	v_lshl_add_u64 v[8:9], v[4:5], 4, v[6:7]
	s_and_saveexec_b64 s[2:3], vcc
	s_cbranch_execz .LBB283_16
; %bb.15:
	v_mul_f64 v[10:11], s[44:45], v[28:29]
	v_mul_f64 v[12:13], s[42:43], v[28:29]
	v_fma_f64 v[10:11], s[42:43], v[26:27], -v[10:11]
	v_fmac_f64_e32 v[12:13], s[44:45], v[26:27]
	flat_store_dwordx4 v[8:9], v[10:13]
.LBB283_16:
	s_or_b64 exec, exec, s[2:3]
	s_nop 0
	v_lshl_add_u64 v[10:11], v[4:5], 0, 16
	v_cmp_gt_i64_e64 s[2:3], s[36:37], v[10:11]
	s_and_saveexec_b64 s[4:5], s[2:3]
	s_cbranch_execz .LBB283_18
; %bb.17:
	v_mul_f64 v[10:11], s[44:45], v[24:25]
	v_mul_f64 v[12:13], s[42:43], v[24:25]
	v_fma_f64 v[10:11], s[42:43], v[22:23], -v[10:11]
	v_fmac_f64_e32 v[12:13], s[44:45], v[22:23]
	flat_store_dwordx4 v[8:9], v[10:13] offset:256
.LBB283_18:
	s_or_b64 exec, exec, s[4:5]
	v_lshl_add_u64 v[8:9], v[0:1], 0, 16
	v_cmp_gt_i64_e64 s[4:5], s[38:39], v[8:9]
	s_and_b64 exec, exec, s[4:5]
	s_cbranch_execz .LBB283_23
; %bb.19:
	s_lshl_b64 s[4:5], s[26:27], 8
	v_lshl_add_u64 v[6:7], v[6:7], 0, s[4:5]
	v_lshl_add_u64 v[4:5], v[4:5], 4, v[6:7]
	s_and_saveexec_b64 s[4:5], vcc
	s_cbranch_execz .LBB283_21
; %bb.20:
	v_mul_f64 v[6:7], s[44:45], v[20:21]
	v_mul_f64 v[8:9], s[42:43], v[20:21]
	v_fma_f64 v[6:7], s[42:43], v[18:19], -v[6:7]
	v_fmac_f64_e32 v[8:9], s[44:45], v[18:19]
	flat_store_dwordx4 v[4:5], v[6:9]
.LBB283_21:
	s_or_b64 exec, exec, s[4:5]
	s_and_b64 exec, exec, s[2:3]
	s_cbranch_execz .LBB283_23
; %bb.22:
	v_mul_f64 v[6:7], s[44:45], v[14:15]
	v_mul_f64 v[8:9], s[42:43], v[14:15]
	v_fma_f64 v[6:7], s[42:43], v[16:17], -v[6:7]
	v_fmac_f64_e32 v[8:9], s[44:45], v[16:17]
	flat_store_dwordx4 v[4:5], v[6:9] offset:256
.LBB283_23:
	s_or_b64 exec, exec, s[10:11]
	s_mov_b64 s[2:3], 0
.LBB283_24:
	s_andn2_b64 vcc, exec, s[2:3]
	s_cbranch_vccnz .LBB283_35
; %bb.25:
	s_and_saveexec_b64 s[2:3], s[0:1]
	s_cbranch_execz .LBB283_35
; %bb.26:
	s_lshl_b64 s[0:1], s[22:23], 4
	v_lshl_add_u64 v[8:9], s[18:19], 0, v[2:3]
	v_mul_lo_u32 v4, v1, s20
	v_mul_lo_u32 v5, v0, s21
	v_mad_u64_u32 v[2:3], s[2:3], v0, s20, 0
	s_add_u32 s0, s6, s0
	v_add3_u32 v3, v3, v5, v4
	v_mul_lo_u32 v6, v1, s26
	v_mul_lo_u32 v7, v0, s27
	v_mad_u64_u32 v[4:5], s[2:3], v0, s26, 0
	s_addc_u32 s1, s7, s1
	v_add3_u32 v5, v5, v7, v6
	v_cmp_gt_i64_e32 vcc, s[36:37], v[8:9]
	v_lshl_add_u64 v[6:7], v[2:3], 4, s[0:1]
	v_lshl_add_u64 v[4:5], v[4:5], 4, s[8:9]
	v_lshlrev_b64 v[2:3], 4, v[8:9]
	s_and_saveexec_b64 s[0:1], vcc
	s_cbranch_execz .LBB283_28
; %bb.27:
	v_lshl_add_u64 v[10:11], v[6:7], 0, v[2:3]
	flat_load_dwordx4 v[10:13], v[10:11]
	v_mul_f64 v[30:31], s[44:45], v[28:29]
	v_mul_f64 v[28:29], s[42:43], v[28:29]
	v_fma_f64 v[30:31], s[42:43], v[26:27], -v[30:31]
	v_fmac_f64_e32 v[28:29], s[44:45], v[26:27]
	s_waitcnt vmcnt(0) lgkmcnt(0)
	v_mul_f64 v[26:27], s[16:17], v[12:13]
	v_mul_f64 v[12:13], s[14:15], v[12:13]
	v_fma_f64 v[26:27], s[14:15], v[10:11], -v[26:27]
	v_fmac_f64_e32 v[12:13], s[16:17], v[10:11]
	v_add_f64 v[10:11], v[30:31], v[26:27]
	v_add_f64 v[12:13], v[28:29], v[12:13]
	v_lshl_add_u64 v[26:27], v[4:5], 0, v[2:3]
	flat_store_dwordx4 v[26:27], v[10:13]
.LBB283_28:
	s_or_b64 exec, exec, s[0:1]
	v_lshl_add_u64 v[8:9], v[8:9], 0, 16
	v_cmp_gt_i64_e64 s[0:1], s[36:37], v[8:9]
	s_and_saveexec_b64 s[2:3], s[0:1]
	s_cbranch_execz .LBB283_30
; %bb.29:
	v_lshl_add_u64 v[8:9], v[6:7], 0, v[2:3]
	flat_load_dwordx4 v[8:11], v[8:9] offset:256
	v_mul_f64 v[12:13], s[44:45], v[24:25]
	v_mul_f64 v[24:25], s[42:43], v[24:25]
	v_fma_f64 v[12:13], s[42:43], v[22:23], -v[12:13]
	v_fmac_f64_e32 v[24:25], s[44:45], v[22:23]
	s_waitcnt vmcnt(0) lgkmcnt(0)
	v_mul_f64 v[22:23], s[16:17], v[10:11]
	v_mul_f64 v[10:11], s[14:15], v[10:11]
	v_fma_f64 v[22:23], s[14:15], v[8:9], -v[22:23]
	v_fmac_f64_e32 v[10:11], s[16:17], v[8:9]
	v_add_f64 v[8:9], v[12:13], v[22:23]
	v_add_f64 v[10:11], v[24:25], v[10:11]
	v_lshl_add_u64 v[12:13], v[4:5], 0, v[2:3]
	flat_store_dwordx4 v[12:13], v[8:11] offset:256
.LBB283_30:
	s_or_b64 exec, exec, s[2:3]
	v_lshl_add_u64 v[0:1], v[0:1], 0, 16
	v_cmp_gt_i64_e64 s[2:3], s[38:39], v[0:1]
	s_and_b64 exec, exec, s[2:3]
	s_cbranch_execz .LBB283_35
; %bb.31:
	s_lshl_b64 s[2:3], s[20:21], 8
	v_lshl_add_u64 v[0:1], v[6:7], 0, s[2:3]
	s_lshl_b64 s[2:3], s[26:27], 8
	v_lshl_add_u64 v[6:7], v[4:5], 0, s[2:3]
	v_lshl_add_u64 v[4:5], v[0:1], 0, v[2:3]
	;; [unrolled: 1-line block ×3, first 2 shown]
	s_and_saveexec_b64 s[2:3], vcc
	s_cbranch_execz .LBB283_33
; %bb.32:
	flat_load_dwordx4 v[6:9], v[4:5]
	v_mul_f64 v[2:3], s[44:45], v[20:21]
	v_mul_f64 v[10:11], s[42:43], v[20:21]
	v_fma_f64 v[2:3], s[42:43], v[18:19], -v[2:3]
	v_fmac_f64_e32 v[10:11], s[44:45], v[18:19]
	s_waitcnt vmcnt(0) lgkmcnt(0)
	v_mul_f64 v[12:13], s[16:17], v[8:9]
	v_mul_f64 v[8:9], s[14:15], v[8:9]
	v_fma_f64 v[12:13], s[14:15], v[6:7], -v[12:13]
	v_fmac_f64_e32 v[8:9], s[16:17], v[6:7]
	v_add_f64 v[6:7], v[2:3], v[12:13]
	v_add_f64 v[8:9], v[10:11], v[8:9]
	flat_store_dwordx4 v[0:1], v[6:9]
.LBB283_33:
	s_or_b64 exec, exec, s[2:3]
	s_and_b64 exec, exec, s[0:1]
	s_cbranch_execz .LBB283_35
; %bb.34:
	flat_load_dwordx4 v[2:5], v[4:5] offset:256
	v_mul_f64 v[6:7], s[44:45], v[14:15]
	v_mul_f64 v[8:9], s[42:43], v[14:15]
	v_fma_f64 v[6:7], s[42:43], v[16:17], -v[6:7]
	v_fmac_f64_e32 v[8:9], s[44:45], v[16:17]
	s_waitcnt vmcnt(0) lgkmcnt(0)
	v_mul_f64 v[10:11], s[16:17], v[4:5]
	v_mul_f64 v[4:5], s[14:15], v[4:5]
	v_fma_f64 v[10:11], s[14:15], v[2:3], -v[10:11]
	v_fmac_f64_e32 v[4:5], s[16:17], v[2:3]
	v_add_f64 v[2:3], v[6:7], v[10:11]
	v_add_f64 v[4:5], v[8:9], v[4:5]
	flat_store_dwordx4 v[0:1], v[2:5] offset:256
.LBB283_35:
	s_endpgm
	.section	.rodata,"a",@progbits
	.p2align	6, 0x0
	.amdhsa_kernel _ZN12_GLOBAL__N_135rocblas_gemm_batched_general_kernelI19rocblas_complex_numIdELi16ELi16ELi32ELi32ELi8ELi32ELi8ELi8ELi32ELc78ELc84EKPKS2_S5_KPS2_EEvlllT_PT11_llSA_llS8_PT12_llPT13_lli
		.amdhsa_group_segment_fixed_size 8192
		.amdhsa_private_segment_fixed_size 0
		.amdhsa_kernarg_size 156
		.amdhsa_user_sgpr_count 2
		.amdhsa_user_sgpr_dispatch_ptr 0
		.amdhsa_user_sgpr_queue_ptr 0
		.amdhsa_user_sgpr_kernarg_segment_ptr 1
		.amdhsa_user_sgpr_dispatch_id 0
		.amdhsa_user_sgpr_kernarg_preload_length 0
		.amdhsa_user_sgpr_kernarg_preload_offset 0
		.amdhsa_user_sgpr_private_segment_size 0
		.amdhsa_uses_dynamic_stack 0
		.amdhsa_enable_private_segment 0
		.amdhsa_system_sgpr_workgroup_id_x 1
		.amdhsa_system_sgpr_workgroup_id_y 1
		.amdhsa_system_sgpr_workgroup_id_z 1
		.amdhsa_system_sgpr_workgroup_info 0
		.amdhsa_system_vgpr_workitem_id 1
		.amdhsa_next_free_vgpr 68
		.amdhsa_next_free_sgpr 52
		.amdhsa_accum_offset 68
		.amdhsa_reserve_vcc 1
		.amdhsa_float_round_mode_32 0
		.amdhsa_float_round_mode_16_64 0
		.amdhsa_float_denorm_mode_32 3
		.amdhsa_float_denorm_mode_16_64 3
		.amdhsa_dx10_clamp 1
		.amdhsa_ieee_mode 1
		.amdhsa_fp16_overflow 0
		.amdhsa_tg_split 0
		.amdhsa_exception_fp_ieee_invalid_op 0
		.amdhsa_exception_fp_denorm_src 0
		.amdhsa_exception_fp_ieee_div_zero 0
		.amdhsa_exception_fp_ieee_overflow 0
		.amdhsa_exception_fp_ieee_underflow 0
		.amdhsa_exception_fp_ieee_inexact 0
		.amdhsa_exception_int_div_zero 0
	.end_amdhsa_kernel
	.section	.text._ZN12_GLOBAL__N_135rocblas_gemm_batched_general_kernelI19rocblas_complex_numIdELi16ELi16ELi32ELi32ELi8ELi32ELi8ELi8ELi32ELc78ELc84EKPKS2_S5_KPS2_EEvlllT_PT11_llSA_llS8_PT12_llPT13_lli,"axG",@progbits,_ZN12_GLOBAL__N_135rocblas_gemm_batched_general_kernelI19rocblas_complex_numIdELi16ELi16ELi32ELi32ELi8ELi32ELi8ELi8ELi32ELc78ELc84EKPKS2_S5_KPS2_EEvlllT_PT11_llSA_llS8_PT12_llPT13_lli,comdat
.Lfunc_end283:
	.size	_ZN12_GLOBAL__N_135rocblas_gemm_batched_general_kernelI19rocblas_complex_numIdELi16ELi16ELi32ELi32ELi8ELi32ELi8ELi8ELi32ELc78ELc84EKPKS2_S5_KPS2_EEvlllT_PT11_llSA_llS8_PT12_llPT13_lli, .Lfunc_end283-_ZN12_GLOBAL__N_135rocblas_gemm_batched_general_kernelI19rocblas_complex_numIdELi16ELi16ELi32ELi32ELi8ELi32ELi8ELi8ELi32ELc78ELc84EKPKS2_S5_KPS2_EEvlllT_PT11_llSA_llS8_PT12_llPT13_lli
                                        ; -- End function
	.set _ZN12_GLOBAL__N_135rocblas_gemm_batched_general_kernelI19rocblas_complex_numIdELi16ELi16ELi32ELi32ELi8ELi32ELi8ELi8ELi32ELc78ELc84EKPKS2_S5_KPS2_EEvlllT_PT11_llSA_llS8_PT12_llPT13_lli.num_vgpr, 68
	.set _ZN12_GLOBAL__N_135rocblas_gemm_batched_general_kernelI19rocblas_complex_numIdELi16ELi16ELi32ELi32ELi8ELi32ELi8ELi8ELi32ELc78ELc84EKPKS2_S5_KPS2_EEvlllT_PT11_llSA_llS8_PT12_llPT13_lli.num_agpr, 0
	.set _ZN12_GLOBAL__N_135rocblas_gemm_batched_general_kernelI19rocblas_complex_numIdELi16ELi16ELi32ELi32ELi8ELi32ELi8ELi8ELi32ELc78ELc84EKPKS2_S5_KPS2_EEvlllT_PT11_llSA_llS8_PT12_llPT13_lli.numbered_sgpr, 52
	.set _ZN12_GLOBAL__N_135rocblas_gemm_batched_general_kernelI19rocblas_complex_numIdELi16ELi16ELi32ELi32ELi8ELi32ELi8ELi8ELi32ELc78ELc84EKPKS2_S5_KPS2_EEvlllT_PT11_llSA_llS8_PT12_llPT13_lli.num_named_barrier, 0
	.set _ZN12_GLOBAL__N_135rocblas_gemm_batched_general_kernelI19rocblas_complex_numIdELi16ELi16ELi32ELi32ELi8ELi32ELi8ELi8ELi32ELc78ELc84EKPKS2_S5_KPS2_EEvlllT_PT11_llSA_llS8_PT12_llPT13_lli.private_seg_size, 0
	.set _ZN12_GLOBAL__N_135rocblas_gemm_batched_general_kernelI19rocblas_complex_numIdELi16ELi16ELi32ELi32ELi8ELi32ELi8ELi8ELi32ELc78ELc84EKPKS2_S5_KPS2_EEvlllT_PT11_llSA_llS8_PT12_llPT13_lli.uses_vcc, 1
	.set _ZN12_GLOBAL__N_135rocblas_gemm_batched_general_kernelI19rocblas_complex_numIdELi16ELi16ELi32ELi32ELi8ELi32ELi8ELi8ELi32ELc78ELc84EKPKS2_S5_KPS2_EEvlllT_PT11_llSA_llS8_PT12_llPT13_lli.uses_flat_scratch, 0
	.set _ZN12_GLOBAL__N_135rocblas_gemm_batched_general_kernelI19rocblas_complex_numIdELi16ELi16ELi32ELi32ELi8ELi32ELi8ELi8ELi32ELc78ELc84EKPKS2_S5_KPS2_EEvlllT_PT11_llSA_llS8_PT12_llPT13_lli.has_dyn_sized_stack, 0
	.set _ZN12_GLOBAL__N_135rocblas_gemm_batched_general_kernelI19rocblas_complex_numIdELi16ELi16ELi32ELi32ELi8ELi32ELi8ELi8ELi32ELc78ELc84EKPKS2_S5_KPS2_EEvlllT_PT11_llSA_llS8_PT12_llPT13_lli.has_recursion, 0
	.set _ZN12_GLOBAL__N_135rocblas_gemm_batched_general_kernelI19rocblas_complex_numIdELi16ELi16ELi32ELi32ELi8ELi32ELi8ELi8ELi32ELc78ELc84EKPKS2_S5_KPS2_EEvlllT_PT11_llSA_llS8_PT12_llPT13_lli.has_indirect_call, 0
	.section	.AMDGPU.csdata,"",@progbits
; Kernel info:
; codeLenInByte = 3504
; TotalNumSgprs: 58
; NumVgprs: 68
; NumAgprs: 0
; TotalNumVgprs: 68
; ScratchSize: 0
; MemoryBound: 0
; FloatMode: 240
; IeeeMode: 1
; LDSByteSize: 8192 bytes/workgroup (compile time only)
; SGPRBlocks: 7
; VGPRBlocks: 8
; NumSGPRsForWavesPerEU: 58
; NumVGPRsForWavesPerEU: 68
; AccumOffset: 68
; Occupancy: 7
; WaveLimiterHint : 1
; COMPUTE_PGM_RSRC2:SCRATCH_EN: 0
; COMPUTE_PGM_RSRC2:USER_SGPR: 2
; COMPUTE_PGM_RSRC2:TRAP_HANDLER: 0
; COMPUTE_PGM_RSRC2:TGID_X_EN: 1
; COMPUTE_PGM_RSRC2:TGID_Y_EN: 1
; COMPUTE_PGM_RSRC2:TGID_Z_EN: 1
; COMPUTE_PGM_RSRC2:TIDIG_COMP_CNT: 1
; COMPUTE_PGM_RSRC3_GFX90A:ACCUM_OFFSET: 16
; COMPUTE_PGM_RSRC3_GFX90A:TG_SPLIT: 0
	.section	.text._ZN12_GLOBAL__N_135rocblas_gemm_batched_general_kernelI19rocblas_complex_numIdELi16ELi16ELi32ELi32ELi8ELi32ELi8ELi8ELi32ELc84ELc84EKPKS2_S5_KPS2_EEvlllT_PT11_llSA_llS8_PT12_llPT13_lli,"axG",@progbits,_ZN12_GLOBAL__N_135rocblas_gemm_batched_general_kernelI19rocblas_complex_numIdELi16ELi16ELi32ELi32ELi8ELi32ELi8ELi8ELi32ELc84ELc84EKPKS2_S5_KPS2_EEvlllT_PT11_llSA_llS8_PT12_llPT13_lli,comdat
	.globl	_ZN12_GLOBAL__N_135rocblas_gemm_batched_general_kernelI19rocblas_complex_numIdELi16ELi16ELi32ELi32ELi8ELi32ELi8ELi8ELi32ELc84ELc84EKPKS2_S5_KPS2_EEvlllT_PT11_llSA_llS8_PT12_llPT13_lli ; -- Begin function _ZN12_GLOBAL__N_135rocblas_gemm_batched_general_kernelI19rocblas_complex_numIdELi16ELi16ELi32ELi32ELi8ELi32ELi8ELi8ELi32ELc84ELc84EKPKS2_S5_KPS2_EEvlllT_PT11_llSA_llS8_PT12_llPT13_lli
	.p2align	8
	.type	_ZN12_GLOBAL__N_135rocblas_gemm_batched_general_kernelI19rocblas_complex_numIdELi16ELi16ELi32ELi32ELi8ELi32ELi8ELi8ELi32ELc84ELc84EKPKS2_S5_KPS2_EEvlllT_PT11_llSA_llS8_PT12_llPT13_lli,@function
_ZN12_GLOBAL__N_135rocblas_gemm_batched_general_kernelI19rocblas_complex_numIdELi16ELi16ELi32ELi32ELi8ELi32ELi8ELi8ELi32ELc84ELc84EKPKS2_S5_KPS2_EEvlllT_PT11_llSA_llS8_PT12_llPT13_lli: ; @_ZN12_GLOBAL__N_135rocblas_gemm_batched_general_kernelI19rocblas_complex_numIdELi16ELi16ELi32ELi32ELi8ELi32ELi8ELi8ELi32ELc84ELc84EKPKS2_S5_KPS2_EEvlllT_PT11_llSA_llS8_PT12_llPT13_lli
; %bb.0:
	s_load_dwordx16 s[36:51], s[0:1], 0x0
	s_load_dwordx16 s[8:23], s[0:1], 0x40
	s_load_dwordx2 s[28:29], s[0:1], 0x90
	s_load_dwordx4 s[24:27], s[0:1], 0x80
	s_mov_b32 s5, 0
	s_lshl_b64 s[0:1], s[4:5], 3
	s_waitcnt lgkmcnt(0)
	s_add_u32 s4, s18, s0
	s_addc_u32 s5, s19, s1
	s_load_dwordx2 s[6:7], s[4:5], 0x0
	s_add_u32 s4, s24, s0
	s_addc_u32 s5, s25, s1
	s_load_dwordx2 s[4:5], s[4:5], 0x0
	s_mov_b32 s30, s3
	v_mov_b32_e32 v1, 0
	s_ashr_i32 s3, s2, 31
	s_ashr_i32 s31, s30, 31
	v_cmp_lt_i64_e64 s[24:25], s[40:41], 1
	v_and_b32_e32 v2, 0x3ff, v0
	v_bfe_u32 v0, v0, 10, 10
	v_mov_b32_e32 v3, v1
	s_lshl_b64 s[18:19], s[2:3], 5
	s_lshl_b64 s[2:3], s[30:31], 5
	s_and_b64 vcc, exec, s[24:25]
	s_cbranch_vccnz .LBB284_11
; %bb.1:
	s_add_u32 s8, s8, s0
	v_lshl_add_u32 v12, v0, 4, v2
	s_addc_u32 s9, s9, s1
	s_add_u32 s0, s46, s0
	v_lshrrev_b32_e32 v8, 3, v12
	v_mov_b32_e32 v9, v1
	v_lshrrev_b32_e32 v4, 5, v12
	v_and_b32_e32 v6, 7, v2
	s_addc_u32 s1, s47, s1
	v_lshl_add_u64 v[10:11], v[8:9], 0, s[2:3]
	v_and_b32_e32 v12, 31, v12
	s_load_dwordx2 s[24:25], s[0:1], 0x0
	v_or_b32_e32 v14, s18, v12
	v_mov_b32_e32 v15, s19
	v_lshlrev_b32_e32 v9, 4, v12
	v_cmp_gt_i64_e64 s[0:1], s[38:39], v[10:11]
	v_mad_u64_u32 v[10:11], s[34:35], s10, v6, 0
	s_load_dwordx2 s[8:9], s[8:9], 0x0
	v_cmp_gt_i64_e32 vcc, s[36:37], v[14:15]
	v_lshl_or_b32 v30, v4, 9, v9
	v_lshlrev_b32_e32 v9, 4, v6
	v_mov_b32_e32 v14, v11
	s_lshl_b64 s[30:31], s[30:31], 9
	s_lshl_b64 s[12:13], s[12:13], 4
	v_lshl_or_b32 v9, v8, 7, v9
	v_mad_u64_u32 v[14:15], s[34:35], s11, v6, v[14:15]
	s_add_u32 s12, s12, s30
	v_add_u32_e32 v31, 0x1000, v9
	v_mov_b32_e32 v9, 0x1000
	v_mov_b32_e32 v11, v14
	s_addc_u32 s13, s13, s31
	v_mov_b32_e32 v13, v1
	v_lshl_add_u32 v33, v0, 7, v9
	v_lshl_add_u64 v[10:11], v[10:11], 4, s[12:13]
	v_lshlrev_b32_e32 v8, 4, v8
	v_mov_b32_e32 v9, v1
	v_lshl_add_u64 v[8:9], v[10:11], 0, v[8:9]
	v_lshl_add_u64 v[10:11], s[18:19], 0, v[12:13]
	s_waitcnt lgkmcnt(0)
	v_lshl_add_u64 v[8:9], s[8:9], 0, v[8:9]
	s_lshl_b64 s[8:9], s[10:11], 7
	v_mul_lo_u32 v12, s49, v10
	v_mul_lo_u32 v13, s48, v11
	v_mad_u64_u32 v[10:11], s[10:11], s48, v10, 0
	v_add3_u32 v11, v11, v13, v12
	s_lshl_b64 s[10:11], s[50:51], 4
	v_lshl_add_u64 v[10:11], v[10:11], 4, s[10:11]
	v_lshlrev_b32_e32 v12, 4, v4
	v_mov_b32_e32 v13, v1
	v_lshl_add_u64 v[10:11], v[10:11], 0, v[12:13]
	v_mov_b32_e32 v5, v1
	v_mov_b32_e32 v7, v1
	v_lshlrev_b32_e32 v32, 4, v2
	v_lshl_add_u64 v[10:11], s[24:25], 0, v[10:11]
	s_mov_b64 s[10:11], 0
	v_mov_b64_e32 v[14:15], 0
	s_xor_b64 s[12:13], vcc, -1
	s_xor_b64 s[0:1], s[0:1], -1
	s_mov_b64 s[24:25], 0x80
	v_mov_b64_e32 v[12:13], s[40:41]
	v_mov_b32_e32 v34, v1
	v_mov_b32_e32 v35, v1
	;; [unrolled: 1-line block ×4, first 2 shown]
	v_mov_b64_e32 v[16:17], 0
	v_mov_b64_e32 v[20:21], 0
	;; [unrolled: 1-line block ×7, first 2 shown]
	s_branch .LBB284_3
.LBB284_2:                              ;   in Loop: Header=BB284_3 Depth=1
	s_or_b64 exec, exec, s[30:31]
	s_waitcnt lgkmcnt(0)
	s_barrier
	ds_read_b128 v[38:41], v32
	ds_read_b128 v[42:45], v33
	ds_read_b128 v[46:49], v33 offset:16
	ds_read_b128 v[50:53], v33 offset:32
	;; [unrolled: 1-line block ×4, first 2 shown]
	s_waitcnt lgkmcnt(4)
	v_mul_f64 v[62:63], v[44:45], v[40:41]
	v_fma_f64 v[62:63], v[42:43], v[38:39], -v[62:63]
	v_mul_f64 v[64:65], v[42:43], v[40:41]
	v_fmac_f64_e32 v[64:65], v[44:45], v[38:39]
	v_add_f64 v[62:63], v[26:27], v[62:63]
	s_waitcnt lgkmcnt(0)
	v_mul_f64 v[26:27], v[44:45], v[60:61]
	v_add_f64 v[64:65], v[64:65], v[28:29]
	v_fma_f64 v[66:67], v[42:43], v[58:59], -v[26:27]
	ds_read_b128 v[26:29], v33 offset:2048
	v_mul_f64 v[42:43], v[42:43], v[60:61]
	v_fmac_f64_e32 v[42:43], v[44:45], v[58:59]
	v_add_f64 v[44:45], v[22:23], v[66:67]
	v_add_f64 v[42:43], v[42:43], v[24:25]
	ds_read_b128 v[22:25], v33 offset:2064
	s_waitcnt lgkmcnt(1)
	v_mul_f64 v[66:67], v[28:29], v[40:41]
	v_fma_f64 v[66:67], v[26:27], v[38:39], -v[66:67]
	v_mul_f64 v[40:41], v[26:27], v[40:41]
	v_fmac_f64_e32 v[40:41], v[28:29], v[38:39]
	v_add_f64 v[38:39], v[18:19], v[66:67]
	v_mul_f64 v[18:19], v[28:29], v[60:61]
	v_add_f64 v[40:41], v[40:41], v[20:21]
	v_fma_f64 v[66:67], v[26:27], v[58:59], -v[18:19]
	v_mul_f64 v[26:27], v[26:27], v[60:61]
	ds_read_b128 v[18:21], v32 offset:512
	v_fmac_f64_e32 v[26:27], v[28:29], v[58:59]
	v_add_f64 v[28:29], v[16:17], v[66:67]
	v_add_f64 v[26:27], v[26:27], v[14:15]
	ds_read_b128 v[14:17], v32 offset:768
	s_waitcnt lgkmcnt(1)
	v_mul_f64 v[58:59], v[48:49], v[20:21]
	v_fma_f64 v[58:59], v[46:47], v[18:19], -v[58:59]
	v_add_f64 v[58:59], v[62:63], v[58:59]
	v_mul_f64 v[60:61], v[46:47], v[20:21]
	s_waitcnt lgkmcnt(0)
	v_mul_f64 v[62:63], v[48:49], v[16:17]
	v_fma_f64 v[62:63], v[46:47], v[14:15], -v[62:63]
	v_mul_f64 v[46:47], v[46:47], v[16:17]
	v_fmac_f64_e32 v[46:47], v[48:49], v[14:15]
	v_add_f64 v[42:43], v[46:47], v[42:43]
	v_mul_f64 v[46:47], v[24:25], v[20:21]
	v_mul_f64 v[20:21], v[22:23], v[20:21]
	v_fmac_f64_e32 v[60:61], v[48:49], v[18:19]
	v_fma_f64 v[46:47], v[22:23], v[18:19], -v[46:47]
	v_fmac_f64_e32 v[20:21], v[24:25], v[18:19]
	v_mul_f64 v[18:19], v[24:25], v[16:17]
	v_add_f64 v[48:49], v[20:21], v[40:41]
	v_fma_f64 v[20:21], v[22:23], v[14:15], -v[18:19]
	v_mul_f64 v[22:23], v[22:23], v[16:17]
	ds_read_b128 v[16:19], v32 offset:1024
	v_fmac_f64_e32 v[22:23], v[24:25], v[14:15]
	v_add_f64 v[44:45], v[44:45], v[62:63]
	v_add_f64 v[28:29], v[28:29], v[20:21]
	;; [unrolled: 1-line block ×3, first 2 shown]
	ds_read_b128 v[20:23], v32 offset:1280
	s_waitcnt lgkmcnt(1)
	v_mul_f64 v[24:25], v[50:51], v[18:19]
	v_add_f64 v[60:61], v[60:61], v[64:65]
	v_fmac_f64_e32 v[24:25], v[52:53], v[16:17]
	v_add_f64 v[60:61], v[24:25], v[60:61]
	ds_read_b128 v[24:27], v33 offset:2080
	v_mul_f64 v[14:15], v[52:53], v[18:19]
	v_fma_f64 v[14:15], v[50:51], v[16:17], -v[14:15]
	v_add_f64 v[46:47], v[38:39], v[46:47]
	v_add_f64 v[58:59], v[58:59], v[14:15]
	s_waitcnt lgkmcnt(1)
	v_mul_f64 v[14:15], v[52:53], v[22:23]
	v_mul_f64 v[38:39], v[50:51], v[22:23]
	v_fma_f64 v[14:15], v[50:51], v[20:21], -v[14:15]
	v_fmac_f64_e32 v[38:39], v[52:53], v[20:21]
	v_add_f64 v[44:45], v[44:45], v[14:15]
	v_add_f64 v[42:43], v[38:39], v[42:43]
	ds_read_b128 v[38:41], v33 offset:2096
	s_waitcnt lgkmcnt(1)
	v_mul_f64 v[14:15], v[26:27], v[18:19]
	v_fma_f64 v[14:15], v[24:25], v[16:17], -v[14:15]
	v_mul_f64 v[18:19], v[24:25], v[18:19]
	v_fmac_f64_e32 v[18:19], v[26:27], v[16:17]
	v_add_f64 v[46:47], v[46:47], v[14:15]
	v_mul_f64 v[14:15], v[26:27], v[22:23]
	v_add_f64 v[48:49], v[18:19], v[48:49]
	v_fma_f64 v[18:19], v[24:25], v[20:21], -v[14:15]
	ds_read_b128 v[14:17], v32 offset:1536
	v_mul_f64 v[22:23], v[24:25], v[22:23]
	v_fmac_f64_e32 v[22:23], v[26:27], v[20:21]
	v_add_f64 v[24:25], v[28:29], v[18:19]
	ds_read_b128 v[18:21], v32 offset:1792
	s_waitcnt lgkmcnt(1)
	v_mul_f64 v[26:27], v[56:57], v[16:17]
	v_fma_f64 v[26:27], v[54:55], v[14:15], -v[26:27]
	v_mul_f64 v[28:29], v[54:55], v[16:17]
	v_fmac_f64_e32 v[28:29], v[56:57], v[14:15]
	v_add_f64 v[50:51], v[58:59], v[26:27]
	s_waitcnt lgkmcnt(0)
	v_mul_f64 v[26:27], v[56:57], v[20:21]
	v_add_f64 v[52:53], v[28:29], v[60:61]
	v_fma_f64 v[26:27], v[54:55], v[18:19], -v[26:27]
	v_mul_f64 v[28:29], v[54:55], v[20:21]
	v_fmac_f64_e32 v[28:29], v[56:57], v[18:19]
	v_add_f64 v[44:45], v[44:45], v[26:27]
	v_mul_f64 v[26:27], v[40:41], v[16:17]
	v_mul_f64 v[16:17], v[38:39], v[16:17]
	v_add_f64 v[42:43], v[28:29], v[42:43]
	v_fma_f64 v[26:27], v[38:39], v[14:15], -v[26:27]
	v_fmac_f64_e32 v[16:17], v[40:41], v[14:15]
	v_mul_f64 v[14:15], v[40:41], v[20:21]
	v_mul_f64 v[28:29], v[38:39], v[20:21]
	v_add_f64 v[46:47], v[46:47], v[26:27]
	v_add_f64 v[48:49], v[16:17], v[48:49]
	v_fma_f64 v[26:27], v[38:39], v[18:19], -v[14:15]
	v_fmac_f64_e32 v[28:29], v[40:41], v[18:19]
	ds_read_b128 v[14:17], v33 offset:64
	ds_read_b128 v[18:21], v32 offset:2048
	v_add_f64 v[22:23], v[22:23], v[62:63]
	v_add_f64 v[54:55], v[24:25], v[26:27]
	;; [unrolled: 1-line block ×3, first 2 shown]
	ds_read_b128 v[22:25], v32 offset:2304
	ds_read_b128 v[26:29], v33 offset:80
	s_waitcnt lgkmcnt(2)
	v_mul_f64 v[38:39], v[16:17], v[20:21]
	v_fma_f64 v[38:39], v[14:15], v[18:19], -v[38:39]
	v_mul_f64 v[40:41], v[14:15], v[20:21]
	v_fmac_f64_e32 v[40:41], v[16:17], v[18:19]
	v_add_f64 v[50:51], v[50:51], v[38:39]
	s_waitcnt lgkmcnt(1)
	v_mul_f64 v[38:39], v[16:17], v[24:25]
	v_add_f64 v[52:53], v[40:41], v[52:53]
	v_fma_f64 v[58:59], v[14:15], v[22:23], -v[38:39]
	ds_read_b128 v[38:41], v33 offset:2112
	v_mul_f64 v[14:15], v[14:15], v[24:25]
	v_fmac_f64_e32 v[14:15], v[16:17], v[22:23]
	v_add_f64 v[44:45], v[44:45], v[58:59]
	v_add_f64 v[42:43], v[14:15], v[42:43]
	ds_read_b128 v[14:17], v33 offset:2128
	s_waitcnt lgkmcnt(1)
	v_mul_f64 v[58:59], v[40:41], v[20:21]
	v_mul_f64 v[20:21], v[38:39], v[20:21]
	v_fma_f64 v[58:59], v[38:39], v[18:19], -v[58:59]
	v_fmac_f64_e32 v[20:21], v[40:41], v[18:19]
	v_mul_f64 v[18:19], v[40:41], v[24:25]
	v_add_f64 v[46:47], v[46:47], v[58:59]
	v_add_f64 v[48:49], v[20:21], v[48:49]
	v_fma_f64 v[58:59], v[38:39], v[22:23], -v[18:19]
	v_mul_f64 v[24:25], v[38:39], v[24:25]
	ds_read_b128 v[18:21], v32 offset:2560
	v_fmac_f64_e32 v[24:25], v[40:41], v[22:23]
	v_add_f64 v[40:41], v[24:25], v[56:57]
	ds_read_b128 v[22:25], v32 offset:2816
	v_add_f64 v[38:39], v[54:55], v[58:59]
	s_waitcnt lgkmcnt(1)
	v_mul_f64 v[54:55], v[28:29], v[20:21]
	v_fma_f64 v[54:55], v[26:27], v[18:19], -v[54:55]
	v_add_f64 v[50:51], v[50:51], v[54:55]
	s_waitcnt lgkmcnt(0)
	v_mul_f64 v[54:55], v[28:29], v[24:25]
	v_mul_f64 v[56:57], v[26:27], v[20:21]
	v_fma_f64 v[54:55], v[26:27], v[22:23], -v[54:55]
	v_mul_f64 v[26:27], v[26:27], v[24:25]
	v_fmac_f64_e32 v[26:27], v[28:29], v[22:23]
	v_add_f64 v[42:43], v[26:27], v[42:43]
	v_mul_f64 v[26:27], v[16:17], v[20:21]
	v_mul_f64 v[20:21], v[14:15], v[20:21]
	v_fmac_f64_e32 v[56:57], v[28:29], v[18:19]
	v_fma_f64 v[26:27], v[14:15], v[18:19], -v[26:27]
	v_fmac_f64_e32 v[20:21], v[16:17], v[18:19]
	v_mul_f64 v[18:19], v[16:17], v[24:25]
	v_mul_f64 v[24:25], v[14:15], v[24:25]
	v_add_f64 v[46:47], v[46:47], v[26:27]
	v_add_f64 v[48:49], v[20:21], v[48:49]
	v_fma_f64 v[26:27], v[14:15], v[22:23], -v[18:19]
	v_fmac_f64_e32 v[24:25], v[16:17], v[22:23]
	ds_read_b128 v[14:17], v33 offset:96
	ds_read_b128 v[18:21], v32 offset:3072
	v_add_f64 v[52:53], v[56:57], v[52:53]
	v_add_f64 v[44:45], v[44:45], v[54:55]
	;; [unrolled: 1-line block ×4, first 2 shown]
	ds_read_b128 v[22:25], v32 offset:3328
	ds_read_b128 v[38:41], v33 offset:112
	s_waitcnt lgkmcnt(2)
	v_mul_f64 v[26:27], v[16:17], v[20:21]
	v_fma_f64 v[26:27], v[14:15], v[18:19], -v[26:27]
	v_mul_f64 v[28:29], v[14:15], v[20:21]
	v_fmac_f64_e32 v[28:29], v[16:17], v[18:19]
	v_add_f64 v[50:51], v[50:51], v[26:27]
	s_waitcnt lgkmcnt(1)
	v_mul_f64 v[26:27], v[16:17], v[24:25]
	v_add_f64 v[52:53], v[28:29], v[52:53]
	v_fma_f64 v[58:59], v[14:15], v[22:23], -v[26:27]
	ds_read_b128 v[26:29], v33 offset:2144
	v_mul_f64 v[14:15], v[14:15], v[24:25]
	v_fmac_f64_e32 v[14:15], v[16:17], v[22:23]
	v_add_f64 v[60:61], v[14:15], v[42:43]
	ds_read_b128 v[14:17], v33 offset:2160
	s_waitcnt lgkmcnt(1)
	v_mul_f64 v[42:43], v[28:29], v[20:21]
	v_mul_f64 v[20:21], v[26:27], v[20:21]
	v_fma_f64 v[42:43], v[26:27], v[18:19], -v[42:43]
	v_fmac_f64_e32 v[20:21], v[28:29], v[18:19]
	v_mul_f64 v[18:19], v[28:29], v[24:25]
	v_add_f64 v[46:47], v[46:47], v[42:43]
	v_add_f64 v[48:49], v[20:21], v[48:49]
	v_fma_f64 v[42:43], v[26:27], v[22:23], -v[18:19]
	ds_read_b128 v[18:21], v32 offset:3584
	v_add_f64 v[58:59], v[44:45], v[58:59]
	v_add_f64 v[54:55], v[54:55], v[42:43]
	ds_read_b128 v[42:45], v32 offset:3840
	v_mul_f64 v[24:25], v[26:27], v[24:25]
	v_fmac_f64_e32 v[24:25], v[28:29], v[22:23]
	s_waitcnt lgkmcnt(1)
	v_mul_f64 v[22:23], v[40:41], v[20:21]
	v_add_f64 v[56:57], v[24:25], v[56:57]
	v_fma_f64 v[22:23], v[38:39], v[18:19], -v[22:23]
	v_mul_f64 v[24:25], v[38:39], v[20:21]
	v_fmac_f64_e32 v[24:25], v[40:41], v[18:19]
	v_add_f64 v[26:27], v[50:51], v[22:23]
	s_waitcnt lgkmcnt(0)
	v_mul_f64 v[22:23], v[40:41], v[44:45]
	v_add_f64 v[28:29], v[24:25], v[52:53]
	v_fma_f64 v[22:23], v[38:39], v[42:43], -v[22:23]
	v_mul_f64 v[24:25], v[38:39], v[44:45]
	v_mul_f64 v[38:39], v[16:17], v[20:21]
	v_fma_f64 v[38:39], v[14:15], v[18:19], -v[38:39]
	v_mul_f64 v[20:21], v[14:15], v[20:21]
	v_fmac_f64_e32 v[20:21], v[16:17], v[18:19]
	v_add_f64 v[18:19], v[46:47], v[38:39]
	v_mul_f64 v[38:39], v[16:17], v[44:45]
	s_add_u32 s10, s10, 8
	v_fma_f64 v[38:39], v[14:15], v[42:43], -v[38:39]
	v_mul_f64 v[14:15], v[14:15], v[44:45]
	s_addc_u32 s11, s11, 0
	v_fmac_f64_e32 v[24:25], v[40:41], v[42:43]
	v_fmac_f64_e32 v[14:15], v[16:17], v[42:43]
	v_cmp_lt_i64_e32 vcc, s[10:11], v[12:13]
	v_add_f64 v[22:23], v[58:59], v[22:23]
	v_add_f64 v[24:25], v[24:25], v[60:61]
	;; [unrolled: 1-line block ×5, first 2 shown]
	v_lshl_add_u64 v[8:9], v[8:9], 0, s[8:9]
	v_lshl_add_u64 v[10:11], v[10:11], 0, s[24:25]
	s_barrier
	s_cbranch_vccz .LBB284_12
.LBB284_3:                              ; =>This Inner Loop Header: Depth=1
	v_lshl_add_u64 v[38:39], v[4:5], 0, s[10:11]
	v_cmp_le_i64_e32 vcc, s[40:41], v[38:39]
	s_or_b64 s[30:31], s[12:13], vcc
	s_and_saveexec_b64 s[34:35], s[30:31]
	s_xor_b64 s[30:31], exec, s[34:35]
; %bb.4:                                ;   in Loop: Header=BB284_3 Depth=1
	ds_write_b128 v30, v[34:37]
; %bb.5:                                ;   in Loop: Header=BB284_3 Depth=1
	s_andn2_saveexec_b64 s[30:31], s[30:31]
	s_cbranch_execz .LBB284_7
; %bb.6:                                ;   in Loop: Header=BB284_3 Depth=1
	flat_load_dwordx4 v[38:41], v[10:11]
	s_waitcnt vmcnt(0) lgkmcnt(0)
	ds_write2_b64 v30, v[38:39], v[40:41] offset1:1
.LBB284_7:                              ;   in Loop: Header=BB284_3 Depth=1
	s_or_b64 exec, exec, s[30:31]
	v_lshl_add_u64 v[38:39], v[6:7], 0, s[10:11]
	v_cmp_le_i64_e32 vcc, s[40:41], v[38:39]
	s_or_b64 s[30:31], vcc, s[0:1]
	s_and_saveexec_b64 s[34:35], s[30:31]
	s_xor_b64 s[30:31], exec, s[34:35]
; %bb.8:                                ;   in Loop: Header=BB284_3 Depth=1
	ds_write_b128 v31, v[34:37]
; %bb.9:                                ;   in Loop: Header=BB284_3 Depth=1
	s_andn2_saveexec_b64 s[30:31], s[30:31]
	s_cbranch_execz .LBB284_2
; %bb.10:                               ;   in Loop: Header=BB284_3 Depth=1
	flat_load_dwordx4 v[38:41], v[8:9]
	s_waitcnt vmcnt(0) lgkmcnt(0)
	ds_write2_b64 v31, v[38:39], v[40:41] offset1:1
	s_branch .LBB284_2
.LBB284_11:
	v_mov_b64_e32 v[26:27], 0
	v_mov_b64_e32 v[28:29], 0
	;; [unrolled: 1-line block ×8, first 2 shown]
.LBB284_12:
	s_lshl_b64 s[0:1], s[28:29], 4
	s_waitcnt lgkmcnt(0)
	s_add_u32 s8, s4, s0
	s_addc_u32 s9, s5, s1
	v_lshl_add_u64 v[0:1], s[2:3], 0, v[0:1]
	v_cmp_neq_f64_e64 s[0:1], s[14:15], 0
	v_cmp_neq_f64_e64 s[2:3], s[16:17], 0
	s_or_b64 s[4:5], s[0:1], s[2:3]
	v_cmp_gt_i64_e64 s[0:1], s[38:39], v[0:1]
	s_mov_b64 s[2:3], -1
	s_and_b64 vcc, exec, s[4:5]
	s_cbranch_vccnz .LBB284_24
; %bb.13:
	s_and_saveexec_b64 s[10:11], s[0:1]
	s_cbranch_execz .LBB284_23
; %bb.14:
	v_mul_lo_u32 v8, v1, s26
	v_mul_lo_u32 v9, v0, s27
	v_mad_u64_u32 v[6:7], s[2:3], v0, s26, 0
	v_add3_u32 v7, v7, v9, v8
	v_lshl_add_u64 v[4:5], s[18:19], 0, v[2:3]
	v_lshl_add_u64 v[6:7], v[6:7], 4, s[8:9]
	v_cmp_gt_i64_e32 vcc, s[36:37], v[4:5]
	v_lshl_add_u64 v[8:9], v[4:5], 4, v[6:7]
	s_and_saveexec_b64 s[2:3], vcc
	s_cbranch_execz .LBB284_16
; %bb.15:
	v_mul_f64 v[10:11], s[44:45], v[28:29]
	v_mul_f64 v[12:13], s[42:43], v[28:29]
	v_fma_f64 v[10:11], s[42:43], v[26:27], -v[10:11]
	v_fmac_f64_e32 v[12:13], s[44:45], v[26:27]
	flat_store_dwordx4 v[8:9], v[10:13]
.LBB284_16:
	s_or_b64 exec, exec, s[2:3]
	s_nop 0
	v_lshl_add_u64 v[10:11], v[4:5], 0, 16
	v_cmp_gt_i64_e64 s[2:3], s[36:37], v[10:11]
	s_and_saveexec_b64 s[4:5], s[2:3]
	s_cbranch_execz .LBB284_18
; %bb.17:
	v_mul_f64 v[10:11], s[44:45], v[24:25]
	v_mul_f64 v[12:13], s[42:43], v[24:25]
	v_fma_f64 v[10:11], s[42:43], v[22:23], -v[10:11]
	v_fmac_f64_e32 v[12:13], s[44:45], v[22:23]
	flat_store_dwordx4 v[8:9], v[10:13] offset:256
.LBB284_18:
	s_or_b64 exec, exec, s[4:5]
	v_lshl_add_u64 v[8:9], v[0:1], 0, 16
	v_cmp_gt_i64_e64 s[4:5], s[38:39], v[8:9]
	s_and_b64 exec, exec, s[4:5]
	s_cbranch_execz .LBB284_23
; %bb.19:
	s_lshl_b64 s[4:5], s[26:27], 8
	v_lshl_add_u64 v[6:7], v[6:7], 0, s[4:5]
	v_lshl_add_u64 v[4:5], v[4:5], 4, v[6:7]
	s_and_saveexec_b64 s[4:5], vcc
	s_cbranch_execz .LBB284_21
; %bb.20:
	v_mul_f64 v[6:7], s[44:45], v[20:21]
	v_mul_f64 v[8:9], s[42:43], v[20:21]
	v_fma_f64 v[6:7], s[42:43], v[18:19], -v[6:7]
	v_fmac_f64_e32 v[8:9], s[44:45], v[18:19]
	flat_store_dwordx4 v[4:5], v[6:9]
.LBB284_21:
	s_or_b64 exec, exec, s[4:5]
	s_and_b64 exec, exec, s[2:3]
	s_cbranch_execz .LBB284_23
; %bb.22:
	v_mul_f64 v[6:7], s[44:45], v[14:15]
	v_mul_f64 v[8:9], s[42:43], v[14:15]
	v_fma_f64 v[6:7], s[42:43], v[16:17], -v[6:7]
	v_fmac_f64_e32 v[8:9], s[44:45], v[16:17]
	flat_store_dwordx4 v[4:5], v[6:9] offset:256
.LBB284_23:
	s_or_b64 exec, exec, s[10:11]
	s_mov_b64 s[2:3], 0
.LBB284_24:
	s_andn2_b64 vcc, exec, s[2:3]
	s_cbranch_vccnz .LBB284_35
; %bb.25:
	s_and_saveexec_b64 s[2:3], s[0:1]
	s_cbranch_execz .LBB284_35
; %bb.26:
	s_lshl_b64 s[0:1], s[22:23], 4
	v_lshl_add_u64 v[8:9], s[18:19], 0, v[2:3]
	v_mul_lo_u32 v4, v1, s20
	v_mul_lo_u32 v5, v0, s21
	v_mad_u64_u32 v[2:3], s[2:3], v0, s20, 0
	s_add_u32 s0, s6, s0
	v_add3_u32 v3, v3, v5, v4
	v_mul_lo_u32 v6, v1, s26
	v_mul_lo_u32 v7, v0, s27
	v_mad_u64_u32 v[4:5], s[2:3], v0, s26, 0
	s_addc_u32 s1, s7, s1
	v_add3_u32 v5, v5, v7, v6
	v_cmp_gt_i64_e32 vcc, s[36:37], v[8:9]
	v_lshl_add_u64 v[6:7], v[2:3], 4, s[0:1]
	v_lshl_add_u64 v[4:5], v[4:5], 4, s[8:9]
	v_lshlrev_b64 v[2:3], 4, v[8:9]
	s_and_saveexec_b64 s[0:1], vcc
	s_cbranch_execz .LBB284_28
; %bb.27:
	v_lshl_add_u64 v[10:11], v[6:7], 0, v[2:3]
	flat_load_dwordx4 v[10:13], v[10:11]
	v_mul_f64 v[30:31], s[44:45], v[28:29]
	v_mul_f64 v[28:29], s[42:43], v[28:29]
	v_fma_f64 v[30:31], s[42:43], v[26:27], -v[30:31]
	v_fmac_f64_e32 v[28:29], s[44:45], v[26:27]
	s_waitcnt vmcnt(0) lgkmcnt(0)
	v_mul_f64 v[26:27], s[16:17], v[12:13]
	v_mul_f64 v[12:13], s[14:15], v[12:13]
	v_fma_f64 v[26:27], s[14:15], v[10:11], -v[26:27]
	v_fmac_f64_e32 v[12:13], s[16:17], v[10:11]
	v_add_f64 v[10:11], v[30:31], v[26:27]
	v_add_f64 v[12:13], v[28:29], v[12:13]
	v_lshl_add_u64 v[26:27], v[4:5], 0, v[2:3]
	flat_store_dwordx4 v[26:27], v[10:13]
.LBB284_28:
	s_or_b64 exec, exec, s[0:1]
	v_lshl_add_u64 v[8:9], v[8:9], 0, 16
	v_cmp_gt_i64_e64 s[0:1], s[36:37], v[8:9]
	s_and_saveexec_b64 s[2:3], s[0:1]
	s_cbranch_execz .LBB284_30
; %bb.29:
	v_lshl_add_u64 v[8:9], v[6:7], 0, v[2:3]
	flat_load_dwordx4 v[8:11], v[8:9] offset:256
	v_mul_f64 v[12:13], s[44:45], v[24:25]
	v_mul_f64 v[24:25], s[42:43], v[24:25]
	v_fma_f64 v[12:13], s[42:43], v[22:23], -v[12:13]
	v_fmac_f64_e32 v[24:25], s[44:45], v[22:23]
	s_waitcnt vmcnt(0) lgkmcnt(0)
	v_mul_f64 v[22:23], s[16:17], v[10:11]
	v_mul_f64 v[10:11], s[14:15], v[10:11]
	v_fma_f64 v[22:23], s[14:15], v[8:9], -v[22:23]
	v_fmac_f64_e32 v[10:11], s[16:17], v[8:9]
	v_add_f64 v[8:9], v[12:13], v[22:23]
	v_add_f64 v[10:11], v[24:25], v[10:11]
	v_lshl_add_u64 v[12:13], v[4:5], 0, v[2:3]
	flat_store_dwordx4 v[12:13], v[8:11] offset:256
.LBB284_30:
	s_or_b64 exec, exec, s[2:3]
	v_lshl_add_u64 v[0:1], v[0:1], 0, 16
	v_cmp_gt_i64_e64 s[2:3], s[38:39], v[0:1]
	s_and_b64 exec, exec, s[2:3]
	s_cbranch_execz .LBB284_35
; %bb.31:
	s_lshl_b64 s[2:3], s[20:21], 8
	v_lshl_add_u64 v[0:1], v[6:7], 0, s[2:3]
	s_lshl_b64 s[2:3], s[26:27], 8
	v_lshl_add_u64 v[6:7], v[4:5], 0, s[2:3]
	v_lshl_add_u64 v[4:5], v[0:1], 0, v[2:3]
	;; [unrolled: 1-line block ×3, first 2 shown]
	s_and_saveexec_b64 s[2:3], vcc
	s_cbranch_execz .LBB284_33
; %bb.32:
	flat_load_dwordx4 v[6:9], v[4:5]
	v_mul_f64 v[2:3], s[44:45], v[20:21]
	v_mul_f64 v[10:11], s[42:43], v[20:21]
	v_fma_f64 v[2:3], s[42:43], v[18:19], -v[2:3]
	v_fmac_f64_e32 v[10:11], s[44:45], v[18:19]
	s_waitcnt vmcnt(0) lgkmcnt(0)
	v_mul_f64 v[12:13], s[16:17], v[8:9]
	v_mul_f64 v[8:9], s[14:15], v[8:9]
	v_fma_f64 v[12:13], s[14:15], v[6:7], -v[12:13]
	v_fmac_f64_e32 v[8:9], s[16:17], v[6:7]
	v_add_f64 v[6:7], v[2:3], v[12:13]
	v_add_f64 v[8:9], v[10:11], v[8:9]
	flat_store_dwordx4 v[0:1], v[6:9]
.LBB284_33:
	s_or_b64 exec, exec, s[2:3]
	s_and_b64 exec, exec, s[0:1]
	s_cbranch_execz .LBB284_35
; %bb.34:
	flat_load_dwordx4 v[2:5], v[4:5] offset:256
	v_mul_f64 v[6:7], s[44:45], v[14:15]
	v_mul_f64 v[8:9], s[42:43], v[14:15]
	v_fma_f64 v[6:7], s[42:43], v[16:17], -v[6:7]
	v_fmac_f64_e32 v[8:9], s[44:45], v[16:17]
	s_waitcnt vmcnt(0) lgkmcnt(0)
	v_mul_f64 v[10:11], s[16:17], v[4:5]
	v_mul_f64 v[4:5], s[14:15], v[4:5]
	v_fma_f64 v[10:11], s[14:15], v[2:3], -v[10:11]
	v_fmac_f64_e32 v[4:5], s[16:17], v[2:3]
	v_add_f64 v[2:3], v[6:7], v[10:11]
	v_add_f64 v[4:5], v[8:9], v[4:5]
	flat_store_dwordx4 v[0:1], v[2:5] offset:256
.LBB284_35:
	s_endpgm
	.section	.rodata,"a",@progbits
	.p2align	6, 0x0
	.amdhsa_kernel _ZN12_GLOBAL__N_135rocblas_gemm_batched_general_kernelI19rocblas_complex_numIdELi16ELi16ELi32ELi32ELi8ELi32ELi8ELi8ELi32ELc84ELc84EKPKS2_S5_KPS2_EEvlllT_PT11_llSA_llS8_PT12_llPT13_lli
		.amdhsa_group_segment_fixed_size 8192
		.amdhsa_private_segment_fixed_size 0
		.amdhsa_kernarg_size 156
		.amdhsa_user_sgpr_count 2
		.amdhsa_user_sgpr_dispatch_ptr 0
		.amdhsa_user_sgpr_queue_ptr 0
		.amdhsa_user_sgpr_kernarg_segment_ptr 1
		.amdhsa_user_sgpr_dispatch_id 0
		.amdhsa_user_sgpr_kernarg_preload_length 0
		.amdhsa_user_sgpr_kernarg_preload_offset 0
		.amdhsa_user_sgpr_private_segment_size 0
		.amdhsa_uses_dynamic_stack 0
		.amdhsa_enable_private_segment 0
		.amdhsa_system_sgpr_workgroup_id_x 1
		.amdhsa_system_sgpr_workgroup_id_y 1
		.amdhsa_system_sgpr_workgroup_id_z 1
		.amdhsa_system_sgpr_workgroup_info 0
		.amdhsa_system_vgpr_workitem_id 1
		.amdhsa_next_free_vgpr 68
		.amdhsa_next_free_sgpr 52
		.amdhsa_accum_offset 68
		.amdhsa_reserve_vcc 1
		.amdhsa_float_round_mode_32 0
		.amdhsa_float_round_mode_16_64 0
		.amdhsa_float_denorm_mode_32 3
		.amdhsa_float_denorm_mode_16_64 3
		.amdhsa_dx10_clamp 1
		.amdhsa_ieee_mode 1
		.amdhsa_fp16_overflow 0
		.amdhsa_tg_split 0
		.amdhsa_exception_fp_ieee_invalid_op 0
		.amdhsa_exception_fp_denorm_src 0
		.amdhsa_exception_fp_ieee_div_zero 0
		.amdhsa_exception_fp_ieee_overflow 0
		.amdhsa_exception_fp_ieee_underflow 0
		.amdhsa_exception_fp_ieee_inexact 0
		.amdhsa_exception_int_div_zero 0
	.end_amdhsa_kernel
	.section	.text._ZN12_GLOBAL__N_135rocblas_gemm_batched_general_kernelI19rocblas_complex_numIdELi16ELi16ELi32ELi32ELi8ELi32ELi8ELi8ELi32ELc84ELc84EKPKS2_S5_KPS2_EEvlllT_PT11_llSA_llS8_PT12_llPT13_lli,"axG",@progbits,_ZN12_GLOBAL__N_135rocblas_gemm_batched_general_kernelI19rocblas_complex_numIdELi16ELi16ELi32ELi32ELi8ELi32ELi8ELi8ELi32ELc84ELc84EKPKS2_S5_KPS2_EEvlllT_PT11_llSA_llS8_PT12_llPT13_lli,comdat
.Lfunc_end284:
	.size	_ZN12_GLOBAL__N_135rocblas_gemm_batched_general_kernelI19rocblas_complex_numIdELi16ELi16ELi32ELi32ELi8ELi32ELi8ELi8ELi32ELc84ELc84EKPKS2_S5_KPS2_EEvlllT_PT11_llSA_llS8_PT12_llPT13_lli, .Lfunc_end284-_ZN12_GLOBAL__N_135rocblas_gemm_batched_general_kernelI19rocblas_complex_numIdELi16ELi16ELi32ELi32ELi8ELi32ELi8ELi8ELi32ELc84ELc84EKPKS2_S5_KPS2_EEvlllT_PT11_llSA_llS8_PT12_llPT13_lli
                                        ; -- End function
	.set _ZN12_GLOBAL__N_135rocblas_gemm_batched_general_kernelI19rocblas_complex_numIdELi16ELi16ELi32ELi32ELi8ELi32ELi8ELi8ELi32ELc84ELc84EKPKS2_S5_KPS2_EEvlllT_PT11_llSA_llS8_PT12_llPT13_lli.num_vgpr, 68
	.set _ZN12_GLOBAL__N_135rocblas_gemm_batched_general_kernelI19rocblas_complex_numIdELi16ELi16ELi32ELi32ELi8ELi32ELi8ELi8ELi32ELc84ELc84EKPKS2_S5_KPS2_EEvlllT_PT11_llSA_llS8_PT12_llPT13_lli.num_agpr, 0
	.set _ZN12_GLOBAL__N_135rocblas_gemm_batched_general_kernelI19rocblas_complex_numIdELi16ELi16ELi32ELi32ELi8ELi32ELi8ELi8ELi32ELc84ELc84EKPKS2_S5_KPS2_EEvlllT_PT11_llSA_llS8_PT12_llPT13_lli.numbered_sgpr, 52
	.set _ZN12_GLOBAL__N_135rocblas_gemm_batched_general_kernelI19rocblas_complex_numIdELi16ELi16ELi32ELi32ELi8ELi32ELi8ELi8ELi32ELc84ELc84EKPKS2_S5_KPS2_EEvlllT_PT11_llSA_llS8_PT12_llPT13_lli.num_named_barrier, 0
	.set _ZN12_GLOBAL__N_135rocblas_gemm_batched_general_kernelI19rocblas_complex_numIdELi16ELi16ELi32ELi32ELi8ELi32ELi8ELi8ELi32ELc84ELc84EKPKS2_S5_KPS2_EEvlllT_PT11_llSA_llS8_PT12_llPT13_lli.private_seg_size, 0
	.set _ZN12_GLOBAL__N_135rocblas_gemm_batched_general_kernelI19rocblas_complex_numIdELi16ELi16ELi32ELi32ELi8ELi32ELi8ELi8ELi32ELc84ELc84EKPKS2_S5_KPS2_EEvlllT_PT11_llSA_llS8_PT12_llPT13_lli.uses_vcc, 1
	.set _ZN12_GLOBAL__N_135rocblas_gemm_batched_general_kernelI19rocblas_complex_numIdELi16ELi16ELi32ELi32ELi8ELi32ELi8ELi8ELi32ELc84ELc84EKPKS2_S5_KPS2_EEvlllT_PT11_llSA_llS8_PT12_llPT13_lli.uses_flat_scratch, 0
	.set _ZN12_GLOBAL__N_135rocblas_gemm_batched_general_kernelI19rocblas_complex_numIdELi16ELi16ELi32ELi32ELi8ELi32ELi8ELi8ELi32ELc84ELc84EKPKS2_S5_KPS2_EEvlllT_PT11_llSA_llS8_PT12_llPT13_lli.has_dyn_sized_stack, 0
	.set _ZN12_GLOBAL__N_135rocblas_gemm_batched_general_kernelI19rocblas_complex_numIdELi16ELi16ELi32ELi32ELi8ELi32ELi8ELi8ELi32ELc84ELc84EKPKS2_S5_KPS2_EEvlllT_PT11_llSA_llS8_PT12_llPT13_lli.has_recursion, 0
	.set _ZN12_GLOBAL__N_135rocblas_gemm_batched_general_kernelI19rocblas_complex_numIdELi16ELi16ELi32ELi32ELi8ELi32ELi8ELi8ELi32ELc84ELc84EKPKS2_S5_KPS2_EEvlllT_PT11_llSA_llS8_PT12_llPT13_lli.has_indirect_call, 0
	.section	.AMDGPU.csdata,"",@progbits
; Kernel info:
; codeLenInByte = 3520
; TotalNumSgprs: 58
; NumVgprs: 68
; NumAgprs: 0
; TotalNumVgprs: 68
; ScratchSize: 0
; MemoryBound: 0
; FloatMode: 240
; IeeeMode: 1
; LDSByteSize: 8192 bytes/workgroup (compile time only)
; SGPRBlocks: 7
; VGPRBlocks: 8
; NumSGPRsForWavesPerEU: 58
; NumVGPRsForWavesPerEU: 68
; AccumOffset: 68
; Occupancy: 7
; WaveLimiterHint : 1
; COMPUTE_PGM_RSRC2:SCRATCH_EN: 0
; COMPUTE_PGM_RSRC2:USER_SGPR: 2
; COMPUTE_PGM_RSRC2:TRAP_HANDLER: 0
; COMPUTE_PGM_RSRC2:TGID_X_EN: 1
; COMPUTE_PGM_RSRC2:TGID_Y_EN: 1
; COMPUTE_PGM_RSRC2:TGID_Z_EN: 1
; COMPUTE_PGM_RSRC2:TIDIG_COMP_CNT: 1
; COMPUTE_PGM_RSRC3_GFX90A:ACCUM_OFFSET: 16
; COMPUTE_PGM_RSRC3_GFX90A:TG_SPLIT: 0
	.section	.text._ZN12_GLOBAL__N_135rocblas_gemm_batched_general_kernelI19rocblas_complex_numIdELi16ELi16ELi32ELi32ELi8ELi32ELi8ELi8ELi32ELc67ELc67EKPKS2_S5_KPS2_EEvlllT_PT11_llSA_llS8_PT12_llPT13_lli,"axG",@progbits,_ZN12_GLOBAL__N_135rocblas_gemm_batched_general_kernelI19rocblas_complex_numIdELi16ELi16ELi32ELi32ELi8ELi32ELi8ELi8ELi32ELc67ELc67EKPKS2_S5_KPS2_EEvlllT_PT11_llSA_llS8_PT12_llPT13_lli,comdat
	.globl	_ZN12_GLOBAL__N_135rocblas_gemm_batched_general_kernelI19rocblas_complex_numIdELi16ELi16ELi32ELi32ELi8ELi32ELi8ELi8ELi32ELc67ELc67EKPKS2_S5_KPS2_EEvlllT_PT11_llSA_llS8_PT12_llPT13_lli ; -- Begin function _ZN12_GLOBAL__N_135rocblas_gemm_batched_general_kernelI19rocblas_complex_numIdELi16ELi16ELi32ELi32ELi8ELi32ELi8ELi8ELi32ELc67ELc67EKPKS2_S5_KPS2_EEvlllT_PT11_llSA_llS8_PT12_llPT13_lli
	.p2align	8
	.type	_ZN12_GLOBAL__N_135rocblas_gemm_batched_general_kernelI19rocblas_complex_numIdELi16ELi16ELi32ELi32ELi8ELi32ELi8ELi8ELi32ELc67ELc67EKPKS2_S5_KPS2_EEvlllT_PT11_llSA_llS8_PT12_llPT13_lli,@function
_ZN12_GLOBAL__N_135rocblas_gemm_batched_general_kernelI19rocblas_complex_numIdELi16ELi16ELi32ELi32ELi8ELi32ELi8ELi8ELi32ELc67ELc67EKPKS2_S5_KPS2_EEvlllT_PT11_llSA_llS8_PT12_llPT13_lli: ; @_ZN12_GLOBAL__N_135rocblas_gemm_batched_general_kernelI19rocblas_complex_numIdELi16ELi16ELi32ELi32ELi8ELi32ELi8ELi8ELi32ELc67ELc67EKPKS2_S5_KPS2_EEvlllT_PT11_llSA_llS8_PT12_llPT13_lli
; %bb.0:
	s_load_dwordx16 s[36:51], s[0:1], 0x0
	s_load_dwordx16 s[8:23], s[0:1], 0x40
	s_load_dwordx2 s[28:29], s[0:1], 0x90
	s_load_dwordx4 s[24:27], s[0:1], 0x80
	s_mov_b32 s5, 0
	s_lshl_b64 s[0:1], s[4:5], 3
	s_waitcnt lgkmcnt(0)
	s_add_u32 s4, s18, s0
	s_addc_u32 s5, s19, s1
	s_load_dwordx2 s[6:7], s[4:5], 0x0
	s_add_u32 s4, s24, s0
	s_addc_u32 s5, s25, s1
	s_load_dwordx2 s[4:5], s[4:5], 0x0
	s_mov_b32 s30, s3
	s_ashr_i32 s3, s2, 31
	v_mov_b32_e32 v7, 0
	s_lshl_b64 s[18:19], s[2:3], 5
	s_ashr_i32 s31, s30, 31
	v_cmp_lt_i64_e64 s[2:3], s[40:41], 1
	v_and_b32_e32 v4, 0x3ff, v0
	v_bfe_u32 v6, v0, 10, 10
	v_mov_b32_e32 v5, v7
	s_lshl_b64 s[24:25], s[30:31], 5
	s_and_b64 vcc, exec, s[2:3]
	s_cbranch_vccnz .LBB285_7
; %bb.1:
	v_lshl_add_u32 v12, v6, 4, v4
	s_add_u32 s2, s8, s0
	s_addc_u32 s3, s9, s1
	v_lshrrev_b32_e32 v0, 3, v12
	v_mov_b32_e32 v1, v7
	v_and_b32_e32 v10, 7, v4
	s_add_u32 s0, s46, s0
	v_lshl_add_u64 v[2:3], v[0:1], 0, s[24:25]
	v_and_b32_e32 v14, 31, v12
	v_lshrrev_b32_e32 v8, 5, v12
	s_load_dwordx2 s[8:9], s[2:3], 0x0
	s_addc_u32 s1, s47, s1
	v_or_b32_e32 v12, s18, v14
	v_mov_b32_e32 v13, s19
	v_lshlrev_b32_e32 v1, 4, v14
	v_cmp_gt_i64_e64 s[2:3], s[38:39], v[2:3]
	v_mad_u64_u32 v[2:3], s[46:47], s10, v10, 0
	s_load_dwordx2 s[34:35], s[0:1], 0x0
	v_cmp_gt_i64_e64 s[0:1], s[36:37], v[12:13]
	v_lshl_or_b32 v34, v8, 9, v1
	v_lshlrev_b32_e32 v1, 4, v10
	v_mov_b32_e32 v12, v3
	s_lshl_b64 s[30:31], s[30:31], 9
	s_lshl_b64 s[12:13], s[12:13], 4
	v_lshl_or_b32 v1, v0, 7, v1
	v_mad_u64_u32 v[12:13], s[46:47], s11, v10, v[12:13]
	s_add_u32 s12, s12, s30
	v_add_u32_e32 v35, 0x1000, v1
	v_mov_b32_e32 v1, 0x1000
	v_mov_b32_e32 v3, v12
	s_addc_u32 s13, s13, s31
	v_lshl_add_u32 v37, v6, 7, v1
	v_lshl_add_u64 v[2:3], v[2:3], 4, s[12:13]
	v_lshlrev_b32_e32 v0, 4, v0
	v_mov_b32_e32 v1, v7
	v_mov_b32_e32 v15, v7
	v_lshl_add_u64 v[0:1], v[2:3], 0, v[0:1]
	s_waitcnt lgkmcnt(0)
	v_lshl_add_u64 v[12:13], s[8:9], 0, v[0:1]
	v_lshl_add_u64 v[0:1], s[18:19], 0, v[14:15]
	s_lshl_b64 s[8:9], s[10:11], 7
	v_mul_lo_u32 v2, s49, v0
	v_mul_lo_u32 v3, s48, v1
	v_mad_u64_u32 v[0:1], s[10:11], s48, v0, 0
	v_add3_u32 v1, v1, v3, v2
	s_lshl_b64 s[10:11], s[50:51], 4
	v_lshl_add_u64 v[0:1], v[0:1], 4, s[10:11]
	v_lshlrev_b32_e32 v2, 4, v8
	v_mov_b32_e32 v3, v7
	v_lshl_add_u64 v[0:1], v[0:1], 0, v[2:3]
	v_mov_b32_e32 v9, v7
	v_mov_b32_e32 v11, v7
	v_lshlrev_b32_e32 v36, 4, v4
	v_lshl_add_u64 v[14:15], s[34:35], 0, v[0:1]
	s_mov_b64 s[10:11], 0
	v_mov_b64_e32 v[18:19], 0
	s_mov_b64 s[12:13], 0x80
	v_mov_b64_e32 v[16:17], s[40:41]
	v_mov_b64_e32 v[20:21], 0
	;; [unrolled: 1-line block ×8, first 2 shown]
	s_branch .LBB285_3
.LBB285_2:                              ;   in Loop: Header=BB285_3 Depth=1
	s_or_b64 exec, exec, s[30:31]
	ds_write_b128 v35, v[0:3]
	s_waitcnt lgkmcnt(0)
	s_barrier
	ds_read_b128 v[0:3], v36
	ds_read_b128 v[38:41], v37
	ds_read_b128 v[42:45], v37 offset:16
	ds_read_b128 v[46:49], v37 offset:32
	;; [unrolled: 1-line block ×4, first 2 shown]
	s_waitcnt lgkmcnt(4)
	v_mul_f64 v[58:59], v[40:41], v[2:3]
	v_fma_f64 v[58:59], v[38:39], v[0:1], -v[58:59]
	v_mul_f64 v[60:61], v[38:39], v[2:3]
	v_fmac_f64_e32 v[60:61], v[40:41], v[0:1]
	v_add_f64 v[58:59], v[30:31], v[58:59]
	s_waitcnt lgkmcnt(0)
	v_mul_f64 v[30:31], v[40:41], v[56:57]
	v_add_f64 v[60:61], v[60:61], v[32:33]
	v_fma_f64 v[62:63], v[38:39], v[54:55], -v[30:31]
	ds_read_b128 v[30:33], v37 offset:2048
	v_mul_f64 v[38:39], v[38:39], v[56:57]
	v_fmac_f64_e32 v[38:39], v[40:41], v[54:55]
	v_add_f64 v[40:41], v[26:27], v[62:63]
	v_add_f64 v[38:39], v[38:39], v[28:29]
	ds_read_b128 v[26:29], v37 offset:2064
	s_waitcnt lgkmcnt(1)
	v_mul_f64 v[62:63], v[32:33], v[2:3]
	v_mul_f64 v[2:3], v[30:31], v[2:3]
	v_fma_f64 v[62:63], v[30:31], v[0:1], -v[62:63]
	v_fmac_f64_e32 v[2:3], v[32:33], v[0:1]
	v_mul_f64 v[0:1], v[32:33], v[56:57]
	v_add_f64 v[22:23], v[22:23], v[62:63]
	v_add_f64 v[24:25], v[2:3], v[24:25]
	v_fma_f64 v[62:63], v[30:31], v[54:55], -v[0:1]
	v_mul_f64 v[30:31], v[30:31], v[56:57]
	ds_read_b128 v[0:3], v36 offset:512
	v_fmac_f64_e32 v[30:31], v[32:33], v[54:55]
	v_add_f64 v[32:33], v[20:21], v[62:63]
	v_add_f64 v[30:31], v[30:31], v[18:19]
	ds_read_b128 v[18:21], v36 offset:768
	s_waitcnt lgkmcnt(1)
	v_mul_f64 v[54:55], v[44:45], v[2:3]
	v_fma_f64 v[54:55], v[42:43], v[0:1], -v[54:55]
	v_add_f64 v[54:55], v[58:59], v[54:55]
	v_mul_f64 v[56:57], v[42:43], v[2:3]
	s_waitcnt lgkmcnt(0)
	v_mul_f64 v[58:59], v[44:45], v[20:21]
	v_fma_f64 v[58:59], v[42:43], v[18:19], -v[58:59]
	v_mul_f64 v[42:43], v[42:43], v[20:21]
	v_fmac_f64_e32 v[42:43], v[44:45], v[18:19]
	v_add_f64 v[38:39], v[42:43], v[38:39]
	v_mul_f64 v[42:43], v[28:29], v[2:3]
	v_mul_f64 v[2:3], v[26:27], v[2:3]
	v_fmac_f64_e32 v[56:57], v[44:45], v[0:1]
	v_fma_f64 v[42:43], v[26:27], v[0:1], -v[42:43]
	v_fmac_f64_e32 v[2:3], v[28:29], v[0:1]
	v_mul_f64 v[0:1], v[28:29], v[20:21]
	v_add_f64 v[42:43], v[22:23], v[42:43]
	v_add_f64 v[44:45], v[2:3], v[24:25]
	v_fma_f64 v[22:23], v[26:27], v[18:19], -v[0:1]
	v_mul_f64 v[20:21], v[26:27], v[20:21]
	ds_read_b128 v[0:3], v36 offset:1024
	v_fmac_f64_e32 v[20:21], v[28:29], v[18:19]
	v_add_f64 v[30:31], v[20:21], v[30:31]
	ds_read_b128 v[18:21], v36 offset:1280
	v_add_f64 v[32:33], v[32:33], v[22:23]
	s_waitcnt lgkmcnt(1)
	v_mul_f64 v[22:23], v[48:49], v[2:3]
	v_fma_f64 v[22:23], v[46:47], v[0:1], -v[22:23]
	v_mul_f64 v[24:25], v[46:47], v[2:3]
	v_add_f64 v[56:57], v[56:57], v[60:61]
	v_fmac_f64_e32 v[24:25], v[48:49], v[0:1]
	v_add_f64 v[54:55], v[54:55], v[22:23]
	s_waitcnt lgkmcnt(0)
	v_mul_f64 v[22:23], v[48:49], v[20:21]
	v_add_f64 v[56:57], v[24:25], v[56:57]
	v_fma_f64 v[26:27], v[46:47], v[18:19], -v[22:23]
	ds_read_b128 v[22:25], v37 offset:2080
	v_mul_f64 v[28:29], v[46:47], v[20:21]
	v_add_f64 v[40:41], v[40:41], v[58:59]
	v_fmac_f64_e32 v[28:29], v[48:49], v[18:19]
	v_add_f64 v[40:41], v[40:41], v[26:27]
	v_add_f64 v[38:39], v[28:29], v[38:39]
	ds_read_b128 v[26:29], v37 offset:2096
	s_waitcnt lgkmcnt(1)
	v_mul_f64 v[46:47], v[24:25], v[2:3]
	v_mul_f64 v[2:3], v[22:23], v[2:3]
	v_fma_f64 v[46:47], v[22:23], v[0:1], -v[46:47]
	v_fmac_f64_e32 v[2:3], v[24:25], v[0:1]
	v_mul_f64 v[0:1], v[24:25], v[20:21]
	v_mul_f64 v[20:21], v[22:23], v[20:21]
	v_fmac_f64_e32 v[20:21], v[24:25], v[18:19]
	v_add_f64 v[42:43], v[42:43], v[46:47]
	v_add_f64 v[44:45], v[2:3], v[44:45]
	v_fma_f64 v[46:47], v[22:23], v[18:19], -v[0:1]
	ds_read_b128 v[0:3], v36 offset:1536
	v_add_f64 v[24:25], v[20:21], v[30:31]
	ds_read_b128 v[18:21], v36 offset:1792
	v_add_f64 v[22:23], v[32:33], v[46:47]
	s_add_u32 s10, s10, 8
	s_waitcnt lgkmcnt(1)
	v_mul_f64 v[30:31], v[52:53], v[2:3]
	v_mul_f64 v[32:33], v[50:51], v[2:3]
	s_waitcnt lgkmcnt(0)
	v_mul_f64 v[46:47], v[52:53], v[20:21]
	v_fma_f64 v[46:47], v[50:51], v[18:19], -v[46:47]
	v_add_f64 v[40:41], v[40:41], v[46:47]
	v_mul_f64 v[46:47], v[28:29], v[2:3]
	v_mul_f64 v[2:3], v[26:27], v[2:3]
	v_fma_f64 v[30:31], v[50:51], v[0:1], -v[30:31]
	v_fmac_f64_e32 v[32:33], v[52:53], v[0:1]
	v_fma_f64 v[46:47], v[26:27], v[0:1], -v[46:47]
	v_fmac_f64_e32 v[2:3], v[28:29], v[0:1]
	v_mul_f64 v[0:1], v[28:29], v[20:21]
	v_mul_f64 v[48:49], v[50:51], v[20:21]
	v_add_f64 v[42:43], v[42:43], v[46:47]
	v_fma_f64 v[46:47], v[26:27], v[18:19], -v[0:1]
	v_mul_f64 v[26:27], v[26:27], v[20:21]
	v_fmac_f64_e32 v[48:49], v[52:53], v[18:19]
	v_add_f64 v[44:45], v[2:3], v[44:45]
	v_fmac_f64_e32 v[26:27], v[28:29], v[18:19]
	ds_read_b128 v[0:3], v37 offset:64
	ds_read_b128 v[18:21], v36 offset:2048
	v_add_f64 v[38:39], v[48:49], v[38:39]
	v_add_f64 v[46:47], v[22:23], v[46:47]
	;; [unrolled: 1-line block ×3, first 2 shown]
	ds_read_b128 v[22:25], v36 offset:2304
	ds_read_b128 v[26:29], v37 offset:80
	s_waitcnt lgkmcnt(2)
	v_mul_f64 v[50:51], v[2:3], v[20:21]
	v_add_f64 v[30:31], v[54:55], v[30:31]
	v_fma_f64 v[50:51], v[0:1], v[18:19], -v[50:51]
	v_mul_f64 v[52:53], v[0:1], v[20:21]
	v_add_f64 v[32:33], v[32:33], v[56:57]
	v_fmac_f64_e32 v[52:53], v[2:3], v[18:19]
	v_add_f64 v[50:51], v[30:31], v[50:51]
	s_waitcnt lgkmcnt(1)
	v_mul_f64 v[30:31], v[2:3], v[24:25]
	v_add_f64 v[52:53], v[52:53], v[32:33]
	v_fma_f64 v[54:55], v[0:1], v[22:23], -v[30:31]
	ds_read_b128 v[30:33], v37 offset:2112
	v_mul_f64 v[0:1], v[0:1], v[24:25]
	v_fmac_f64_e32 v[0:1], v[2:3], v[22:23]
	v_add_f64 v[40:41], v[40:41], v[54:55]
	v_add_f64 v[38:39], v[0:1], v[38:39]
	ds_read_b128 v[0:3], v37 offset:2128
	s_waitcnt lgkmcnt(1)
	v_mul_f64 v[54:55], v[32:33], v[20:21]
	v_mul_f64 v[20:21], v[30:31], v[20:21]
	v_fma_f64 v[54:55], v[30:31], v[18:19], -v[54:55]
	v_fmac_f64_e32 v[20:21], v[32:33], v[18:19]
	v_mul_f64 v[18:19], v[32:33], v[24:25]
	v_add_f64 v[42:43], v[42:43], v[54:55]
	v_add_f64 v[44:45], v[20:21], v[44:45]
	v_fma_f64 v[54:55], v[30:31], v[22:23], -v[18:19]
	v_mul_f64 v[24:25], v[30:31], v[24:25]
	ds_read_b128 v[18:21], v36 offset:2560
	v_fmac_f64_e32 v[24:25], v[32:33], v[22:23]
	v_add_f64 v[32:33], v[24:25], v[48:49]
	ds_read_b128 v[22:25], v36 offset:2816
	v_add_f64 v[30:31], v[46:47], v[54:55]
	s_waitcnt lgkmcnt(1)
	v_mul_f64 v[46:47], v[28:29], v[20:21]
	v_fma_f64 v[46:47], v[26:27], v[18:19], -v[46:47]
	v_add_f64 v[46:47], v[50:51], v[46:47]
	s_waitcnt lgkmcnt(0)
	v_mul_f64 v[50:51], v[28:29], v[24:25]
	v_mul_f64 v[48:49], v[26:27], v[20:21]
	v_fma_f64 v[50:51], v[26:27], v[22:23], -v[50:51]
	v_mul_f64 v[26:27], v[26:27], v[24:25]
	v_fmac_f64_e32 v[26:27], v[28:29], v[22:23]
	v_add_f64 v[38:39], v[26:27], v[38:39]
	v_mul_f64 v[26:27], v[2:3], v[20:21]
	v_mul_f64 v[20:21], v[0:1], v[20:21]
	v_fmac_f64_e32 v[48:49], v[28:29], v[18:19]
	v_fma_f64 v[26:27], v[0:1], v[18:19], -v[26:27]
	v_fmac_f64_e32 v[20:21], v[2:3], v[18:19]
	v_mul_f64 v[18:19], v[2:3], v[24:25]
	v_mul_f64 v[24:25], v[0:1], v[24:25]
	v_add_f64 v[42:43], v[42:43], v[26:27]
	v_add_f64 v[44:45], v[20:21], v[44:45]
	v_fma_f64 v[26:27], v[0:1], v[22:23], -v[18:19]
	v_fmac_f64_e32 v[24:25], v[2:3], v[22:23]
	ds_read_b128 v[0:3], v37 offset:96
	ds_read_b128 v[18:21], v36 offset:3072
	v_add_f64 v[48:49], v[48:49], v[52:53]
	v_add_f64 v[40:41], v[40:41], v[50:51]
	;; [unrolled: 1-line block ×4, first 2 shown]
	ds_read_b128 v[22:25], v36 offset:3328
	ds_read_b128 v[26:29], v37 offset:112
	s_waitcnt lgkmcnt(2)
	v_mul_f64 v[30:31], v[2:3], v[20:21]
	v_fma_f64 v[30:31], v[0:1], v[18:19], -v[30:31]
	v_mul_f64 v[32:33], v[0:1], v[20:21]
	v_fmac_f64_e32 v[32:33], v[2:3], v[18:19]
	v_add_f64 v[46:47], v[46:47], v[30:31]
	s_waitcnt lgkmcnt(1)
	v_mul_f64 v[30:31], v[2:3], v[24:25]
	v_add_f64 v[48:49], v[32:33], v[48:49]
	v_fma_f64 v[54:55], v[0:1], v[22:23], -v[30:31]
	ds_read_b128 v[30:33], v37 offset:2144
	v_mul_f64 v[0:1], v[0:1], v[24:25]
	v_fmac_f64_e32 v[0:1], v[2:3], v[22:23]
	v_add_f64 v[56:57], v[0:1], v[38:39]
	ds_read_b128 v[0:3], v37 offset:2160
	s_waitcnt lgkmcnt(1)
	v_mul_f64 v[38:39], v[32:33], v[20:21]
	v_mul_f64 v[20:21], v[30:31], v[20:21]
	v_fma_f64 v[38:39], v[30:31], v[18:19], -v[38:39]
	v_fmac_f64_e32 v[20:21], v[32:33], v[18:19]
	v_mul_f64 v[18:19], v[32:33], v[24:25]
	v_add_f64 v[42:43], v[42:43], v[38:39]
	v_add_f64 v[44:45], v[20:21], v[44:45]
	v_fma_f64 v[38:39], v[30:31], v[22:23], -v[18:19]
	ds_read_b128 v[18:21], v36 offset:3584
	v_add_f64 v[54:55], v[40:41], v[54:55]
	v_add_f64 v[50:51], v[50:51], v[38:39]
	ds_read_b128 v[38:41], v36 offset:3840
	v_mul_f64 v[24:25], v[30:31], v[24:25]
	v_fmac_f64_e32 v[24:25], v[32:33], v[22:23]
	s_waitcnt lgkmcnt(1)
	v_mul_f64 v[22:23], v[28:29], v[20:21]
	v_fma_f64 v[22:23], v[26:27], v[18:19], -v[22:23]
	v_add_f64 v[52:53], v[24:25], v[52:53]
	v_mul_f64 v[24:25], v[26:27], v[20:21]
	v_add_f64 v[30:31], v[46:47], v[22:23]
	s_waitcnt lgkmcnt(0)
	v_mul_f64 v[22:23], v[28:29], v[40:41]
	v_fmac_f64_e32 v[24:25], v[28:29], v[18:19]
	v_fma_f64 v[22:23], v[26:27], v[38:39], -v[22:23]
	v_add_f64 v[32:33], v[24:25], v[48:49]
	v_mul_f64 v[24:25], v[26:27], v[40:41]
	v_add_f64 v[26:27], v[54:55], v[22:23]
	v_mul_f64 v[22:23], v[2:3], v[20:21]
	v_mul_f64 v[20:21], v[0:1], v[20:21]
	v_fma_f64 v[22:23], v[0:1], v[18:19], -v[22:23]
	v_fmac_f64_e32 v[20:21], v[2:3], v[18:19]
	v_mul_f64 v[18:19], v[2:3], v[40:41]
	v_fma_f64 v[18:19], v[0:1], v[38:39], -v[18:19]
	v_mul_f64 v[0:1], v[0:1], v[40:41]
	s_addc_u32 s11, s11, 0
	v_fmac_f64_e32 v[24:25], v[28:29], v[38:39]
	v_fmac_f64_e32 v[0:1], v[2:3], v[38:39]
	v_cmp_lt_i64_e32 vcc, s[10:11], v[16:17]
	v_add_f64 v[28:29], v[24:25], v[56:57]
	v_add_f64 v[22:23], v[42:43], v[22:23]
	;; [unrolled: 1-line block ×5, first 2 shown]
	v_lshl_add_u64 v[12:13], v[12:13], 0, s[8:9]
	v_lshl_add_u64 v[14:15], v[14:15], 0, s[12:13]
	s_barrier
	s_cbranch_vccz .LBB285_8
.LBB285_3:                              ; =>This Inner Loop Header: Depth=1
	v_lshl_add_u64 v[0:1], v[8:9], 0, s[10:11]
	v_cmp_gt_i64_e32 vcc, s[40:41], v[0:1]
	s_and_b64 s[34:35], s[0:1], vcc
	v_mov_b64_e32 v[0:1], 0
	v_mov_b64_e32 v[2:3], 0
	s_and_saveexec_b64 s[30:31], s[34:35]
	s_cbranch_execz .LBB285_5
; %bb.4:                                ;   in Loop: Header=BB285_3 Depth=1
	flat_load_dwordx4 v[0:3], v[14:15]
	s_waitcnt vmcnt(0) lgkmcnt(0)
	v_xor_b32_e32 v3, 0x80000000, v3
.LBB285_5:                              ;   in Loop: Header=BB285_3 Depth=1
	s_or_b64 exec, exec, s[30:31]
	ds_write_b128 v34, v[0:3]
	v_lshl_add_u64 v[0:1], v[10:11], 0, s[10:11]
	v_cmp_gt_i64_e32 vcc, s[40:41], v[0:1]
	s_and_b64 s[34:35], vcc, s[2:3]
	v_mov_b64_e32 v[0:1], 0
	v_mov_b64_e32 v[2:3], 0
	s_and_saveexec_b64 s[30:31], s[34:35]
	s_cbranch_execz .LBB285_2
; %bb.6:                                ;   in Loop: Header=BB285_3 Depth=1
	flat_load_dwordx4 v[0:3], v[12:13]
	s_waitcnt vmcnt(0) lgkmcnt(0)
	v_xor_b32_e32 v3, 0x80000000, v3
	s_branch .LBB285_2
.LBB285_7:
	v_mov_b64_e32 v[30:31], 0
	v_mov_b64_e32 v[32:33], 0
	;; [unrolled: 1-line block ×8, first 2 shown]
.LBB285_8:
	s_lshl_b64 s[0:1], s[28:29], 4
	s_waitcnt lgkmcnt(0)
	s_add_u32 s8, s4, s0
	s_addc_u32 s9, s5, s1
	v_cmp_neq_f64_e64 s[0:1], s[14:15], 0
	v_cmp_neq_f64_e64 s[2:3], s[16:17], 0
	v_lshl_add_u64 v[0:1], s[24:25], 0, v[6:7]
	s_or_b64 s[4:5], s[0:1], s[2:3]
	v_cmp_gt_i64_e64 s[0:1], s[38:39], v[0:1]
	s_mov_b64 s[2:3], -1
	s_and_b64 vcc, exec, s[4:5]
	s_cbranch_vccnz .LBB285_20
; %bb.9:
	s_and_saveexec_b64 s[10:11], s[0:1]
	s_cbranch_execz .LBB285_19
; %bb.10:
	v_mul_lo_u32 v8, v1, s26
	v_mul_lo_u32 v9, v0, s27
	v_mad_u64_u32 v[6:7], s[2:3], v0, s26, 0
	v_add3_u32 v7, v7, v9, v8
	v_lshl_add_u64 v[2:3], s[18:19], 0, v[4:5]
	v_lshl_add_u64 v[6:7], v[6:7], 4, s[8:9]
	v_cmp_gt_i64_e32 vcc, s[36:37], v[2:3]
	v_lshl_add_u64 v[8:9], v[2:3], 4, v[6:7]
	s_and_saveexec_b64 s[2:3], vcc
	s_cbranch_execz .LBB285_12
; %bb.11:
	v_mul_f64 v[10:11], s[44:45], v[32:33]
	v_mul_f64 v[12:13], s[42:43], v[32:33]
	v_fma_f64 v[10:11], s[42:43], v[30:31], -v[10:11]
	v_fmac_f64_e32 v[12:13], s[44:45], v[30:31]
	flat_store_dwordx4 v[8:9], v[10:13]
.LBB285_12:
	s_or_b64 exec, exec, s[2:3]
	s_nop 0
	v_lshl_add_u64 v[10:11], v[2:3], 0, 16
	v_cmp_gt_i64_e64 s[2:3], s[36:37], v[10:11]
	s_and_saveexec_b64 s[4:5], s[2:3]
	s_cbranch_execz .LBB285_14
; %bb.13:
	v_mul_f64 v[10:11], s[44:45], v[28:29]
	v_mul_f64 v[12:13], s[42:43], v[28:29]
	v_fma_f64 v[10:11], s[42:43], v[26:27], -v[10:11]
	v_fmac_f64_e32 v[12:13], s[44:45], v[26:27]
	flat_store_dwordx4 v[8:9], v[10:13] offset:256
.LBB285_14:
	s_or_b64 exec, exec, s[4:5]
	v_lshl_add_u64 v[8:9], v[0:1], 0, 16
	v_cmp_gt_i64_e64 s[4:5], s[38:39], v[8:9]
	s_and_b64 exec, exec, s[4:5]
	s_cbranch_execz .LBB285_19
; %bb.15:
	s_lshl_b64 s[4:5], s[26:27], 8
	v_lshl_add_u64 v[6:7], v[6:7], 0, s[4:5]
	v_lshl_add_u64 v[2:3], v[2:3], 4, v[6:7]
	s_and_saveexec_b64 s[4:5], vcc
	s_cbranch_execz .LBB285_17
; %bb.16:
	v_mul_f64 v[6:7], s[44:45], v[24:25]
	v_mul_f64 v[8:9], s[42:43], v[24:25]
	v_fma_f64 v[6:7], s[42:43], v[22:23], -v[6:7]
	v_fmac_f64_e32 v[8:9], s[44:45], v[22:23]
	flat_store_dwordx4 v[2:3], v[6:9]
.LBB285_17:
	s_or_b64 exec, exec, s[4:5]
	s_and_b64 exec, exec, s[2:3]
	s_cbranch_execz .LBB285_19
; %bb.18:
	v_mul_f64 v[6:7], s[44:45], v[18:19]
	v_mul_f64 v[8:9], s[42:43], v[18:19]
	v_fma_f64 v[6:7], s[42:43], v[20:21], -v[6:7]
	v_fmac_f64_e32 v[8:9], s[44:45], v[20:21]
	flat_store_dwordx4 v[2:3], v[6:9] offset:256
.LBB285_19:
	s_or_b64 exec, exec, s[10:11]
	s_mov_b64 s[2:3], 0
.LBB285_20:
	s_andn2_b64 vcc, exec, s[2:3]
	s_cbranch_vccnz .LBB285_31
; %bb.21:
	s_and_saveexec_b64 s[2:3], s[0:1]
	s_cbranch_execz .LBB285_31
; %bb.22:
	s_lshl_b64 s[0:1], s[22:23], 4
	v_lshl_add_u64 v[8:9], s[18:19], 0, v[4:5]
	v_mul_lo_u32 v4, v1, s20
	v_mul_lo_u32 v5, v0, s21
	v_mad_u64_u32 v[2:3], s[2:3], v0, s20, 0
	s_add_u32 s0, s6, s0
	v_add3_u32 v3, v3, v5, v4
	v_mul_lo_u32 v6, v1, s26
	v_mul_lo_u32 v7, v0, s27
	v_mad_u64_u32 v[4:5], s[2:3], v0, s26, 0
	s_addc_u32 s1, s7, s1
	v_add3_u32 v5, v5, v7, v6
	v_cmp_gt_i64_e32 vcc, s[36:37], v[8:9]
	v_lshl_add_u64 v[6:7], v[2:3], 4, s[0:1]
	v_lshl_add_u64 v[4:5], v[4:5], 4, s[8:9]
	v_lshlrev_b64 v[2:3], 4, v[8:9]
	s_and_saveexec_b64 s[0:1], vcc
	s_cbranch_execz .LBB285_24
; %bb.23:
	v_lshl_add_u64 v[10:11], v[6:7], 0, v[2:3]
	flat_load_dwordx4 v[10:13], v[10:11]
	v_mul_f64 v[14:15], s[44:45], v[32:33]
	v_mul_f64 v[16:17], s[42:43], v[32:33]
	v_fma_f64 v[14:15], s[42:43], v[30:31], -v[14:15]
	v_fmac_f64_e32 v[16:17], s[44:45], v[30:31]
	s_waitcnt vmcnt(0) lgkmcnt(0)
	v_mul_f64 v[30:31], s[16:17], v[12:13]
	v_mul_f64 v[12:13], s[14:15], v[12:13]
	v_fma_f64 v[30:31], s[14:15], v[10:11], -v[30:31]
	v_fmac_f64_e32 v[12:13], s[16:17], v[10:11]
	v_add_f64 v[10:11], v[14:15], v[30:31]
	v_add_f64 v[12:13], v[16:17], v[12:13]
	v_lshl_add_u64 v[14:15], v[4:5], 0, v[2:3]
	flat_store_dwordx4 v[14:15], v[10:13]
.LBB285_24:
	s_or_b64 exec, exec, s[0:1]
	v_lshl_add_u64 v[8:9], v[8:9], 0, 16
	v_cmp_gt_i64_e64 s[0:1], s[36:37], v[8:9]
	s_and_saveexec_b64 s[2:3], s[0:1]
	s_cbranch_execz .LBB285_26
; %bb.25:
	v_lshl_add_u64 v[8:9], v[6:7], 0, v[2:3]
	flat_load_dwordx4 v[8:11], v[8:9] offset:256
	v_mul_f64 v[12:13], s[44:45], v[28:29]
	v_mul_f64 v[14:15], s[42:43], v[28:29]
	v_fma_f64 v[12:13], s[42:43], v[26:27], -v[12:13]
	v_fmac_f64_e32 v[14:15], s[44:45], v[26:27]
	s_waitcnt vmcnt(0) lgkmcnt(0)
	v_mul_f64 v[16:17], s[16:17], v[10:11]
	v_mul_f64 v[10:11], s[14:15], v[10:11]
	v_fma_f64 v[16:17], s[14:15], v[8:9], -v[16:17]
	v_fmac_f64_e32 v[10:11], s[16:17], v[8:9]
	v_add_f64 v[8:9], v[12:13], v[16:17]
	v_add_f64 v[10:11], v[14:15], v[10:11]
	v_lshl_add_u64 v[12:13], v[4:5], 0, v[2:3]
	flat_store_dwordx4 v[12:13], v[8:11] offset:256
.LBB285_26:
	s_or_b64 exec, exec, s[2:3]
	v_lshl_add_u64 v[0:1], v[0:1], 0, 16
	v_cmp_gt_i64_e64 s[2:3], s[38:39], v[0:1]
	s_and_b64 exec, exec, s[2:3]
	s_cbranch_execz .LBB285_31
; %bb.27:
	s_lshl_b64 s[2:3], s[20:21], 8
	v_lshl_add_u64 v[0:1], v[6:7], 0, s[2:3]
	s_lshl_b64 s[2:3], s[26:27], 8
	v_lshl_add_u64 v[6:7], v[4:5], 0, s[2:3]
	v_lshl_add_u64 v[4:5], v[0:1], 0, v[2:3]
	;; [unrolled: 1-line block ×3, first 2 shown]
	s_and_saveexec_b64 s[2:3], vcc
	s_cbranch_execz .LBB285_29
; %bb.28:
	flat_load_dwordx4 v[6:9], v[4:5]
	v_mul_f64 v[2:3], s[44:45], v[24:25]
	v_mul_f64 v[10:11], s[42:43], v[24:25]
	v_fma_f64 v[2:3], s[42:43], v[22:23], -v[2:3]
	v_fmac_f64_e32 v[10:11], s[44:45], v[22:23]
	s_waitcnt vmcnt(0) lgkmcnt(0)
	v_mul_f64 v[12:13], s[16:17], v[8:9]
	v_mul_f64 v[8:9], s[14:15], v[8:9]
	v_fma_f64 v[12:13], s[14:15], v[6:7], -v[12:13]
	v_fmac_f64_e32 v[8:9], s[16:17], v[6:7]
	v_add_f64 v[6:7], v[2:3], v[12:13]
	v_add_f64 v[8:9], v[10:11], v[8:9]
	flat_store_dwordx4 v[0:1], v[6:9]
.LBB285_29:
	s_or_b64 exec, exec, s[2:3]
	s_and_b64 exec, exec, s[0:1]
	s_cbranch_execz .LBB285_31
; %bb.30:
	flat_load_dwordx4 v[2:5], v[4:5] offset:256
	v_mul_f64 v[6:7], s[44:45], v[18:19]
	v_mul_f64 v[8:9], s[42:43], v[18:19]
	v_fma_f64 v[6:7], s[42:43], v[20:21], -v[6:7]
	v_fmac_f64_e32 v[8:9], s[44:45], v[20:21]
	s_waitcnt vmcnt(0) lgkmcnt(0)
	v_mul_f64 v[10:11], s[16:17], v[4:5]
	v_mul_f64 v[4:5], s[14:15], v[4:5]
	v_fma_f64 v[10:11], s[14:15], v[2:3], -v[10:11]
	v_fmac_f64_e32 v[4:5], s[16:17], v[2:3]
	v_add_f64 v[2:3], v[6:7], v[10:11]
	v_add_f64 v[4:5], v[8:9], v[4:5]
	flat_store_dwordx4 v[0:1], v[2:5] offset:256
.LBB285_31:
	s_endpgm
	.section	.rodata,"a",@progbits
	.p2align	6, 0x0
	.amdhsa_kernel _ZN12_GLOBAL__N_135rocblas_gemm_batched_general_kernelI19rocblas_complex_numIdELi16ELi16ELi32ELi32ELi8ELi32ELi8ELi8ELi32ELc67ELc67EKPKS2_S5_KPS2_EEvlllT_PT11_llSA_llS8_PT12_llPT13_lli
		.amdhsa_group_segment_fixed_size 8192
		.amdhsa_private_segment_fixed_size 0
		.amdhsa_kernarg_size 156
		.amdhsa_user_sgpr_count 2
		.amdhsa_user_sgpr_dispatch_ptr 0
		.amdhsa_user_sgpr_queue_ptr 0
		.amdhsa_user_sgpr_kernarg_segment_ptr 1
		.amdhsa_user_sgpr_dispatch_id 0
		.amdhsa_user_sgpr_kernarg_preload_length 0
		.amdhsa_user_sgpr_kernarg_preload_offset 0
		.amdhsa_user_sgpr_private_segment_size 0
		.amdhsa_uses_dynamic_stack 0
		.amdhsa_enable_private_segment 0
		.amdhsa_system_sgpr_workgroup_id_x 1
		.amdhsa_system_sgpr_workgroup_id_y 1
		.amdhsa_system_sgpr_workgroup_id_z 1
		.amdhsa_system_sgpr_workgroup_info 0
		.amdhsa_system_vgpr_workitem_id 1
		.amdhsa_next_free_vgpr 64
		.amdhsa_next_free_sgpr 52
		.amdhsa_accum_offset 64
		.amdhsa_reserve_vcc 1
		.amdhsa_float_round_mode_32 0
		.amdhsa_float_round_mode_16_64 0
		.amdhsa_float_denorm_mode_32 3
		.amdhsa_float_denorm_mode_16_64 3
		.amdhsa_dx10_clamp 1
		.amdhsa_ieee_mode 1
		.amdhsa_fp16_overflow 0
		.amdhsa_tg_split 0
		.amdhsa_exception_fp_ieee_invalid_op 0
		.amdhsa_exception_fp_denorm_src 0
		.amdhsa_exception_fp_ieee_div_zero 0
		.amdhsa_exception_fp_ieee_overflow 0
		.amdhsa_exception_fp_ieee_underflow 0
		.amdhsa_exception_fp_ieee_inexact 0
		.amdhsa_exception_int_div_zero 0
	.end_amdhsa_kernel
	.section	.text._ZN12_GLOBAL__N_135rocblas_gemm_batched_general_kernelI19rocblas_complex_numIdELi16ELi16ELi32ELi32ELi8ELi32ELi8ELi8ELi32ELc67ELc67EKPKS2_S5_KPS2_EEvlllT_PT11_llSA_llS8_PT12_llPT13_lli,"axG",@progbits,_ZN12_GLOBAL__N_135rocblas_gemm_batched_general_kernelI19rocblas_complex_numIdELi16ELi16ELi32ELi32ELi8ELi32ELi8ELi8ELi32ELc67ELc67EKPKS2_S5_KPS2_EEvlllT_PT11_llSA_llS8_PT12_llPT13_lli,comdat
.Lfunc_end285:
	.size	_ZN12_GLOBAL__N_135rocblas_gemm_batched_general_kernelI19rocblas_complex_numIdELi16ELi16ELi32ELi32ELi8ELi32ELi8ELi8ELi32ELc67ELc67EKPKS2_S5_KPS2_EEvlllT_PT11_llSA_llS8_PT12_llPT13_lli, .Lfunc_end285-_ZN12_GLOBAL__N_135rocblas_gemm_batched_general_kernelI19rocblas_complex_numIdELi16ELi16ELi32ELi32ELi8ELi32ELi8ELi8ELi32ELc67ELc67EKPKS2_S5_KPS2_EEvlllT_PT11_llSA_llS8_PT12_llPT13_lli
                                        ; -- End function
	.set _ZN12_GLOBAL__N_135rocblas_gemm_batched_general_kernelI19rocblas_complex_numIdELi16ELi16ELi32ELi32ELi8ELi32ELi8ELi8ELi32ELc67ELc67EKPKS2_S5_KPS2_EEvlllT_PT11_llSA_llS8_PT12_llPT13_lli.num_vgpr, 64
	.set _ZN12_GLOBAL__N_135rocblas_gemm_batched_general_kernelI19rocblas_complex_numIdELi16ELi16ELi32ELi32ELi8ELi32ELi8ELi8ELi32ELc67ELc67EKPKS2_S5_KPS2_EEvlllT_PT11_llSA_llS8_PT12_llPT13_lli.num_agpr, 0
	.set _ZN12_GLOBAL__N_135rocblas_gemm_batched_general_kernelI19rocblas_complex_numIdELi16ELi16ELi32ELi32ELi8ELi32ELi8ELi8ELi32ELc67ELc67EKPKS2_S5_KPS2_EEvlllT_PT11_llSA_llS8_PT12_llPT13_lli.numbered_sgpr, 52
	.set _ZN12_GLOBAL__N_135rocblas_gemm_batched_general_kernelI19rocblas_complex_numIdELi16ELi16ELi32ELi32ELi8ELi32ELi8ELi8ELi32ELc67ELc67EKPKS2_S5_KPS2_EEvlllT_PT11_llSA_llS8_PT12_llPT13_lli.num_named_barrier, 0
	.set _ZN12_GLOBAL__N_135rocblas_gemm_batched_general_kernelI19rocblas_complex_numIdELi16ELi16ELi32ELi32ELi8ELi32ELi8ELi8ELi32ELc67ELc67EKPKS2_S5_KPS2_EEvlllT_PT11_llSA_llS8_PT12_llPT13_lli.private_seg_size, 0
	.set _ZN12_GLOBAL__N_135rocblas_gemm_batched_general_kernelI19rocblas_complex_numIdELi16ELi16ELi32ELi32ELi8ELi32ELi8ELi8ELi32ELc67ELc67EKPKS2_S5_KPS2_EEvlllT_PT11_llSA_llS8_PT12_llPT13_lli.uses_vcc, 1
	.set _ZN12_GLOBAL__N_135rocblas_gemm_batched_general_kernelI19rocblas_complex_numIdELi16ELi16ELi32ELi32ELi8ELi32ELi8ELi8ELi32ELc67ELc67EKPKS2_S5_KPS2_EEvlllT_PT11_llSA_llS8_PT12_llPT13_lli.uses_flat_scratch, 0
	.set _ZN12_GLOBAL__N_135rocblas_gemm_batched_general_kernelI19rocblas_complex_numIdELi16ELi16ELi32ELi32ELi8ELi32ELi8ELi8ELi32ELc67ELc67EKPKS2_S5_KPS2_EEvlllT_PT11_llSA_llS8_PT12_llPT13_lli.has_dyn_sized_stack, 0
	.set _ZN12_GLOBAL__N_135rocblas_gemm_batched_general_kernelI19rocblas_complex_numIdELi16ELi16ELi32ELi32ELi8ELi32ELi8ELi8ELi32ELc67ELc67EKPKS2_S5_KPS2_EEvlllT_PT11_llSA_llS8_PT12_llPT13_lli.has_recursion, 0
	.set _ZN12_GLOBAL__N_135rocblas_gemm_batched_general_kernelI19rocblas_complex_numIdELi16ELi16ELi32ELi32ELi8ELi32ELi8ELi8ELi32ELc67ELc67EKPKS2_S5_KPS2_EEvlllT_PT11_llSA_llS8_PT12_llPT13_lli.has_indirect_call, 0
	.section	.AMDGPU.csdata,"",@progbits
; Kernel info:
; codeLenInByte = 3500
; TotalNumSgprs: 58
; NumVgprs: 64
; NumAgprs: 0
; TotalNumVgprs: 64
; ScratchSize: 0
; MemoryBound: 1
; FloatMode: 240
; IeeeMode: 1
; LDSByteSize: 8192 bytes/workgroup (compile time only)
; SGPRBlocks: 7
; VGPRBlocks: 7
; NumSGPRsForWavesPerEU: 58
; NumVGPRsForWavesPerEU: 64
; AccumOffset: 64
; Occupancy: 8
; WaveLimiterHint : 1
; COMPUTE_PGM_RSRC2:SCRATCH_EN: 0
; COMPUTE_PGM_RSRC2:USER_SGPR: 2
; COMPUTE_PGM_RSRC2:TRAP_HANDLER: 0
; COMPUTE_PGM_RSRC2:TGID_X_EN: 1
; COMPUTE_PGM_RSRC2:TGID_Y_EN: 1
; COMPUTE_PGM_RSRC2:TGID_Z_EN: 1
; COMPUTE_PGM_RSRC2:TIDIG_COMP_CNT: 1
; COMPUTE_PGM_RSRC3_GFX90A:ACCUM_OFFSET: 15
; COMPUTE_PGM_RSRC3_GFX90A:TG_SPLIT: 0
	.section	.text._ZN12_GLOBAL__N_135rocblas_gemm_batched_general_kernelI19rocblas_complex_numIdELi16ELi16ELi32ELi32ELi8ELi32ELi8ELi8ELi32ELc67ELc78EKPKS2_S5_KPS2_EEvlllT_PT11_llSA_llS8_PT12_llPT13_lli,"axG",@progbits,_ZN12_GLOBAL__N_135rocblas_gemm_batched_general_kernelI19rocblas_complex_numIdELi16ELi16ELi32ELi32ELi8ELi32ELi8ELi8ELi32ELc67ELc78EKPKS2_S5_KPS2_EEvlllT_PT11_llSA_llS8_PT12_llPT13_lli,comdat
	.globl	_ZN12_GLOBAL__N_135rocblas_gemm_batched_general_kernelI19rocblas_complex_numIdELi16ELi16ELi32ELi32ELi8ELi32ELi8ELi8ELi32ELc67ELc78EKPKS2_S5_KPS2_EEvlllT_PT11_llSA_llS8_PT12_llPT13_lli ; -- Begin function _ZN12_GLOBAL__N_135rocblas_gemm_batched_general_kernelI19rocblas_complex_numIdELi16ELi16ELi32ELi32ELi8ELi32ELi8ELi8ELi32ELc67ELc78EKPKS2_S5_KPS2_EEvlllT_PT11_llSA_llS8_PT12_llPT13_lli
	.p2align	8
	.type	_ZN12_GLOBAL__N_135rocblas_gemm_batched_general_kernelI19rocblas_complex_numIdELi16ELi16ELi32ELi32ELi8ELi32ELi8ELi8ELi32ELc67ELc78EKPKS2_S5_KPS2_EEvlllT_PT11_llSA_llS8_PT12_llPT13_lli,@function
_ZN12_GLOBAL__N_135rocblas_gemm_batched_general_kernelI19rocblas_complex_numIdELi16ELi16ELi32ELi32ELi8ELi32ELi8ELi8ELi32ELc67ELc78EKPKS2_S5_KPS2_EEvlllT_PT11_llSA_llS8_PT12_llPT13_lli: ; @_ZN12_GLOBAL__N_135rocblas_gemm_batched_general_kernelI19rocblas_complex_numIdELi16ELi16ELi32ELi32ELi8ELi32ELi8ELi8ELi32ELc67ELc78EKPKS2_S5_KPS2_EEvlllT_PT11_llSA_llS8_PT12_llPT13_lli
; %bb.0:
	s_load_dwordx16 s[36:51], s[0:1], 0x0
	s_load_dwordx16 s[8:23], s[0:1], 0x40
	s_load_dwordx2 s[28:29], s[0:1], 0x90
	s_load_dwordx4 s[24:27], s[0:1], 0x80
	s_mov_b32 s5, 0
	s_lshl_b64 s[0:1], s[4:5], 3
	s_waitcnt lgkmcnt(0)
	s_add_u32 s4, s18, s0
	s_addc_u32 s5, s19, s1
	s_load_dwordx2 s[6:7], s[4:5], 0x0
	s_add_u32 s4, s24, s0
	s_addc_u32 s5, s25, s1
	s_load_dwordx2 s[4:5], s[4:5], 0x0
	s_mov_b32 s30, s3
	v_mov_b32_e32 v7, 0
	s_ashr_i32 s3, s2, 31
	s_ashr_i32 s31, s30, 31
	v_cmp_lt_i64_e64 s[24:25], s[40:41], 1
	v_and_b32_e32 v4, 0x3ff, v0
	v_bfe_u32 v6, v0, 10, 10
	v_mov_b32_e32 v5, v7
	s_lshl_b64 s[18:19], s[2:3], 5
	s_lshl_b64 s[2:3], s[30:31], 5
	s_and_b64 vcc, exec, s[24:25]
	s_cbranch_vccnz .LBB286_9
; %bb.1:
	s_add_u32 s8, s8, s0
	v_lshl_add_u32 v12, v6, 4, v4
	s_addc_u32 s9, s9, s1
	s_add_u32 s0, s46, s0
	v_and_b32_e32 v14, 31, v12
	v_lshrrev_b32_e32 v8, 5, v12
	v_and_b32_e32 v10, 7, v4
	s_addc_u32 s1, s47, s1
	v_lshrrev_b32_e32 v0, 3, v12
	v_or_b32_e32 v12, s18, v14
	v_mov_b32_e32 v13, s19
	s_load_dwordx2 s[24:25], s[0:1], 0x0
	v_mov_b32_e32 v1, v7
	v_cmp_gt_i64_e64 s[0:1], s[36:37], v[12:13]
	v_lshlrev_b32_e32 v12, 4, v10
	v_lshl_add_u64 v[2:3], v[0:1], 0, s[2:3]
	v_lshl_or_b32 v0, v0, 7, v12
	s_load_dwordx2 s[8:9], s[8:9], 0x0
	v_lshlrev_b32_e32 v1, 4, v14
	v_add_u32_e32 v35, 0x1000, v0
	v_mov_b32_e32 v0, 0x1000
	v_lshl_or_b32 v34, v8, 9, v1
	v_cmp_gt_i64_e32 vcc, s[38:39], v[2:3]
	v_lshl_add_u32 v37, v6, 7, v0
	v_mul_lo_u32 v13, s11, v2
	v_mul_lo_u32 v3, s10, v3
	v_mad_u64_u32 v[0:1], s[10:11], s10, v2, 0
	v_add3_u32 v1, v1, v3, v13
	s_lshl_b64 s[10:11], s[12:13], 4
	v_lshl_add_u64 v[0:1], v[0:1], 4, s[10:11]
	v_mov_b32_e32 v13, v7
	v_mov_b32_e32 v15, v7
	v_lshl_add_u64 v[0:1], v[0:1], 0, v[12:13]
	s_waitcnt lgkmcnt(0)
	v_lshl_add_u64 v[12:13], s[8:9], 0, v[0:1]
	v_lshl_add_u64 v[0:1], s[18:19], 0, v[14:15]
	v_mul_lo_u32 v2, s49, v0
	v_mul_lo_u32 v3, s48, v1
	v_mad_u64_u32 v[0:1], s[8:9], s48, v0, 0
	v_add3_u32 v1, v1, v3, v2
	s_lshl_b64 s[8:9], s[50:51], 4
	v_lshl_add_u64 v[0:1], v[0:1], 4, s[8:9]
	v_lshlrev_b32_e32 v2, 4, v8
	v_mov_b32_e32 v3, v7
	v_lshl_add_u64 v[0:1], v[0:1], 0, v[2:3]
	v_mov_b32_e32 v9, v7
	v_mov_b32_e32 v11, v7
	v_lshlrev_b32_e32 v36, 4, v4
	v_lshl_add_u64 v[14:15], s[24:25], 0, v[0:1]
	s_mov_b64 s[8:9], 0
	v_mov_b64_e32 v[18:19], 0
	s_xor_b64 s[10:11], vcc, -1
	s_mov_b64 s[12:13], 0x80
	v_mov_b32_e32 v38, v7
	v_mov_b32_e32 v39, v7
	;; [unrolled: 1-line block ×4, first 2 shown]
	v_mov_b64_e32 v[16:17], s[40:41]
	v_mov_b64_e32 v[20:21], 0
	;; [unrolled: 1-line block ×8, first 2 shown]
	s_branch .LBB286_3
.LBB286_2:                              ;   in Loop: Header=BB286_3 Depth=1
	s_or_b64 exec, exec, s[24:25]
	s_waitcnt lgkmcnt(0)
	s_barrier
	ds_read_b128 v[0:3], v36
	ds_read_b128 v[42:45], v37
	ds_read_b128 v[46:49], v37 offset:16
	ds_read_b128 v[50:53], v37 offset:32
	;; [unrolled: 1-line block ×4, first 2 shown]
	s_waitcnt lgkmcnt(4)
	v_mul_f64 v[62:63], v[44:45], v[2:3]
	v_fma_f64 v[62:63], v[42:43], v[0:1], -v[62:63]
	v_mul_f64 v[64:65], v[42:43], v[2:3]
	v_fmac_f64_e32 v[64:65], v[44:45], v[0:1]
	v_add_f64 v[62:63], v[30:31], v[62:63]
	s_waitcnt lgkmcnt(0)
	v_mul_f64 v[30:31], v[44:45], v[60:61]
	v_add_f64 v[64:65], v[64:65], v[32:33]
	v_fma_f64 v[66:67], v[42:43], v[58:59], -v[30:31]
	ds_read_b128 v[30:33], v37 offset:2048
	v_mul_f64 v[42:43], v[42:43], v[60:61]
	v_fmac_f64_e32 v[42:43], v[44:45], v[58:59]
	v_add_f64 v[44:45], v[26:27], v[66:67]
	v_add_f64 v[42:43], v[42:43], v[28:29]
	ds_read_b128 v[26:29], v37 offset:2064
	s_waitcnt lgkmcnt(1)
	v_mul_f64 v[66:67], v[32:33], v[2:3]
	v_mul_f64 v[2:3], v[30:31], v[2:3]
	v_fma_f64 v[66:67], v[30:31], v[0:1], -v[66:67]
	v_fmac_f64_e32 v[2:3], v[32:33], v[0:1]
	v_mul_f64 v[0:1], v[32:33], v[60:61]
	v_add_f64 v[22:23], v[22:23], v[66:67]
	v_add_f64 v[24:25], v[2:3], v[24:25]
	v_fma_f64 v[66:67], v[30:31], v[58:59], -v[0:1]
	v_mul_f64 v[30:31], v[30:31], v[60:61]
	ds_read_b128 v[0:3], v36 offset:512
	v_fmac_f64_e32 v[30:31], v[32:33], v[58:59]
	v_add_f64 v[32:33], v[20:21], v[66:67]
	v_add_f64 v[30:31], v[30:31], v[18:19]
	ds_read_b128 v[18:21], v36 offset:768
	s_waitcnt lgkmcnt(1)
	v_mul_f64 v[58:59], v[48:49], v[2:3]
	v_fma_f64 v[58:59], v[46:47], v[0:1], -v[58:59]
	v_add_f64 v[58:59], v[62:63], v[58:59]
	v_mul_f64 v[60:61], v[46:47], v[2:3]
	s_waitcnt lgkmcnt(0)
	v_mul_f64 v[62:63], v[48:49], v[20:21]
	v_fma_f64 v[62:63], v[46:47], v[18:19], -v[62:63]
	v_mul_f64 v[46:47], v[46:47], v[20:21]
	v_fmac_f64_e32 v[46:47], v[48:49], v[18:19]
	v_add_f64 v[42:43], v[46:47], v[42:43]
	v_mul_f64 v[46:47], v[28:29], v[2:3]
	v_mul_f64 v[2:3], v[26:27], v[2:3]
	v_fmac_f64_e32 v[60:61], v[48:49], v[0:1]
	v_fma_f64 v[46:47], v[26:27], v[0:1], -v[46:47]
	v_fmac_f64_e32 v[2:3], v[28:29], v[0:1]
	v_mul_f64 v[0:1], v[28:29], v[20:21]
	v_add_f64 v[46:47], v[22:23], v[46:47]
	v_add_f64 v[48:49], v[2:3], v[24:25]
	v_fma_f64 v[22:23], v[26:27], v[18:19], -v[0:1]
	v_mul_f64 v[20:21], v[26:27], v[20:21]
	ds_read_b128 v[0:3], v36 offset:1024
	v_fmac_f64_e32 v[20:21], v[28:29], v[18:19]
	v_add_f64 v[30:31], v[20:21], v[30:31]
	ds_read_b128 v[18:21], v36 offset:1280
	v_add_f64 v[32:33], v[32:33], v[22:23]
	s_waitcnt lgkmcnt(1)
	v_mul_f64 v[22:23], v[52:53], v[2:3]
	v_fma_f64 v[22:23], v[50:51], v[0:1], -v[22:23]
	v_mul_f64 v[24:25], v[50:51], v[2:3]
	v_add_f64 v[60:61], v[60:61], v[64:65]
	v_fmac_f64_e32 v[24:25], v[52:53], v[0:1]
	v_add_f64 v[58:59], v[58:59], v[22:23]
	s_waitcnt lgkmcnt(0)
	v_mul_f64 v[22:23], v[52:53], v[20:21]
	v_add_f64 v[60:61], v[24:25], v[60:61]
	v_fma_f64 v[26:27], v[50:51], v[18:19], -v[22:23]
	ds_read_b128 v[22:25], v37 offset:2080
	v_mul_f64 v[28:29], v[50:51], v[20:21]
	v_add_f64 v[44:45], v[44:45], v[62:63]
	v_fmac_f64_e32 v[28:29], v[52:53], v[18:19]
	v_add_f64 v[44:45], v[44:45], v[26:27]
	v_add_f64 v[42:43], v[28:29], v[42:43]
	ds_read_b128 v[26:29], v37 offset:2096
	s_waitcnt lgkmcnt(1)
	v_mul_f64 v[50:51], v[24:25], v[2:3]
	v_mul_f64 v[2:3], v[22:23], v[2:3]
	v_fma_f64 v[50:51], v[22:23], v[0:1], -v[50:51]
	v_fmac_f64_e32 v[2:3], v[24:25], v[0:1]
	v_mul_f64 v[0:1], v[24:25], v[20:21]
	v_mul_f64 v[20:21], v[22:23], v[20:21]
	v_fmac_f64_e32 v[20:21], v[24:25], v[18:19]
	v_add_f64 v[46:47], v[46:47], v[50:51]
	v_add_f64 v[48:49], v[2:3], v[48:49]
	v_fma_f64 v[50:51], v[22:23], v[18:19], -v[0:1]
	ds_read_b128 v[0:3], v36 offset:1536
	v_add_f64 v[24:25], v[20:21], v[30:31]
	ds_read_b128 v[18:21], v36 offset:1792
	v_add_f64 v[22:23], v[32:33], v[50:51]
	s_add_u32 s8, s8, 8
	s_waitcnt lgkmcnt(1)
	v_mul_f64 v[30:31], v[56:57], v[2:3]
	v_mul_f64 v[32:33], v[54:55], v[2:3]
	s_waitcnt lgkmcnt(0)
	v_mul_f64 v[50:51], v[56:57], v[20:21]
	v_fma_f64 v[50:51], v[54:55], v[18:19], -v[50:51]
	v_add_f64 v[44:45], v[44:45], v[50:51]
	v_mul_f64 v[50:51], v[28:29], v[2:3]
	v_mul_f64 v[2:3], v[26:27], v[2:3]
	v_fma_f64 v[30:31], v[54:55], v[0:1], -v[30:31]
	v_fmac_f64_e32 v[32:33], v[56:57], v[0:1]
	v_fma_f64 v[50:51], v[26:27], v[0:1], -v[50:51]
	v_fmac_f64_e32 v[2:3], v[28:29], v[0:1]
	v_mul_f64 v[0:1], v[28:29], v[20:21]
	v_mul_f64 v[52:53], v[54:55], v[20:21]
	v_add_f64 v[46:47], v[46:47], v[50:51]
	v_fma_f64 v[50:51], v[26:27], v[18:19], -v[0:1]
	v_mul_f64 v[26:27], v[26:27], v[20:21]
	v_fmac_f64_e32 v[52:53], v[56:57], v[18:19]
	v_add_f64 v[48:49], v[2:3], v[48:49]
	v_fmac_f64_e32 v[26:27], v[28:29], v[18:19]
	ds_read_b128 v[0:3], v37 offset:64
	ds_read_b128 v[18:21], v36 offset:2048
	v_add_f64 v[42:43], v[52:53], v[42:43]
	v_add_f64 v[50:51], v[22:23], v[50:51]
	;; [unrolled: 1-line block ×3, first 2 shown]
	ds_read_b128 v[22:25], v36 offset:2304
	ds_read_b128 v[26:29], v37 offset:80
	s_waitcnt lgkmcnt(2)
	v_mul_f64 v[54:55], v[2:3], v[20:21]
	v_add_f64 v[30:31], v[58:59], v[30:31]
	v_fma_f64 v[54:55], v[0:1], v[18:19], -v[54:55]
	v_mul_f64 v[56:57], v[0:1], v[20:21]
	v_add_f64 v[32:33], v[32:33], v[60:61]
	v_fmac_f64_e32 v[56:57], v[2:3], v[18:19]
	v_add_f64 v[54:55], v[30:31], v[54:55]
	s_waitcnt lgkmcnt(1)
	v_mul_f64 v[30:31], v[2:3], v[24:25]
	v_add_f64 v[56:57], v[56:57], v[32:33]
	v_fma_f64 v[58:59], v[0:1], v[22:23], -v[30:31]
	ds_read_b128 v[30:33], v37 offset:2112
	v_mul_f64 v[0:1], v[0:1], v[24:25]
	v_fmac_f64_e32 v[0:1], v[2:3], v[22:23]
	v_add_f64 v[44:45], v[44:45], v[58:59]
	v_add_f64 v[42:43], v[0:1], v[42:43]
	ds_read_b128 v[0:3], v37 offset:2128
	s_waitcnt lgkmcnt(1)
	v_mul_f64 v[58:59], v[32:33], v[20:21]
	v_mul_f64 v[20:21], v[30:31], v[20:21]
	v_fma_f64 v[58:59], v[30:31], v[18:19], -v[58:59]
	v_fmac_f64_e32 v[20:21], v[32:33], v[18:19]
	v_mul_f64 v[18:19], v[32:33], v[24:25]
	v_add_f64 v[46:47], v[46:47], v[58:59]
	v_add_f64 v[48:49], v[20:21], v[48:49]
	v_fma_f64 v[58:59], v[30:31], v[22:23], -v[18:19]
	v_mul_f64 v[24:25], v[30:31], v[24:25]
	ds_read_b128 v[18:21], v36 offset:2560
	v_fmac_f64_e32 v[24:25], v[32:33], v[22:23]
	v_add_f64 v[32:33], v[24:25], v[52:53]
	ds_read_b128 v[22:25], v36 offset:2816
	v_add_f64 v[30:31], v[50:51], v[58:59]
	s_waitcnt lgkmcnt(1)
	v_mul_f64 v[50:51], v[28:29], v[20:21]
	v_fma_f64 v[50:51], v[26:27], v[18:19], -v[50:51]
	v_add_f64 v[50:51], v[54:55], v[50:51]
	s_waitcnt lgkmcnt(0)
	v_mul_f64 v[54:55], v[28:29], v[24:25]
	v_mul_f64 v[52:53], v[26:27], v[20:21]
	v_fma_f64 v[54:55], v[26:27], v[22:23], -v[54:55]
	v_mul_f64 v[26:27], v[26:27], v[24:25]
	v_fmac_f64_e32 v[26:27], v[28:29], v[22:23]
	v_add_f64 v[42:43], v[26:27], v[42:43]
	v_mul_f64 v[26:27], v[2:3], v[20:21]
	v_mul_f64 v[20:21], v[0:1], v[20:21]
	v_fmac_f64_e32 v[52:53], v[28:29], v[18:19]
	v_fma_f64 v[26:27], v[0:1], v[18:19], -v[26:27]
	v_fmac_f64_e32 v[20:21], v[2:3], v[18:19]
	v_mul_f64 v[18:19], v[2:3], v[24:25]
	v_mul_f64 v[24:25], v[0:1], v[24:25]
	v_add_f64 v[46:47], v[46:47], v[26:27]
	v_add_f64 v[48:49], v[20:21], v[48:49]
	v_fma_f64 v[26:27], v[0:1], v[22:23], -v[18:19]
	v_fmac_f64_e32 v[24:25], v[2:3], v[22:23]
	ds_read_b128 v[0:3], v37 offset:96
	ds_read_b128 v[18:21], v36 offset:3072
	v_add_f64 v[52:53], v[52:53], v[56:57]
	v_add_f64 v[44:45], v[44:45], v[54:55]
	;; [unrolled: 1-line block ×4, first 2 shown]
	ds_read_b128 v[22:25], v36 offset:3328
	ds_read_b128 v[26:29], v37 offset:112
	s_waitcnt lgkmcnt(2)
	v_mul_f64 v[30:31], v[2:3], v[20:21]
	v_fma_f64 v[30:31], v[0:1], v[18:19], -v[30:31]
	v_mul_f64 v[32:33], v[0:1], v[20:21]
	v_fmac_f64_e32 v[32:33], v[2:3], v[18:19]
	v_add_f64 v[50:51], v[50:51], v[30:31]
	s_waitcnt lgkmcnt(1)
	v_mul_f64 v[30:31], v[2:3], v[24:25]
	v_add_f64 v[52:53], v[32:33], v[52:53]
	v_fma_f64 v[58:59], v[0:1], v[22:23], -v[30:31]
	ds_read_b128 v[30:33], v37 offset:2144
	v_mul_f64 v[0:1], v[0:1], v[24:25]
	v_fmac_f64_e32 v[0:1], v[2:3], v[22:23]
	v_add_f64 v[60:61], v[0:1], v[42:43]
	ds_read_b128 v[0:3], v37 offset:2160
	s_waitcnt lgkmcnt(1)
	v_mul_f64 v[42:43], v[32:33], v[20:21]
	v_mul_f64 v[20:21], v[30:31], v[20:21]
	v_fma_f64 v[42:43], v[30:31], v[18:19], -v[42:43]
	v_fmac_f64_e32 v[20:21], v[32:33], v[18:19]
	v_mul_f64 v[18:19], v[32:33], v[24:25]
	v_add_f64 v[46:47], v[46:47], v[42:43]
	v_add_f64 v[48:49], v[20:21], v[48:49]
	v_fma_f64 v[42:43], v[30:31], v[22:23], -v[18:19]
	ds_read_b128 v[18:21], v36 offset:3584
	v_add_f64 v[58:59], v[44:45], v[58:59]
	v_add_f64 v[54:55], v[54:55], v[42:43]
	ds_read_b128 v[42:45], v36 offset:3840
	v_mul_f64 v[24:25], v[30:31], v[24:25]
	v_fmac_f64_e32 v[24:25], v[32:33], v[22:23]
	s_waitcnt lgkmcnt(1)
	v_mul_f64 v[22:23], v[28:29], v[20:21]
	v_fma_f64 v[22:23], v[26:27], v[18:19], -v[22:23]
	v_add_f64 v[56:57], v[24:25], v[56:57]
	v_mul_f64 v[24:25], v[26:27], v[20:21]
	v_add_f64 v[30:31], v[50:51], v[22:23]
	s_waitcnt lgkmcnt(0)
	v_mul_f64 v[22:23], v[28:29], v[44:45]
	v_fmac_f64_e32 v[24:25], v[28:29], v[18:19]
	v_fma_f64 v[22:23], v[26:27], v[42:43], -v[22:23]
	v_add_f64 v[32:33], v[24:25], v[52:53]
	v_mul_f64 v[24:25], v[26:27], v[44:45]
	v_add_f64 v[26:27], v[58:59], v[22:23]
	v_mul_f64 v[22:23], v[2:3], v[20:21]
	v_mul_f64 v[20:21], v[0:1], v[20:21]
	v_fma_f64 v[22:23], v[0:1], v[18:19], -v[22:23]
	v_fmac_f64_e32 v[20:21], v[2:3], v[18:19]
	v_mul_f64 v[18:19], v[2:3], v[44:45]
	v_fma_f64 v[18:19], v[0:1], v[42:43], -v[18:19]
	v_mul_f64 v[0:1], v[0:1], v[44:45]
	s_addc_u32 s9, s9, 0
	v_fmac_f64_e32 v[24:25], v[28:29], v[42:43]
	v_fmac_f64_e32 v[0:1], v[2:3], v[42:43]
	v_cmp_lt_i64_e32 vcc, s[8:9], v[16:17]
	v_add_f64 v[28:29], v[24:25], v[60:61]
	v_add_f64 v[22:23], v[46:47], v[22:23]
	;; [unrolled: 1-line block ×5, first 2 shown]
	v_lshl_add_u64 v[12:13], v[12:13], 0, s[12:13]
	v_lshl_add_u64 v[14:15], v[14:15], 0, s[12:13]
	s_barrier
	s_cbranch_vccz .LBB286_10
.LBB286_3:                              ; =>This Inner Loop Header: Depth=1
	v_lshl_add_u64 v[0:1], v[8:9], 0, s[8:9]
	v_cmp_gt_i64_e32 vcc, s[40:41], v[0:1]
	s_and_b64 s[30:31], s[0:1], vcc
	v_mov_b64_e32 v[0:1], 0
	v_mov_b64_e32 v[2:3], 0
	s_and_saveexec_b64 s[24:25], s[30:31]
	s_cbranch_execz .LBB286_5
; %bb.4:                                ;   in Loop: Header=BB286_3 Depth=1
	flat_load_dwordx4 v[0:3], v[14:15]
	s_waitcnt vmcnt(0) lgkmcnt(0)
	v_xor_b32_e32 v3, 0x80000000, v3
.LBB286_5:                              ;   in Loop: Header=BB286_3 Depth=1
	s_or_b64 exec, exec, s[24:25]
	ds_write_b128 v34, v[0:3]
	v_lshl_add_u64 v[0:1], v[10:11], 0, s[8:9]
	v_cmp_le_i64_e32 vcc, s[40:41], v[0:1]
	s_or_b64 s[24:25], vcc, s[10:11]
	s_and_saveexec_b64 s[30:31], s[24:25]
	s_xor_b64 s[24:25], exec, s[30:31]
; %bb.6:                                ;   in Loop: Header=BB286_3 Depth=1
	ds_write_b128 v35, v[38:41]
; %bb.7:                                ;   in Loop: Header=BB286_3 Depth=1
	s_andn2_saveexec_b64 s[24:25], s[24:25]
	s_cbranch_execz .LBB286_2
; %bb.8:                                ;   in Loop: Header=BB286_3 Depth=1
	flat_load_dwordx4 v[0:3], v[12:13]
	s_waitcnt vmcnt(0) lgkmcnt(0)
	ds_write2_b64 v35, v[0:1], v[2:3] offset1:1
	s_branch .LBB286_2
.LBB286_9:
	v_mov_b64_e32 v[30:31], 0
	v_mov_b64_e32 v[32:33], 0
	;; [unrolled: 1-line block ×8, first 2 shown]
.LBB286_10:
	s_lshl_b64 s[0:1], s[28:29], 4
	s_waitcnt lgkmcnt(0)
	s_add_u32 s8, s4, s0
	s_addc_u32 s9, s5, s1
	v_lshl_add_u64 v[0:1], s[2:3], 0, v[6:7]
	v_cmp_neq_f64_e64 s[0:1], s[14:15], 0
	v_cmp_neq_f64_e64 s[2:3], s[16:17], 0
	s_or_b64 s[4:5], s[0:1], s[2:3]
	v_cmp_gt_i64_e64 s[0:1], s[38:39], v[0:1]
	s_mov_b64 s[2:3], -1
	s_and_b64 vcc, exec, s[4:5]
	s_cbranch_vccnz .LBB286_22
; %bb.11:
	s_and_saveexec_b64 s[10:11], s[0:1]
	s_cbranch_execz .LBB286_21
; %bb.12:
	v_mul_lo_u32 v8, v1, s26
	v_mul_lo_u32 v9, v0, s27
	v_mad_u64_u32 v[6:7], s[2:3], v0, s26, 0
	v_add3_u32 v7, v7, v9, v8
	v_lshl_add_u64 v[2:3], s[18:19], 0, v[4:5]
	v_lshl_add_u64 v[6:7], v[6:7], 4, s[8:9]
	v_cmp_gt_i64_e32 vcc, s[36:37], v[2:3]
	v_lshl_add_u64 v[8:9], v[2:3], 4, v[6:7]
	s_and_saveexec_b64 s[2:3], vcc
	s_cbranch_execz .LBB286_14
; %bb.13:
	v_mul_f64 v[10:11], s[44:45], v[32:33]
	v_mul_f64 v[12:13], s[42:43], v[32:33]
	v_fma_f64 v[10:11], s[42:43], v[30:31], -v[10:11]
	v_fmac_f64_e32 v[12:13], s[44:45], v[30:31]
	flat_store_dwordx4 v[8:9], v[10:13]
.LBB286_14:
	s_or_b64 exec, exec, s[2:3]
	s_nop 0
	v_lshl_add_u64 v[10:11], v[2:3], 0, 16
	v_cmp_gt_i64_e64 s[2:3], s[36:37], v[10:11]
	s_and_saveexec_b64 s[4:5], s[2:3]
	s_cbranch_execz .LBB286_16
; %bb.15:
	v_mul_f64 v[10:11], s[44:45], v[28:29]
	v_mul_f64 v[12:13], s[42:43], v[28:29]
	v_fma_f64 v[10:11], s[42:43], v[26:27], -v[10:11]
	v_fmac_f64_e32 v[12:13], s[44:45], v[26:27]
	flat_store_dwordx4 v[8:9], v[10:13] offset:256
.LBB286_16:
	s_or_b64 exec, exec, s[4:5]
	v_lshl_add_u64 v[8:9], v[0:1], 0, 16
	v_cmp_gt_i64_e64 s[4:5], s[38:39], v[8:9]
	s_and_b64 exec, exec, s[4:5]
	s_cbranch_execz .LBB286_21
; %bb.17:
	s_lshl_b64 s[4:5], s[26:27], 8
	v_lshl_add_u64 v[6:7], v[6:7], 0, s[4:5]
	v_lshl_add_u64 v[2:3], v[2:3], 4, v[6:7]
	s_and_saveexec_b64 s[4:5], vcc
	s_cbranch_execz .LBB286_19
; %bb.18:
	v_mul_f64 v[6:7], s[44:45], v[24:25]
	v_mul_f64 v[8:9], s[42:43], v[24:25]
	v_fma_f64 v[6:7], s[42:43], v[22:23], -v[6:7]
	v_fmac_f64_e32 v[8:9], s[44:45], v[22:23]
	flat_store_dwordx4 v[2:3], v[6:9]
.LBB286_19:
	s_or_b64 exec, exec, s[4:5]
	s_and_b64 exec, exec, s[2:3]
	s_cbranch_execz .LBB286_21
; %bb.20:
	v_mul_f64 v[6:7], s[44:45], v[18:19]
	v_mul_f64 v[8:9], s[42:43], v[18:19]
	v_fma_f64 v[6:7], s[42:43], v[20:21], -v[6:7]
	v_fmac_f64_e32 v[8:9], s[44:45], v[20:21]
	flat_store_dwordx4 v[2:3], v[6:9] offset:256
.LBB286_21:
	s_or_b64 exec, exec, s[10:11]
	s_mov_b64 s[2:3], 0
.LBB286_22:
	s_andn2_b64 vcc, exec, s[2:3]
	s_cbranch_vccnz .LBB286_33
; %bb.23:
	s_and_saveexec_b64 s[2:3], s[0:1]
	s_cbranch_execz .LBB286_33
; %bb.24:
	s_lshl_b64 s[0:1], s[22:23], 4
	v_lshl_add_u64 v[8:9], s[18:19], 0, v[4:5]
	v_mul_lo_u32 v4, v1, s20
	v_mul_lo_u32 v5, v0, s21
	v_mad_u64_u32 v[2:3], s[2:3], v0, s20, 0
	s_add_u32 s0, s6, s0
	v_add3_u32 v3, v3, v5, v4
	v_mul_lo_u32 v6, v1, s26
	v_mul_lo_u32 v7, v0, s27
	v_mad_u64_u32 v[4:5], s[2:3], v0, s26, 0
	s_addc_u32 s1, s7, s1
	v_add3_u32 v5, v5, v7, v6
	v_cmp_gt_i64_e32 vcc, s[36:37], v[8:9]
	v_lshl_add_u64 v[6:7], v[2:3], 4, s[0:1]
	v_lshl_add_u64 v[4:5], v[4:5], 4, s[8:9]
	v_lshlrev_b64 v[2:3], 4, v[8:9]
	s_and_saveexec_b64 s[0:1], vcc
	s_cbranch_execz .LBB286_26
; %bb.25:
	v_lshl_add_u64 v[10:11], v[6:7], 0, v[2:3]
	flat_load_dwordx4 v[10:13], v[10:11]
	v_mul_f64 v[14:15], s[44:45], v[32:33]
	v_mul_f64 v[16:17], s[42:43], v[32:33]
	v_fma_f64 v[14:15], s[42:43], v[30:31], -v[14:15]
	v_fmac_f64_e32 v[16:17], s[44:45], v[30:31]
	s_waitcnt vmcnt(0) lgkmcnt(0)
	v_mul_f64 v[30:31], s[16:17], v[12:13]
	v_mul_f64 v[12:13], s[14:15], v[12:13]
	v_fma_f64 v[30:31], s[14:15], v[10:11], -v[30:31]
	v_fmac_f64_e32 v[12:13], s[16:17], v[10:11]
	v_add_f64 v[10:11], v[14:15], v[30:31]
	v_add_f64 v[12:13], v[16:17], v[12:13]
	v_lshl_add_u64 v[14:15], v[4:5], 0, v[2:3]
	flat_store_dwordx4 v[14:15], v[10:13]
.LBB286_26:
	s_or_b64 exec, exec, s[0:1]
	v_lshl_add_u64 v[8:9], v[8:9], 0, 16
	v_cmp_gt_i64_e64 s[0:1], s[36:37], v[8:9]
	s_and_saveexec_b64 s[2:3], s[0:1]
	s_cbranch_execz .LBB286_28
; %bb.27:
	v_lshl_add_u64 v[8:9], v[6:7], 0, v[2:3]
	flat_load_dwordx4 v[8:11], v[8:9] offset:256
	v_mul_f64 v[12:13], s[44:45], v[28:29]
	v_mul_f64 v[14:15], s[42:43], v[28:29]
	v_fma_f64 v[12:13], s[42:43], v[26:27], -v[12:13]
	v_fmac_f64_e32 v[14:15], s[44:45], v[26:27]
	s_waitcnt vmcnt(0) lgkmcnt(0)
	v_mul_f64 v[16:17], s[16:17], v[10:11]
	v_mul_f64 v[10:11], s[14:15], v[10:11]
	v_fma_f64 v[16:17], s[14:15], v[8:9], -v[16:17]
	v_fmac_f64_e32 v[10:11], s[16:17], v[8:9]
	v_add_f64 v[8:9], v[12:13], v[16:17]
	v_add_f64 v[10:11], v[14:15], v[10:11]
	v_lshl_add_u64 v[12:13], v[4:5], 0, v[2:3]
	flat_store_dwordx4 v[12:13], v[8:11] offset:256
.LBB286_28:
	s_or_b64 exec, exec, s[2:3]
	v_lshl_add_u64 v[0:1], v[0:1], 0, 16
	v_cmp_gt_i64_e64 s[2:3], s[38:39], v[0:1]
	s_and_b64 exec, exec, s[2:3]
	s_cbranch_execz .LBB286_33
; %bb.29:
	s_lshl_b64 s[2:3], s[20:21], 8
	v_lshl_add_u64 v[0:1], v[6:7], 0, s[2:3]
	s_lshl_b64 s[2:3], s[26:27], 8
	v_lshl_add_u64 v[6:7], v[4:5], 0, s[2:3]
	v_lshl_add_u64 v[4:5], v[0:1], 0, v[2:3]
	;; [unrolled: 1-line block ×3, first 2 shown]
	s_and_saveexec_b64 s[2:3], vcc
	s_cbranch_execz .LBB286_31
; %bb.30:
	flat_load_dwordx4 v[6:9], v[4:5]
	v_mul_f64 v[2:3], s[44:45], v[24:25]
	v_mul_f64 v[10:11], s[42:43], v[24:25]
	v_fma_f64 v[2:3], s[42:43], v[22:23], -v[2:3]
	v_fmac_f64_e32 v[10:11], s[44:45], v[22:23]
	s_waitcnt vmcnt(0) lgkmcnt(0)
	v_mul_f64 v[12:13], s[16:17], v[8:9]
	v_mul_f64 v[8:9], s[14:15], v[8:9]
	v_fma_f64 v[12:13], s[14:15], v[6:7], -v[12:13]
	v_fmac_f64_e32 v[8:9], s[16:17], v[6:7]
	v_add_f64 v[6:7], v[2:3], v[12:13]
	v_add_f64 v[8:9], v[10:11], v[8:9]
	flat_store_dwordx4 v[0:1], v[6:9]
.LBB286_31:
	s_or_b64 exec, exec, s[2:3]
	s_and_b64 exec, exec, s[0:1]
	s_cbranch_execz .LBB286_33
; %bb.32:
	flat_load_dwordx4 v[2:5], v[4:5] offset:256
	v_mul_f64 v[6:7], s[44:45], v[18:19]
	v_mul_f64 v[8:9], s[42:43], v[18:19]
	v_fma_f64 v[6:7], s[42:43], v[20:21], -v[6:7]
	v_fmac_f64_e32 v[8:9], s[44:45], v[20:21]
	s_waitcnt vmcnt(0) lgkmcnt(0)
	v_mul_f64 v[10:11], s[16:17], v[4:5]
	v_mul_f64 v[4:5], s[14:15], v[4:5]
	v_fma_f64 v[10:11], s[14:15], v[2:3], -v[10:11]
	v_fmac_f64_e32 v[4:5], s[16:17], v[2:3]
	v_add_f64 v[2:3], v[6:7], v[10:11]
	v_add_f64 v[4:5], v[8:9], v[4:5]
	flat_store_dwordx4 v[0:1], v[2:5] offset:256
.LBB286_33:
	s_endpgm
	.section	.rodata,"a",@progbits
	.p2align	6, 0x0
	.amdhsa_kernel _ZN12_GLOBAL__N_135rocblas_gemm_batched_general_kernelI19rocblas_complex_numIdELi16ELi16ELi32ELi32ELi8ELi32ELi8ELi8ELi32ELc67ELc78EKPKS2_S5_KPS2_EEvlllT_PT11_llSA_llS8_PT12_llPT13_lli
		.amdhsa_group_segment_fixed_size 8192
		.amdhsa_private_segment_fixed_size 0
		.amdhsa_kernarg_size 156
		.amdhsa_user_sgpr_count 2
		.amdhsa_user_sgpr_dispatch_ptr 0
		.amdhsa_user_sgpr_queue_ptr 0
		.amdhsa_user_sgpr_kernarg_segment_ptr 1
		.amdhsa_user_sgpr_dispatch_id 0
		.amdhsa_user_sgpr_kernarg_preload_length 0
		.amdhsa_user_sgpr_kernarg_preload_offset 0
		.amdhsa_user_sgpr_private_segment_size 0
		.amdhsa_uses_dynamic_stack 0
		.amdhsa_enable_private_segment 0
		.amdhsa_system_sgpr_workgroup_id_x 1
		.amdhsa_system_sgpr_workgroup_id_y 1
		.amdhsa_system_sgpr_workgroup_id_z 1
		.amdhsa_system_sgpr_workgroup_info 0
		.amdhsa_system_vgpr_workitem_id 1
		.amdhsa_next_free_vgpr 68
		.amdhsa_next_free_sgpr 52
		.amdhsa_accum_offset 68
		.amdhsa_reserve_vcc 1
		.amdhsa_float_round_mode_32 0
		.amdhsa_float_round_mode_16_64 0
		.amdhsa_float_denorm_mode_32 3
		.amdhsa_float_denorm_mode_16_64 3
		.amdhsa_dx10_clamp 1
		.amdhsa_ieee_mode 1
		.amdhsa_fp16_overflow 0
		.amdhsa_tg_split 0
		.amdhsa_exception_fp_ieee_invalid_op 0
		.amdhsa_exception_fp_denorm_src 0
		.amdhsa_exception_fp_ieee_div_zero 0
		.amdhsa_exception_fp_ieee_overflow 0
		.amdhsa_exception_fp_ieee_underflow 0
		.amdhsa_exception_fp_ieee_inexact 0
		.amdhsa_exception_int_div_zero 0
	.end_amdhsa_kernel
	.section	.text._ZN12_GLOBAL__N_135rocblas_gemm_batched_general_kernelI19rocblas_complex_numIdELi16ELi16ELi32ELi32ELi8ELi32ELi8ELi8ELi32ELc67ELc78EKPKS2_S5_KPS2_EEvlllT_PT11_llSA_llS8_PT12_llPT13_lli,"axG",@progbits,_ZN12_GLOBAL__N_135rocblas_gemm_batched_general_kernelI19rocblas_complex_numIdELi16ELi16ELi32ELi32ELi8ELi32ELi8ELi8ELi32ELc67ELc78EKPKS2_S5_KPS2_EEvlllT_PT11_llSA_llS8_PT12_llPT13_lli,comdat
.Lfunc_end286:
	.size	_ZN12_GLOBAL__N_135rocblas_gemm_batched_general_kernelI19rocblas_complex_numIdELi16ELi16ELi32ELi32ELi8ELi32ELi8ELi8ELi32ELc67ELc78EKPKS2_S5_KPS2_EEvlllT_PT11_llSA_llS8_PT12_llPT13_lli, .Lfunc_end286-_ZN12_GLOBAL__N_135rocblas_gemm_batched_general_kernelI19rocblas_complex_numIdELi16ELi16ELi32ELi32ELi8ELi32ELi8ELi8ELi32ELc67ELc78EKPKS2_S5_KPS2_EEvlllT_PT11_llSA_llS8_PT12_llPT13_lli
                                        ; -- End function
	.set _ZN12_GLOBAL__N_135rocblas_gemm_batched_general_kernelI19rocblas_complex_numIdELi16ELi16ELi32ELi32ELi8ELi32ELi8ELi8ELi32ELc67ELc78EKPKS2_S5_KPS2_EEvlllT_PT11_llSA_llS8_PT12_llPT13_lli.num_vgpr, 68
	.set _ZN12_GLOBAL__N_135rocblas_gemm_batched_general_kernelI19rocblas_complex_numIdELi16ELi16ELi32ELi32ELi8ELi32ELi8ELi8ELi32ELc67ELc78EKPKS2_S5_KPS2_EEvlllT_PT11_llSA_llS8_PT12_llPT13_lli.num_agpr, 0
	.set _ZN12_GLOBAL__N_135rocblas_gemm_batched_general_kernelI19rocblas_complex_numIdELi16ELi16ELi32ELi32ELi8ELi32ELi8ELi8ELi32ELc67ELc78EKPKS2_S5_KPS2_EEvlllT_PT11_llSA_llS8_PT12_llPT13_lli.numbered_sgpr, 52
	.set _ZN12_GLOBAL__N_135rocblas_gemm_batched_general_kernelI19rocblas_complex_numIdELi16ELi16ELi32ELi32ELi8ELi32ELi8ELi8ELi32ELc67ELc78EKPKS2_S5_KPS2_EEvlllT_PT11_llSA_llS8_PT12_llPT13_lli.num_named_barrier, 0
	.set _ZN12_GLOBAL__N_135rocblas_gemm_batched_general_kernelI19rocblas_complex_numIdELi16ELi16ELi32ELi32ELi8ELi32ELi8ELi8ELi32ELc67ELc78EKPKS2_S5_KPS2_EEvlllT_PT11_llSA_llS8_PT12_llPT13_lli.private_seg_size, 0
	.set _ZN12_GLOBAL__N_135rocblas_gemm_batched_general_kernelI19rocblas_complex_numIdELi16ELi16ELi32ELi32ELi8ELi32ELi8ELi8ELi32ELc67ELc78EKPKS2_S5_KPS2_EEvlllT_PT11_llSA_llS8_PT12_llPT13_lli.uses_vcc, 1
	.set _ZN12_GLOBAL__N_135rocblas_gemm_batched_general_kernelI19rocblas_complex_numIdELi16ELi16ELi32ELi32ELi8ELi32ELi8ELi8ELi32ELc67ELc78EKPKS2_S5_KPS2_EEvlllT_PT11_llSA_llS8_PT12_llPT13_lli.uses_flat_scratch, 0
	.set _ZN12_GLOBAL__N_135rocblas_gemm_batched_general_kernelI19rocblas_complex_numIdELi16ELi16ELi32ELi32ELi8ELi32ELi8ELi8ELi32ELc67ELc78EKPKS2_S5_KPS2_EEvlllT_PT11_llSA_llS8_PT12_llPT13_lli.has_dyn_sized_stack, 0
	.set _ZN12_GLOBAL__N_135rocblas_gemm_batched_general_kernelI19rocblas_complex_numIdELi16ELi16ELi32ELi32ELi8ELi32ELi8ELi8ELi32ELc67ELc78EKPKS2_S5_KPS2_EEvlllT_PT11_llSA_llS8_PT12_llPT13_lli.has_recursion, 0
	.set _ZN12_GLOBAL__N_135rocblas_gemm_batched_general_kernelI19rocblas_complex_numIdELi16ELi16ELi32ELi32ELi8ELi32ELi8ELi8ELi32ELc67ELc78EKPKS2_S5_KPS2_EEvlllT_PT11_llSA_llS8_PT12_llPT13_lli.has_indirect_call, 0
	.section	.AMDGPU.csdata,"",@progbits
; Kernel info:
; codeLenInByte = 3504
; TotalNumSgprs: 58
; NumVgprs: 68
; NumAgprs: 0
; TotalNumVgprs: 68
; ScratchSize: 0
; MemoryBound: 1
; FloatMode: 240
; IeeeMode: 1
; LDSByteSize: 8192 bytes/workgroup (compile time only)
; SGPRBlocks: 7
; VGPRBlocks: 8
; NumSGPRsForWavesPerEU: 58
; NumVGPRsForWavesPerEU: 68
; AccumOffset: 68
; Occupancy: 7
; WaveLimiterHint : 1
; COMPUTE_PGM_RSRC2:SCRATCH_EN: 0
; COMPUTE_PGM_RSRC2:USER_SGPR: 2
; COMPUTE_PGM_RSRC2:TRAP_HANDLER: 0
; COMPUTE_PGM_RSRC2:TGID_X_EN: 1
; COMPUTE_PGM_RSRC2:TGID_Y_EN: 1
; COMPUTE_PGM_RSRC2:TGID_Z_EN: 1
; COMPUTE_PGM_RSRC2:TIDIG_COMP_CNT: 1
; COMPUTE_PGM_RSRC3_GFX90A:ACCUM_OFFSET: 16
; COMPUTE_PGM_RSRC3_GFX90A:TG_SPLIT: 0
	.section	.text._ZN12_GLOBAL__N_135rocblas_gemm_batched_general_kernelI19rocblas_complex_numIdELi16ELi16ELi32ELi32ELi8ELi32ELi8ELi8ELi32ELc67ELc84EKPKS2_S5_KPS2_EEvlllT_PT11_llSA_llS8_PT12_llPT13_lli,"axG",@progbits,_ZN12_GLOBAL__N_135rocblas_gemm_batched_general_kernelI19rocblas_complex_numIdELi16ELi16ELi32ELi32ELi8ELi32ELi8ELi8ELi32ELc67ELc84EKPKS2_S5_KPS2_EEvlllT_PT11_llSA_llS8_PT12_llPT13_lli,comdat
	.globl	_ZN12_GLOBAL__N_135rocblas_gemm_batched_general_kernelI19rocblas_complex_numIdELi16ELi16ELi32ELi32ELi8ELi32ELi8ELi8ELi32ELc67ELc84EKPKS2_S5_KPS2_EEvlllT_PT11_llSA_llS8_PT12_llPT13_lli ; -- Begin function _ZN12_GLOBAL__N_135rocblas_gemm_batched_general_kernelI19rocblas_complex_numIdELi16ELi16ELi32ELi32ELi8ELi32ELi8ELi8ELi32ELc67ELc84EKPKS2_S5_KPS2_EEvlllT_PT11_llSA_llS8_PT12_llPT13_lli
	.p2align	8
	.type	_ZN12_GLOBAL__N_135rocblas_gemm_batched_general_kernelI19rocblas_complex_numIdELi16ELi16ELi32ELi32ELi8ELi32ELi8ELi8ELi32ELc67ELc84EKPKS2_S5_KPS2_EEvlllT_PT11_llSA_llS8_PT12_llPT13_lli,@function
_ZN12_GLOBAL__N_135rocblas_gemm_batched_general_kernelI19rocblas_complex_numIdELi16ELi16ELi32ELi32ELi8ELi32ELi8ELi8ELi32ELc67ELc84EKPKS2_S5_KPS2_EEvlllT_PT11_llSA_llS8_PT12_llPT13_lli: ; @_ZN12_GLOBAL__N_135rocblas_gemm_batched_general_kernelI19rocblas_complex_numIdELi16ELi16ELi32ELi32ELi8ELi32ELi8ELi8ELi32ELc67ELc84EKPKS2_S5_KPS2_EEvlllT_PT11_llSA_llS8_PT12_llPT13_lli
; %bb.0:
	s_load_dwordx16 s[36:51], s[0:1], 0x0
	s_load_dwordx16 s[8:23], s[0:1], 0x40
	s_load_dwordx2 s[28:29], s[0:1], 0x90
	s_load_dwordx4 s[24:27], s[0:1], 0x80
	s_mov_b32 s5, 0
	s_lshl_b64 s[0:1], s[4:5], 3
	s_waitcnt lgkmcnt(0)
	s_add_u32 s4, s18, s0
	s_addc_u32 s5, s19, s1
	s_load_dwordx2 s[6:7], s[4:5], 0x0
	s_add_u32 s4, s24, s0
	s_addc_u32 s5, s25, s1
	s_load_dwordx2 s[4:5], s[4:5], 0x0
	s_mov_b32 s30, s3
	v_mov_b32_e32 v7, 0
	s_ashr_i32 s3, s2, 31
	s_ashr_i32 s31, s30, 31
	v_cmp_lt_i64_e64 s[24:25], s[40:41], 1
	v_and_b32_e32 v4, 0x3ff, v0
	v_bfe_u32 v6, v0, 10, 10
	v_mov_b32_e32 v5, v7
	s_lshl_b64 s[18:19], s[2:3], 5
	s_lshl_b64 s[2:3], s[30:31], 5
	s_and_b64 vcc, exec, s[24:25]
	s_cbranch_vccnz .LBB287_9
; %bb.1:
	v_lshl_add_u32 v12, v6, 4, v4
	s_add_u32 s8, s8, s0
	s_addc_u32 s9, s9, s1
	v_lshrrev_b32_e32 v0, 3, v12
	v_mov_b32_e32 v1, v7
	v_and_b32_e32 v10, 7, v4
	s_add_u32 s0, s46, s0
	v_lshl_add_u64 v[2:3], v[0:1], 0, s[2:3]
	v_and_b32_e32 v14, 31, v12
	v_lshrrev_b32_e32 v8, 5, v12
	s_addc_u32 s1, s47, s1
	v_or_b32_e32 v12, s18, v14
	v_mov_b32_e32 v13, s19
	v_lshlrev_b32_e32 v1, 4, v14
	v_cmp_gt_i64_e32 vcc, s[38:39], v[2:3]
	v_mad_u64_u32 v[2:3], s[34:35], s10, v10, 0
	s_load_dwordx2 s[8:9], s[8:9], 0x0
	v_lshl_or_b32 v34, v8, 9, v1
	s_load_dwordx2 s[24:25], s[0:1], 0x0
	v_cmp_gt_i64_e64 s[0:1], s[36:37], v[12:13]
	v_lshlrev_b32_e32 v1, 4, v10
	v_mov_b32_e32 v12, v3
	s_lshl_b64 s[30:31], s[30:31], 9
	s_lshl_b64 s[12:13], s[12:13], 4
	v_lshl_or_b32 v1, v0, 7, v1
	v_mad_u64_u32 v[12:13], s[34:35], s11, v10, v[12:13]
	s_add_u32 s12, s12, s30
	v_add_u32_e32 v35, 0x1000, v1
	v_mov_b32_e32 v1, 0x1000
	v_mov_b32_e32 v3, v12
	s_addc_u32 s13, s13, s31
	v_lshl_add_u32 v37, v6, 7, v1
	v_lshl_add_u64 v[2:3], v[2:3], 4, s[12:13]
	v_lshlrev_b32_e32 v0, 4, v0
	v_mov_b32_e32 v1, v7
	v_mov_b32_e32 v15, v7
	v_lshl_add_u64 v[0:1], v[2:3], 0, v[0:1]
	s_waitcnt lgkmcnt(0)
	v_lshl_add_u64 v[12:13], s[8:9], 0, v[0:1]
	v_lshl_add_u64 v[0:1], s[18:19], 0, v[14:15]
	s_lshl_b64 s[8:9], s[10:11], 7
	v_mul_lo_u32 v2, s49, v0
	v_mul_lo_u32 v3, s48, v1
	v_mad_u64_u32 v[0:1], s[10:11], s48, v0, 0
	v_add3_u32 v1, v1, v3, v2
	s_lshl_b64 s[10:11], s[50:51], 4
	v_lshl_add_u64 v[0:1], v[0:1], 4, s[10:11]
	v_lshlrev_b32_e32 v2, 4, v8
	v_mov_b32_e32 v3, v7
	v_lshl_add_u64 v[0:1], v[0:1], 0, v[2:3]
	v_mov_b32_e32 v9, v7
	v_mov_b32_e32 v11, v7
	v_lshlrev_b32_e32 v36, 4, v4
	v_lshl_add_u64 v[14:15], s[24:25], 0, v[0:1]
	s_mov_b64 s[10:11], 0
	v_mov_b64_e32 v[18:19], 0
	s_xor_b64 s[12:13], vcc, -1
	s_mov_b64 s[24:25], 0x80
	v_mov_b64_e32 v[16:17], s[40:41]
	v_mov_b32_e32 v38, v7
	v_mov_b32_e32 v39, v7
	v_mov_b32_e32 v40, v7
	v_mov_b32_e32 v41, v7
	v_mov_b64_e32 v[20:21], 0
	v_mov_b64_e32 v[24:25], 0
	;; [unrolled: 1-line block ×7, first 2 shown]
	s_branch .LBB287_3
.LBB287_2:                              ;   in Loop: Header=BB287_3 Depth=1
	s_or_b64 exec, exec, s[30:31]
	s_waitcnt lgkmcnt(0)
	s_barrier
	ds_read_b128 v[0:3], v36
	ds_read_b128 v[42:45], v37
	ds_read_b128 v[46:49], v37 offset:16
	ds_read_b128 v[50:53], v37 offset:32
	;; [unrolled: 1-line block ×4, first 2 shown]
	s_waitcnt lgkmcnt(4)
	v_mul_f64 v[62:63], v[44:45], v[2:3]
	v_fma_f64 v[62:63], v[42:43], v[0:1], -v[62:63]
	v_mul_f64 v[64:65], v[42:43], v[2:3]
	v_fmac_f64_e32 v[64:65], v[44:45], v[0:1]
	v_add_f64 v[62:63], v[30:31], v[62:63]
	s_waitcnt lgkmcnt(0)
	v_mul_f64 v[30:31], v[44:45], v[60:61]
	v_add_f64 v[64:65], v[64:65], v[32:33]
	v_fma_f64 v[66:67], v[42:43], v[58:59], -v[30:31]
	ds_read_b128 v[30:33], v37 offset:2048
	v_mul_f64 v[42:43], v[42:43], v[60:61]
	v_fmac_f64_e32 v[42:43], v[44:45], v[58:59]
	v_add_f64 v[44:45], v[26:27], v[66:67]
	v_add_f64 v[42:43], v[42:43], v[28:29]
	ds_read_b128 v[26:29], v37 offset:2064
	s_waitcnt lgkmcnt(1)
	v_mul_f64 v[66:67], v[32:33], v[2:3]
	v_mul_f64 v[2:3], v[30:31], v[2:3]
	v_fma_f64 v[66:67], v[30:31], v[0:1], -v[66:67]
	v_fmac_f64_e32 v[2:3], v[32:33], v[0:1]
	v_mul_f64 v[0:1], v[32:33], v[60:61]
	v_add_f64 v[22:23], v[22:23], v[66:67]
	v_add_f64 v[24:25], v[2:3], v[24:25]
	v_fma_f64 v[66:67], v[30:31], v[58:59], -v[0:1]
	v_mul_f64 v[30:31], v[30:31], v[60:61]
	ds_read_b128 v[0:3], v36 offset:512
	v_fmac_f64_e32 v[30:31], v[32:33], v[58:59]
	v_add_f64 v[32:33], v[20:21], v[66:67]
	v_add_f64 v[30:31], v[30:31], v[18:19]
	ds_read_b128 v[18:21], v36 offset:768
	s_waitcnt lgkmcnt(1)
	v_mul_f64 v[58:59], v[48:49], v[2:3]
	v_fma_f64 v[58:59], v[46:47], v[0:1], -v[58:59]
	v_add_f64 v[58:59], v[62:63], v[58:59]
	v_mul_f64 v[60:61], v[46:47], v[2:3]
	s_waitcnt lgkmcnt(0)
	v_mul_f64 v[62:63], v[48:49], v[20:21]
	v_fma_f64 v[62:63], v[46:47], v[18:19], -v[62:63]
	v_mul_f64 v[46:47], v[46:47], v[20:21]
	v_fmac_f64_e32 v[46:47], v[48:49], v[18:19]
	v_add_f64 v[42:43], v[46:47], v[42:43]
	v_mul_f64 v[46:47], v[28:29], v[2:3]
	v_mul_f64 v[2:3], v[26:27], v[2:3]
	v_fmac_f64_e32 v[60:61], v[48:49], v[0:1]
	v_fma_f64 v[46:47], v[26:27], v[0:1], -v[46:47]
	v_fmac_f64_e32 v[2:3], v[28:29], v[0:1]
	v_mul_f64 v[0:1], v[28:29], v[20:21]
	v_add_f64 v[46:47], v[22:23], v[46:47]
	v_add_f64 v[48:49], v[2:3], v[24:25]
	v_fma_f64 v[22:23], v[26:27], v[18:19], -v[0:1]
	v_mul_f64 v[20:21], v[26:27], v[20:21]
	ds_read_b128 v[0:3], v36 offset:1024
	v_fmac_f64_e32 v[20:21], v[28:29], v[18:19]
	v_add_f64 v[30:31], v[20:21], v[30:31]
	ds_read_b128 v[18:21], v36 offset:1280
	v_add_f64 v[32:33], v[32:33], v[22:23]
	s_waitcnt lgkmcnt(1)
	v_mul_f64 v[22:23], v[52:53], v[2:3]
	v_fma_f64 v[22:23], v[50:51], v[0:1], -v[22:23]
	v_mul_f64 v[24:25], v[50:51], v[2:3]
	v_add_f64 v[60:61], v[60:61], v[64:65]
	v_fmac_f64_e32 v[24:25], v[52:53], v[0:1]
	v_add_f64 v[58:59], v[58:59], v[22:23]
	s_waitcnt lgkmcnt(0)
	v_mul_f64 v[22:23], v[52:53], v[20:21]
	v_add_f64 v[60:61], v[24:25], v[60:61]
	v_fma_f64 v[26:27], v[50:51], v[18:19], -v[22:23]
	ds_read_b128 v[22:25], v37 offset:2080
	v_mul_f64 v[28:29], v[50:51], v[20:21]
	v_add_f64 v[44:45], v[44:45], v[62:63]
	v_fmac_f64_e32 v[28:29], v[52:53], v[18:19]
	v_add_f64 v[44:45], v[44:45], v[26:27]
	v_add_f64 v[42:43], v[28:29], v[42:43]
	ds_read_b128 v[26:29], v37 offset:2096
	s_waitcnt lgkmcnt(1)
	v_mul_f64 v[50:51], v[24:25], v[2:3]
	v_mul_f64 v[2:3], v[22:23], v[2:3]
	v_fma_f64 v[50:51], v[22:23], v[0:1], -v[50:51]
	v_fmac_f64_e32 v[2:3], v[24:25], v[0:1]
	v_mul_f64 v[0:1], v[24:25], v[20:21]
	v_mul_f64 v[20:21], v[22:23], v[20:21]
	v_fmac_f64_e32 v[20:21], v[24:25], v[18:19]
	v_add_f64 v[46:47], v[46:47], v[50:51]
	v_add_f64 v[48:49], v[2:3], v[48:49]
	v_fma_f64 v[50:51], v[22:23], v[18:19], -v[0:1]
	ds_read_b128 v[0:3], v36 offset:1536
	v_add_f64 v[24:25], v[20:21], v[30:31]
	ds_read_b128 v[18:21], v36 offset:1792
	v_add_f64 v[22:23], v[32:33], v[50:51]
	s_add_u32 s10, s10, 8
	s_waitcnt lgkmcnt(1)
	v_mul_f64 v[30:31], v[56:57], v[2:3]
	v_mul_f64 v[32:33], v[54:55], v[2:3]
	s_waitcnt lgkmcnt(0)
	v_mul_f64 v[50:51], v[56:57], v[20:21]
	v_fma_f64 v[50:51], v[54:55], v[18:19], -v[50:51]
	v_add_f64 v[44:45], v[44:45], v[50:51]
	v_mul_f64 v[50:51], v[28:29], v[2:3]
	v_mul_f64 v[2:3], v[26:27], v[2:3]
	v_fma_f64 v[30:31], v[54:55], v[0:1], -v[30:31]
	v_fmac_f64_e32 v[32:33], v[56:57], v[0:1]
	v_fma_f64 v[50:51], v[26:27], v[0:1], -v[50:51]
	v_fmac_f64_e32 v[2:3], v[28:29], v[0:1]
	v_mul_f64 v[0:1], v[28:29], v[20:21]
	v_mul_f64 v[52:53], v[54:55], v[20:21]
	v_add_f64 v[46:47], v[46:47], v[50:51]
	v_fma_f64 v[50:51], v[26:27], v[18:19], -v[0:1]
	v_mul_f64 v[26:27], v[26:27], v[20:21]
	v_fmac_f64_e32 v[52:53], v[56:57], v[18:19]
	v_add_f64 v[48:49], v[2:3], v[48:49]
	v_fmac_f64_e32 v[26:27], v[28:29], v[18:19]
	ds_read_b128 v[0:3], v37 offset:64
	ds_read_b128 v[18:21], v36 offset:2048
	v_add_f64 v[42:43], v[52:53], v[42:43]
	v_add_f64 v[50:51], v[22:23], v[50:51]
	;; [unrolled: 1-line block ×3, first 2 shown]
	ds_read_b128 v[22:25], v36 offset:2304
	ds_read_b128 v[26:29], v37 offset:80
	s_waitcnt lgkmcnt(2)
	v_mul_f64 v[54:55], v[2:3], v[20:21]
	v_add_f64 v[30:31], v[58:59], v[30:31]
	v_fma_f64 v[54:55], v[0:1], v[18:19], -v[54:55]
	v_mul_f64 v[56:57], v[0:1], v[20:21]
	v_add_f64 v[32:33], v[32:33], v[60:61]
	v_fmac_f64_e32 v[56:57], v[2:3], v[18:19]
	v_add_f64 v[54:55], v[30:31], v[54:55]
	s_waitcnt lgkmcnt(1)
	v_mul_f64 v[30:31], v[2:3], v[24:25]
	v_add_f64 v[56:57], v[56:57], v[32:33]
	v_fma_f64 v[58:59], v[0:1], v[22:23], -v[30:31]
	ds_read_b128 v[30:33], v37 offset:2112
	v_mul_f64 v[0:1], v[0:1], v[24:25]
	v_fmac_f64_e32 v[0:1], v[2:3], v[22:23]
	v_add_f64 v[44:45], v[44:45], v[58:59]
	v_add_f64 v[42:43], v[0:1], v[42:43]
	ds_read_b128 v[0:3], v37 offset:2128
	s_waitcnt lgkmcnt(1)
	v_mul_f64 v[58:59], v[32:33], v[20:21]
	v_mul_f64 v[20:21], v[30:31], v[20:21]
	v_fma_f64 v[58:59], v[30:31], v[18:19], -v[58:59]
	v_fmac_f64_e32 v[20:21], v[32:33], v[18:19]
	v_mul_f64 v[18:19], v[32:33], v[24:25]
	v_add_f64 v[46:47], v[46:47], v[58:59]
	v_add_f64 v[48:49], v[20:21], v[48:49]
	v_fma_f64 v[58:59], v[30:31], v[22:23], -v[18:19]
	v_mul_f64 v[24:25], v[30:31], v[24:25]
	ds_read_b128 v[18:21], v36 offset:2560
	v_fmac_f64_e32 v[24:25], v[32:33], v[22:23]
	v_add_f64 v[32:33], v[24:25], v[52:53]
	ds_read_b128 v[22:25], v36 offset:2816
	v_add_f64 v[30:31], v[50:51], v[58:59]
	s_waitcnt lgkmcnt(1)
	v_mul_f64 v[50:51], v[28:29], v[20:21]
	v_fma_f64 v[50:51], v[26:27], v[18:19], -v[50:51]
	v_add_f64 v[50:51], v[54:55], v[50:51]
	s_waitcnt lgkmcnt(0)
	v_mul_f64 v[54:55], v[28:29], v[24:25]
	v_mul_f64 v[52:53], v[26:27], v[20:21]
	v_fma_f64 v[54:55], v[26:27], v[22:23], -v[54:55]
	v_mul_f64 v[26:27], v[26:27], v[24:25]
	v_fmac_f64_e32 v[26:27], v[28:29], v[22:23]
	v_add_f64 v[42:43], v[26:27], v[42:43]
	v_mul_f64 v[26:27], v[2:3], v[20:21]
	v_mul_f64 v[20:21], v[0:1], v[20:21]
	v_fmac_f64_e32 v[52:53], v[28:29], v[18:19]
	v_fma_f64 v[26:27], v[0:1], v[18:19], -v[26:27]
	v_fmac_f64_e32 v[20:21], v[2:3], v[18:19]
	v_mul_f64 v[18:19], v[2:3], v[24:25]
	v_mul_f64 v[24:25], v[0:1], v[24:25]
	v_add_f64 v[46:47], v[46:47], v[26:27]
	v_add_f64 v[48:49], v[20:21], v[48:49]
	v_fma_f64 v[26:27], v[0:1], v[22:23], -v[18:19]
	v_fmac_f64_e32 v[24:25], v[2:3], v[22:23]
	ds_read_b128 v[0:3], v37 offset:96
	ds_read_b128 v[18:21], v36 offset:3072
	v_add_f64 v[52:53], v[52:53], v[56:57]
	v_add_f64 v[44:45], v[44:45], v[54:55]
	v_add_f64 v[54:55], v[30:31], v[26:27]
	v_add_f64 v[56:57], v[24:25], v[32:33]
	ds_read_b128 v[22:25], v36 offset:3328
	ds_read_b128 v[26:29], v37 offset:112
	s_waitcnt lgkmcnt(2)
	v_mul_f64 v[30:31], v[2:3], v[20:21]
	v_fma_f64 v[30:31], v[0:1], v[18:19], -v[30:31]
	v_mul_f64 v[32:33], v[0:1], v[20:21]
	v_fmac_f64_e32 v[32:33], v[2:3], v[18:19]
	v_add_f64 v[50:51], v[50:51], v[30:31]
	s_waitcnt lgkmcnt(1)
	v_mul_f64 v[30:31], v[2:3], v[24:25]
	v_add_f64 v[52:53], v[32:33], v[52:53]
	v_fma_f64 v[58:59], v[0:1], v[22:23], -v[30:31]
	ds_read_b128 v[30:33], v37 offset:2144
	v_mul_f64 v[0:1], v[0:1], v[24:25]
	v_fmac_f64_e32 v[0:1], v[2:3], v[22:23]
	v_add_f64 v[60:61], v[0:1], v[42:43]
	ds_read_b128 v[0:3], v37 offset:2160
	s_waitcnt lgkmcnt(1)
	v_mul_f64 v[42:43], v[32:33], v[20:21]
	v_mul_f64 v[20:21], v[30:31], v[20:21]
	v_fma_f64 v[42:43], v[30:31], v[18:19], -v[42:43]
	v_fmac_f64_e32 v[20:21], v[32:33], v[18:19]
	v_mul_f64 v[18:19], v[32:33], v[24:25]
	v_add_f64 v[46:47], v[46:47], v[42:43]
	v_add_f64 v[48:49], v[20:21], v[48:49]
	v_fma_f64 v[42:43], v[30:31], v[22:23], -v[18:19]
	ds_read_b128 v[18:21], v36 offset:3584
	v_add_f64 v[58:59], v[44:45], v[58:59]
	v_add_f64 v[54:55], v[54:55], v[42:43]
	ds_read_b128 v[42:45], v36 offset:3840
	v_mul_f64 v[24:25], v[30:31], v[24:25]
	v_fmac_f64_e32 v[24:25], v[32:33], v[22:23]
	s_waitcnt lgkmcnt(1)
	v_mul_f64 v[22:23], v[28:29], v[20:21]
	v_fma_f64 v[22:23], v[26:27], v[18:19], -v[22:23]
	v_add_f64 v[56:57], v[24:25], v[56:57]
	v_mul_f64 v[24:25], v[26:27], v[20:21]
	v_add_f64 v[30:31], v[50:51], v[22:23]
	s_waitcnt lgkmcnt(0)
	v_mul_f64 v[22:23], v[28:29], v[44:45]
	v_fmac_f64_e32 v[24:25], v[28:29], v[18:19]
	v_fma_f64 v[22:23], v[26:27], v[42:43], -v[22:23]
	v_add_f64 v[32:33], v[24:25], v[52:53]
	v_mul_f64 v[24:25], v[26:27], v[44:45]
	v_add_f64 v[26:27], v[58:59], v[22:23]
	v_mul_f64 v[22:23], v[2:3], v[20:21]
	v_mul_f64 v[20:21], v[0:1], v[20:21]
	v_fma_f64 v[22:23], v[0:1], v[18:19], -v[22:23]
	v_fmac_f64_e32 v[20:21], v[2:3], v[18:19]
	v_mul_f64 v[18:19], v[2:3], v[44:45]
	v_fma_f64 v[18:19], v[0:1], v[42:43], -v[18:19]
	v_mul_f64 v[0:1], v[0:1], v[44:45]
	s_addc_u32 s11, s11, 0
	v_fmac_f64_e32 v[24:25], v[28:29], v[42:43]
	v_fmac_f64_e32 v[0:1], v[2:3], v[42:43]
	v_cmp_lt_i64_e32 vcc, s[10:11], v[16:17]
	v_add_f64 v[28:29], v[24:25], v[60:61]
	v_add_f64 v[22:23], v[46:47], v[22:23]
	;; [unrolled: 1-line block ×5, first 2 shown]
	v_lshl_add_u64 v[12:13], v[12:13], 0, s[8:9]
	v_lshl_add_u64 v[14:15], v[14:15], 0, s[24:25]
	s_barrier
	s_cbranch_vccz .LBB287_10
.LBB287_3:                              ; =>This Inner Loop Header: Depth=1
	v_lshl_add_u64 v[0:1], v[8:9], 0, s[10:11]
	v_cmp_gt_i64_e32 vcc, s[40:41], v[0:1]
	s_and_b64 s[34:35], s[0:1], vcc
	v_mov_b64_e32 v[0:1], 0
	v_mov_b64_e32 v[2:3], 0
	s_and_saveexec_b64 s[30:31], s[34:35]
	s_cbranch_execz .LBB287_5
; %bb.4:                                ;   in Loop: Header=BB287_3 Depth=1
	flat_load_dwordx4 v[0:3], v[14:15]
	s_waitcnt vmcnt(0) lgkmcnt(0)
	v_xor_b32_e32 v3, 0x80000000, v3
.LBB287_5:                              ;   in Loop: Header=BB287_3 Depth=1
	s_or_b64 exec, exec, s[30:31]
	ds_write_b128 v34, v[0:3]
	v_lshl_add_u64 v[0:1], v[10:11], 0, s[10:11]
	v_cmp_le_i64_e32 vcc, s[40:41], v[0:1]
	s_or_b64 s[30:31], vcc, s[12:13]
	s_and_saveexec_b64 s[34:35], s[30:31]
	s_xor_b64 s[30:31], exec, s[34:35]
; %bb.6:                                ;   in Loop: Header=BB287_3 Depth=1
	ds_write_b128 v35, v[38:41]
; %bb.7:                                ;   in Loop: Header=BB287_3 Depth=1
	s_andn2_saveexec_b64 s[30:31], s[30:31]
	s_cbranch_execz .LBB287_2
; %bb.8:                                ;   in Loop: Header=BB287_3 Depth=1
	flat_load_dwordx4 v[0:3], v[12:13]
	s_waitcnt vmcnt(0) lgkmcnt(0)
	ds_write2_b64 v35, v[0:1], v[2:3] offset1:1
	s_branch .LBB287_2
.LBB287_9:
	v_mov_b64_e32 v[30:31], 0
	v_mov_b64_e32 v[32:33], 0
	;; [unrolled: 1-line block ×8, first 2 shown]
.LBB287_10:
	s_lshl_b64 s[0:1], s[28:29], 4
	s_waitcnt lgkmcnt(0)
	s_add_u32 s8, s4, s0
	s_addc_u32 s9, s5, s1
	v_lshl_add_u64 v[0:1], s[2:3], 0, v[6:7]
	v_cmp_neq_f64_e64 s[0:1], s[14:15], 0
	v_cmp_neq_f64_e64 s[2:3], s[16:17], 0
	s_or_b64 s[4:5], s[0:1], s[2:3]
	v_cmp_gt_i64_e64 s[0:1], s[38:39], v[0:1]
	s_mov_b64 s[2:3], -1
	s_and_b64 vcc, exec, s[4:5]
	s_cbranch_vccnz .LBB287_22
; %bb.11:
	s_and_saveexec_b64 s[10:11], s[0:1]
	s_cbranch_execz .LBB287_21
; %bb.12:
	v_mul_lo_u32 v8, v1, s26
	v_mul_lo_u32 v9, v0, s27
	v_mad_u64_u32 v[6:7], s[2:3], v0, s26, 0
	v_add3_u32 v7, v7, v9, v8
	v_lshl_add_u64 v[2:3], s[18:19], 0, v[4:5]
	v_lshl_add_u64 v[6:7], v[6:7], 4, s[8:9]
	v_cmp_gt_i64_e32 vcc, s[36:37], v[2:3]
	v_lshl_add_u64 v[8:9], v[2:3], 4, v[6:7]
	s_and_saveexec_b64 s[2:3], vcc
	s_cbranch_execz .LBB287_14
; %bb.13:
	v_mul_f64 v[10:11], s[44:45], v[32:33]
	v_mul_f64 v[12:13], s[42:43], v[32:33]
	v_fma_f64 v[10:11], s[42:43], v[30:31], -v[10:11]
	v_fmac_f64_e32 v[12:13], s[44:45], v[30:31]
	flat_store_dwordx4 v[8:9], v[10:13]
.LBB287_14:
	s_or_b64 exec, exec, s[2:3]
	s_nop 0
	v_lshl_add_u64 v[10:11], v[2:3], 0, 16
	v_cmp_gt_i64_e64 s[2:3], s[36:37], v[10:11]
	s_and_saveexec_b64 s[4:5], s[2:3]
	s_cbranch_execz .LBB287_16
; %bb.15:
	v_mul_f64 v[10:11], s[44:45], v[28:29]
	v_mul_f64 v[12:13], s[42:43], v[28:29]
	v_fma_f64 v[10:11], s[42:43], v[26:27], -v[10:11]
	v_fmac_f64_e32 v[12:13], s[44:45], v[26:27]
	flat_store_dwordx4 v[8:9], v[10:13] offset:256
.LBB287_16:
	s_or_b64 exec, exec, s[4:5]
	v_lshl_add_u64 v[8:9], v[0:1], 0, 16
	v_cmp_gt_i64_e64 s[4:5], s[38:39], v[8:9]
	s_and_b64 exec, exec, s[4:5]
	s_cbranch_execz .LBB287_21
; %bb.17:
	s_lshl_b64 s[4:5], s[26:27], 8
	v_lshl_add_u64 v[6:7], v[6:7], 0, s[4:5]
	v_lshl_add_u64 v[2:3], v[2:3], 4, v[6:7]
	s_and_saveexec_b64 s[4:5], vcc
	s_cbranch_execz .LBB287_19
; %bb.18:
	v_mul_f64 v[6:7], s[44:45], v[24:25]
	v_mul_f64 v[8:9], s[42:43], v[24:25]
	v_fma_f64 v[6:7], s[42:43], v[22:23], -v[6:7]
	v_fmac_f64_e32 v[8:9], s[44:45], v[22:23]
	flat_store_dwordx4 v[2:3], v[6:9]
.LBB287_19:
	s_or_b64 exec, exec, s[4:5]
	s_and_b64 exec, exec, s[2:3]
	s_cbranch_execz .LBB287_21
; %bb.20:
	v_mul_f64 v[6:7], s[44:45], v[18:19]
	v_mul_f64 v[8:9], s[42:43], v[18:19]
	v_fma_f64 v[6:7], s[42:43], v[20:21], -v[6:7]
	v_fmac_f64_e32 v[8:9], s[44:45], v[20:21]
	flat_store_dwordx4 v[2:3], v[6:9] offset:256
.LBB287_21:
	s_or_b64 exec, exec, s[10:11]
	s_mov_b64 s[2:3], 0
.LBB287_22:
	s_andn2_b64 vcc, exec, s[2:3]
	s_cbranch_vccnz .LBB287_33
; %bb.23:
	s_and_saveexec_b64 s[2:3], s[0:1]
	s_cbranch_execz .LBB287_33
; %bb.24:
	s_lshl_b64 s[0:1], s[22:23], 4
	v_lshl_add_u64 v[8:9], s[18:19], 0, v[4:5]
	v_mul_lo_u32 v4, v1, s20
	v_mul_lo_u32 v5, v0, s21
	v_mad_u64_u32 v[2:3], s[2:3], v0, s20, 0
	s_add_u32 s0, s6, s0
	v_add3_u32 v3, v3, v5, v4
	v_mul_lo_u32 v6, v1, s26
	v_mul_lo_u32 v7, v0, s27
	v_mad_u64_u32 v[4:5], s[2:3], v0, s26, 0
	s_addc_u32 s1, s7, s1
	v_add3_u32 v5, v5, v7, v6
	v_cmp_gt_i64_e32 vcc, s[36:37], v[8:9]
	v_lshl_add_u64 v[6:7], v[2:3], 4, s[0:1]
	v_lshl_add_u64 v[4:5], v[4:5], 4, s[8:9]
	v_lshlrev_b64 v[2:3], 4, v[8:9]
	s_and_saveexec_b64 s[0:1], vcc
	s_cbranch_execz .LBB287_26
; %bb.25:
	v_lshl_add_u64 v[10:11], v[6:7], 0, v[2:3]
	flat_load_dwordx4 v[10:13], v[10:11]
	v_mul_f64 v[14:15], s[44:45], v[32:33]
	v_mul_f64 v[16:17], s[42:43], v[32:33]
	v_fma_f64 v[14:15], s[42:43], v[30:31], -v[14:15]
	v_fmac_f64_e32 v[16:17], s[44:45], v[30:31]
	s_waitcnt vmcnt(0) lgkmcnt(0)
	v_mul_f64 v[30:31], s[16:17], v[12:13]
	v_mul_f64 v[12:13], s[14:15], v[12:13]
	v_fma_f64 v[30:31], s[14:15], v[10:11], -v[30:31]
	v_fmac_f64_e32 v[12:13], s[16:17], v[10:11]
	v_add_f64 v[10:11], v[14:15], v[30:31]
	v_add_f64 v[12:13], v[16:17], v[12:13]
	v_lshl_add_u64 v[14:15], v[4:5], 0, v[2:3]
	flat_store_dwordx4 v[14:15], v[10:13]
.LBB287_26:
	s_or_b64 exec, exec, s[0:1]
	v_lshl_add_u64 v[8:9], v[8:9], 0, 16
	v_cmp_gt_i64_e64 s[0:1], s[36:37], v[8:9]
	s_and_saveexec_b64 s[2:3], s[0:1]
	s_cbranch_execz .LBB287_28
; %bb.27:
	v_lshl_add_u64 v[8:9], v[6:7], 0, v[2:3]
	flat_load_dwordx4 v[8:11], v[8:9] offset:256
	v_mul_f64 v[12:13], s[44:45], v[28:29]
	v_mul_f64 v[14:15], s[42:43], v[28:29]
	v_fma_f64 v[12:13], s[42:43], v[26:27], -v[12:13]
	v_fmac_f64_e32 v[14:15], s[44:45], v[26:27]
	s_waitcnt vmcnt(0) lgkmcnt(0)
	v_mul_f64 v[16:17], s[16:17], v[10:11]
	v_mul_f64 v[10:11], s[14:15], v[10:11]
	v_fma_f64 v[16:17], s[14:15], v[8:9], -v[16:17]
	v_fmac_f64_e32 v[10:11], s[16:17], v[8:9]
	v_add_f64 v[8:9], v[12:13], v[16:17]
	v_add_f64 v[10:11], v[14:15], v[10:11]
	v_lshl_add_u64 v[12:13], v[4:5], 0, v[2:3]
	flat_store_dwordx4 v[12:13], v[8:11] offset:256
.LBB287_28:
	s_or_b64 exec, exec, s[2:3]
	v_lshl_add_u64 v[0:1], v[0:1], 0, 16
	v_cmp_gt_i64_e64 s[2:3], s[38:39], v[0:1]
	s_and_b64 exec, exec, s[2:3]
	s_cbranch_execz .LBB287_33
; %bb.29:
	s_lshl_b64 s[2:3], s[20:21], 8
	v_lshl_add_u64 v[0:1], v[6:7], 0, s[2:3]
	s_lshl_b64 s[2:3], s[26:27], 8
	v_lshl_add_u64 v[6:7], v[4:5], 0, s[2:3]
	v_lshl_add_u64 v[4:5], v[0:1], 0, v[2:3]
	;; [unrolled: 1-line block ×3, first 2 shown]
	s_and_saveexec_b64 s[2:3], vcc
	s_cbranch_execz .LBB287_31
; %bb.30:
	flat_load_dwordx4 v[6:9], v[4:5]
	v_mul_f64 v[2:3], s[44:45], v[24:25]
	v_mul_f64 v[10:11], s[42:43], v[24:25]
	v_fma_f64 v[2:3], s[42:43], v[22:23], -v[2:3]
	v_fmac_f64_e32 v[10:11], s[44:45], v[22:23]
	s_waitcnt vmcnt(0) lgkmcnt(0)
	v_mul_f64 v[12:13], s[16:17], v[8:9]
	v_mul_f64 v[8:9], s[14:15], v[8:9]
	v_fma_f64 v[12:13], s[14:15], v[6:7], -v[12:13]
	v_fmac_f64_e32 v[8:9], s[16:17], v[6:7]
	v_add_f64 v[6:7], v[2:3], v[12:13]
	v_add_f64 v[8:9], v[10:11], v[8:9]
	flat_store_dwordx4 v[0:1], v[6:9]
.LBB287_31:
	s_or_b64 exec, exec, s[2:3]
	s_and_b64 exec, exec, s[0:1]
	s_cbranch_execz .LBB287_33
; %bb.32:
	flat_load_dwordx4 v[2:5], v[4:5] offset:256
	v_mul_f64 v[6:7], s[44:45], v[18:19]
	v_mul_f64 v[8:9], s[42:43], v[18:19]
	v_fma_f64 v[6:7], s[42:43], v[20:21], -v[6:7]
	v_fmac_f64_e32 v[8:9], s[44:45], v[20:21]
	s_waitcnt vmcnt(0) lgkmcnt(0)
	v_mul_f64 v[10:11], s[16:17], v[4:5]
	v_mul_f64 v[4:5], s[14:15], v[4:5]
	v_fma_f64 v[10:11], s[14:15], v[2:3], -v[10:11]
	v_fmac_f64_e32 v[4:5], s[16:17], v[2:3]
	v_add_f64 v[2:3], v[6:7], v[10:11]
	v_add_f64 v[4:5], v[8:9], v[4:5]
	flat_store_dwordx4 v[0:1], v[2:5] offset:256
.LBB287_33:
	s_endpgm
	.section	.rodata,"a",@progbits
	.p2align	6, 0x0
	.amdhsa_kernel _ZN12_GLOBAL__N_135rocblas_gemm_batched_general_kernelI19rocblas_complex_numIdELi16ELi16ELi32ELi32ELi8ELi32ELi8ELi8ELi32ELc67ELc84EKPKS2_S5_KPS2_EEvlllT_PT11_llSA_llS8_PT12_llPT13_lli
		.amdhsa_group_segment_fixed_size 8192
		.amdhsa_private_segment_fixed_size 0
		.amdhsa_kernarg_size 156
		.amdhsa_user_sgpr_count 2
		.amdhsa_user_sgpr_dispatch_ptr 0
		.amdhsa_user_sgpr_queue_ptr 0
		.amdhsa_user_sgpr_kernarg_segment_ptr 1
		.amdhsa_user_sgpr_dispatch_id 0
		.amdhsa_user_sgpr_kernarg_preload_length 0
		.amdhsa_user_sgpr_kernarg_preload_offset 0
		.amdhsa_user_sgpr_private_segment_size 0
		.amdhsa_uses_dynamic_stack 0
		.amdhsa_enable_private_segment 0
		.amdhsa_system_sgpr_workgroup_id_x 1
		.amdhsa_system_sgpr_workgroup_id_y 1
		.amdhsa_system_sgpr_workgroup_id_z 1
		.amdhsa_system_sgpr_workgroup_info 0
		.amdhsa_system_vgpr_workitem_id 1
		.amdhsa_next_free_vgpr 68
		.amdhsa_next_free_sgpr 52
		.amdhsa_accum_offset 68
		.amdhsa_reserve_vcc 1
		.amdhsa_float_round_mode_32 0
		.amdhsa_float_round_mode_16_64 0
		.amdhsa_float_denorm_mode_32 3
		.amdhsa_float_denorm_mode_16_64 3
		.amdhsa_dx10_clamp 1
		.amdhsa_ieee_mode 1
		.amdhsa_fp16_overflow 0
		.amdhsa_tg_split 0
		.amdhsa_exception_fp_ieee_invalid_op 0
		.amdhsa_exception_fp_denorm_src 0
		.amdhsa_exception_fp_ieee_div_zero 0
		.amdhsa_exception_fp_ieee_overflow 0
		.amdhsa_exception_fp_ieee_underflow 0
		.amdhsa_exception_fp_ieee_inexact 0
		.amdhsa_exception_int_div_zero 0
	.end_amdhsa_kernel
	.section	.text._ZN12_GLOBAL__N_135rocblas_gemm_batched_general_kernelI19rocblas_complex_numIdELi16ELi16ELi32ELi32ELi8ELi32ELi8ELi8ELi32ELc67ELc84EKPKS2_S5_KPS2_EEvlllT_PT11_llSA_llS8_PT12_llPT13_lli,"axG",@progbits,_ZN12_GLOBAL__N_135rocblas_gemm_batched_general_kernelI19rocblas_complex_numIdELi16ELi16ELi32ELi32ELi8ELi32ELi8ELi8ELi32ELc67ELc84EKPKS2_S5_KPS2_EEvlllT_PT11_llSA_llS8_PT12_llPT13_lli,comdat
.Lfunc_end287:
	.size	_ZN12_GLOBAL__N_135rocblas_gemm_batched_general_kernelI19rocblas_complex_numIdELi16ELi16ELi32ELi32ELi8ELi32ELi8ELi8ELi32ELc67ELc84EKPKS2_S5_KPS2_EEvlllT_PT11_llSA_llS8_PT12_llPT13_lli, .Lfunc_end287-_ZN12_GLOBAL__N_135rocblas_gemm_batched_general_kernelI19rocblas_complex_numIdELi16ELi16ELi32ELi32ELi8ELi32ELi8ELi8ELi32ELc67ELc84EKPKS2_S5_KPS2_EEvlllT_PT11_llSA_llS8_PT12_llPT13_lli
                                        ; -- End function
	.set _ZN12_GLOBAL__N_135rocblas_gemm_batched_general_kernelI19rocblas_complex_numIdELi16ELi16ELi32ELi32ELi8ELi32ELi8ELi8ELi32ELc67ELc84EKPKS2_S5_KPS2_EEvlllT_PT11_llSA_llS8_PT12_llPT13_lli.num_vgpr, 68
	.set _ZN12_GLOBAL__N_135rocblas_gemm_batched_general_kernelI19rocblas_complex_numIdELi16ELi16ELi32ELi32ELi8ELi32ELi8ELi8ELi32ELc67ELc84EKPKS2_S5_KPS2_EEvlllT_PT11_llSA_llS8_PT12_llPT13_lli.num_agpr, 0
	.set _ZN12_GLOBAL__N_135rocblas_gemm_batched_general_kernelI19rocblas_complex_numIdELi16ELi16ELi32ELi32ELi8ELi32ELi8ELi8ELi32ELc67ELc84EKPKS2_S5_KPS2_EEvlllT_PT11_llSA_llS8_PT12_llPT13_lli.numbered_sgpr, 52
	.set _ZN12_GLOBAL__N_135rocblas_gemm_batched_general_kernelI19rocblas_complex_numIdELi16ELi16ELi32ELi32ELi8ELi32ELi8ELi8ELi32ELc67ELc84EKPKS2_S5_KPS2_EEvlllT_PT11_llSA_llS8_PT12_llPT13_lli.num_named_barrier, 0
	.set _ZN12_GLOBAL__N_135rocblas_gemm_batched_general_kernelI19rocblas_complex_numIdELi16ELi16ELi32ELi32ELi8ELi32ELi8ELi8ELi32ELc67ELc84EKPKS2_S5_KPS2_EEvlllT_PT11_llSA_llS8_PT12_llPT13_lli.private_seg_size, 0
	.set _ZN12_GLOBAL__N_135rocblas_gemm_batched_general_kernelI19rocblas_complex_numIdELi16ELi16ELi32ELi32ELi8ELi32ELi8ELi8ELi32ELc67ELc84EKPKS2_S5_KPS2_EEvlllT_PT11_llSA_llS8_PT12_llPT13_lli.uses_vcc, 1
	.set _ZN12_GLOBAL__N_135rocblas_gemm_batched_general_kernelI19rocblas_complex_numIdELi16ELi16ELi32ELi32ELi8ELi32ELi8ELi8ELi32ELc67ELc84EKPKS2_S5_KPS2_EEvlllT_PT11_llSA_llS8_PT12_llPT13_lli.uses_flat_scratch, 0
	.set _ZN12_GLOBAL__N_135rocblas_gemm_batched_general_kernelI19rocblas_complex_numIdELi16ELi16ELi32ELi32ELi8ELi32ELi8ELi8ELi32ELc67ELc84EKPKS2_S5_KPS2_EEvlllT_PT11_llSA_llS8_PT12_llPT13_lli.has_dyn_sized_stack, 0
	.set _ZN12_GLOBAL__N_135rocblas_gemm_batched_general_kernelI19rocblas_complex_numIdELi16ELi16ELi32ELi32ELi8ELi32ELi8ELi8ELi32ELc67ELc84EKPKS2_S5_KPS2_EEvlllT_PT11_llSA_llS8_PT12_llPT13_lli.has_recursion, 0
	.set _ZN12_GLOBAL__N_135rocblas_gemm_batched_general_kernelI19rocblas_complex_numIdELi16ELi16ELi32ELi32ELi8ELi32ELi8ELi8ELi32ELc67ELc84EKPKS2_S5_KPS2_EEvlllT_PT11_llSA_llS8_PT12_llPT13_lli.has_indirect_call, 0
	.section	.AMDGPU.csdata,"",@progbits
; Kernel info:
; codeLenInByte = 3516
; TotalNumSgprs: 58
; NumVgprs: 68
; NumAgprs: 0
; TotalNumVgprs: 68
; ScratchSize: 0
; MemoryBound: 1
; FloatMode: 240
; IeeeMode: 1
; LDSByteSize: 8192 bytes/workgroup (compile time only)
; SGPRBlocks: 7
; VGPRBlocks: 8
; NumSGPRsForWavesPerEU: 58
; NumVGPRsForWavesPerEU: 68
; AccumOffset: 68
; Occupancy: 7
; WaveLimiterHint : 1
; COMPUTE_PGM_RSRC2:SCRATCH_EN: 0
; COMPUTE_PGM_RSRC2:USER_SGPR: 2
; COMPUTE_PGM_RSRC2:TRAP_HANDLER: 0
; COMPUTE_PGM_RSRC2:TGID_X_EN: 1
; COMPUTE_PGM_RSRC2:TGID_Y_EN: 1
; COMPUTE_PGM_RSRC2:TGID_Z_EN: 1
; COMPUTE_PGM_RSRC2:TIDIG_COMP_CNT: 1
; COMPUTE_PGM_RSRC3_GFX90A:ACCUM_OFFSET: 16
; COMPUTE_PGM_RSRC3_GFX90A:TG_SPLIT: 0
	.section	.text._ZN12_GLOBAL__N_135rocblas_gemm_batched_general_kernelI19rocblas_complex_numIdELi16ELi16ELi32ELi32ELi8ELi32ELi8ELi8ELi32ELc78ELc67EKPKS2_S5_KPS2_EEvlllT_PT11_llSA_llS8_PT12_llPT13_lli,"axG",@progbits,_ZN12_GLOBAL__N_135rocblas_gemm_batched_general_kernelI19rocblas_complex_numIdELi16ELi16ELi32ELi32ELi8ELi32ELi8ELi8ELi32ELc78ELc67EKPKS2_S5_KPS2_EEvlllT_PT11_llSA_llS8_PT12_llPT13_lli,comdat
	.globl	_ZN12_GLOBAL__N_135rocblas_gemm_batched_general_kernelI19rocblas_complex_numIdELi16ELi16ELi32ELi32ELi8ELi32ELi8ELi8ELi32ELc78ELc67EKPKS2_S5_KPS2_EEvlllT_PT11_llSA_llS8_PT12_llPT13_lli ; -- Begin function _ZN12_GLOBAL__N_135rocblas_gemm_batched_general_kernelI19rocblas_complex_numIdELi16ELi16ELi32ELi32ELi8ELi32ELi8ELi8ELi32ELc78ELc67EKPKS2_S5_KPS2_EEvlllT_PT11_llSA_llS8_PT12_llPT13_lli
	.p2align	8
	.type	_ZN12_GLOBAL__N_135rocblas_gemm_batched_general_kernelI19rocblas_complex_numIdELi16ELi16ELi32ELi32ELi8ELi32ELi8ELi8ELi32ELc78ELc67EKPKS2_S5_KPS2_EEvlllT_PT11_llSA_llS8_PT12_llPT13_lli,@function
_ZN12_GLOBAL__N_135rocblas_gemm_batched_general_kernelI19rocblas_complex_numIdELi16ELi16ELi32ELi32ELi8ELi32ELi8ELi8ELi32ELc78ELc67EKPKS2_S5_KPS2_EEvlllT_PT11_llSA_llS8_PT12_llPT13_lli: ; @_ZN12_GLOBAL__N_135rocblas_gemm_batched_general_kernelI19rocblas_complex_numIdELi16ELi16ELi32ELi32ELi8ELi32ELi8ELi8ELi32ELc78ELc67EKPKS2_S5_KPS2_EEvlllT_PT11_llSA_llS8_PT12_llPT13_lli
; %bb.0:
	s_load_dwordx16 s[36:51], s[0:1], 0x0
	s_load_dwordx16 s[8:23], s[0:1], 0x40
	s_load_dwordx2 s[28:29], s[0:1], 0x90
	s_load_dwordx4 s[24:27], s[0:1], 0x80
	s_mov_b32 s5, 0
	s_lshl_b64 s[0:1], s[4:5], 3
	s_waitcnt lgkmcnt(0)
	s_add_u32 s4, s18, s0
	s_addc_u32 s5, s19, s1
	s_load_dwordx2 s[6:7], s[4:5], 0x0
	s_add_u32 s4, s24, s0
	s_addc_u32 s5, s25, s1
	s_load_dwordx2 s[4:5], s[4:5], 0x0
	s_mov_b32 s30, s3
	v_mov_b32_e32 v7, 0
	s_ashr_i32 s3, s2, 31
	s_ashr_i32 s31, s30, 31
	v_cmp_lt_i64_e64 s[34:35], s[40:41], 1
	v_and_b32_e32 v4, 0x3ff, v0
	v_bfe_u32 v6, v0, 10, 10
	v_mov_b32_e32 v5, v7
	s_lshl_b64 s[18:19], s[2:3], 5
	s_lshl_b64 s[24:25], s[30:31], 5
	s_and_b64 vcc, exec, s[34:35]
	s_cbranch_vccnz .LBB288_9
; %bb.1:
	s_add_u32 s8, s8, s0
	v_lshl_add_u32 v12, v6, 4, v4
	s_addc_u32 s9, s9, s1
	s_add_u32 s0, s46, s0
	v_lshrrev_b32_e32 v0, 3, v12
	v_mov_b32_e32 v1, v7
	v_and_b32_e32 v10, 7, v4
	s_addc_u32 s1, s47, s1
	v_lshl_add_u64 v[2:3], v[0:1], 0, s[24:25]
	v_and_b32_e32 v1, 31, v12
	v_lshrrev_b32_e32 v8, 5, v12
	s_load_dwordx2 s[34:35], s[0:1], 0x0
	v_or_b32_e32 v12, s18, v1
	v_mov_b32_e32 v13, s19
	v_cmp_gt_i64_e64 s[0:1], s[38:39], v[2:3]
	v_mad_u64_u32 v[2:3], s[46:47], s10, v10, 0
	s_load_dwordx2 s[8:9], s[8:9], 0x0
	v_cmp_gt_i64_e32 vcc, s[36:37], v[12:13]
	v_lshlrev_b32_e32 v14, 4, v1
	v_lshlrev_b32_e32 v1, 4, v10
	v_mov_b32_e32 v12, v3
	s_lshl_b64 s[30:31], s[30:31], 9
	s_lshl_b64 s[12:13], s[12:13], 4
	v_lshl_or_b32 v1, v0, 7, v1
	v_mad_u64_u32 v[12:13], s[46:47], s11, v10, v[12:13]
	s_add_u32 s12, s12, s30
	v_add_u32_e32 v35, 0x1000, v1
	v_mov_b32_e32 v1, 0x1000
	v_mov_b32_e32 v3, v12
	s_addc_u32 s13, s13, s31
	v_lshl_add_u32 v37, v6, 7, v1
	v_lshl_add_u64 v[2:3], v[2:3], 4, s[12:13]
	v_lshlrev_b32_e32 v0, 4, v0
	v_mov_b32_e32 v1, v7
	v_lshl_add_u64 v[0:1], v[2:3], 0, v[0:1]
	s_waitcnt lgkmcnt(0)
	v_lshl_add_u64 v[12:13], s[8:9], 0, v[0:1]
	s_lshl_b64 s[8:9], s[10:11], 7
	v_mad_u64_u32 v[0:1], s[10:11], s48, v8, 0
	v_mov_b32_e32 v2, v1
	v_mad_u64_u32 v[2:3], s[10:11], s49, v8, v[2:3]
	s_lshl_b64 s[2:3], s[2:3], 9
	s_lshl_b64 s[10:11], s[50:51], 4
	s_add_u32 s2, s10, s2
	v_mov_b32_e32 v1, v2
	s_addc_u32 s3, s11, s3
	v_lshl_add_u64 v[0:1], v[0:1], 4, s[2:3]
	v_mov_b32_e32 v15, v7
	v_lshl_add_u64 v[0:1], v[0:1], 0, v[14:15]
	v_mov_b32_e32 v9, v7
	v_mov_b32_e32 v11, v7
	v_lshl_or_b32 v34, v8, 9, v14
	v_lshlrev_b32_e32 v36, 4, v4
	v_lshl_add_u64 v[14:15], s[34:35], 0, v[0:1]
	s_lshl_b64 s[2:3], s[48:49], 7
	s_mov_b64 s[10:11], 0
	v_mov_b64_e32 v[18:19], 0
	s_xor_b64 s[12:13], vcc, -1
	v_mov_b64_e32 v[16:17], s[40:41]
	v_mov_b32_e32 v38, v7
	v_mov_b32_e32 v39, v7
	;; [unrolled: 1-line block ×4, first 2 shown]
	v_mov_b64_e32 v[20:21], 0
	v_mov_b64_e32 v[24:25], 0
	;; [unrolled: 1-line block ×7, first 2 shown]
	s_branch .LBB288_3
.LBB288_2:                              ;   in Loop: Header=BB288_3 Depth=1
	s_or_b64 exec, exec, s[30:31]
	ds_write_b128 v35, v[0:3]
	s_waitcnt lgkmcnt(0)
	s_barrier
	ds_read_b128 v[0:3], v36
	ds_read_b128 v[42:45], v37
	ds_read_b128 v[46:49], v37 offset:16
	ds_read_b128 v[50:53], v37 offset:32
	;; [unrolled: 1-line block ×4, first 2 shown]
	s_waitcnt lgkmcnt(4)
	v_mul_f64 v[62:63], v[44:45], v[2:3]
	v_fma_f64 v[62:63], v[42:43], v[0:1], -v[62:63]
	v_mul_f64 v[64:65], v[42:43], v[2:3]
	v_fmac_f64_e32 v[64:65], v[44:45], v[0:1]
	v_add_f64 v[62:63], v[30:31], v[62:63]
	s_waitcnt lgkmcnt(0)
	v_mul_f64 v[30:31], v[44:45], v[60:61]
	v_add_f64 v[64:65], v[64:65], v[32:33]
	v_fma_f64 v[66:67], v[42:43], v[58:59], -v[30:31]
	ds_read_b128 v[30:33], v37 offset:2048
	v_mul_f64 v[42:43], v[42:43], v[60:61]
	v_fmac_f64_e32 v[42:43], v[44:45], v[58:59]
	v_add_f64 v[44:45], v[26:27], v[66:67]
	v_add_f64 v[42:43], v[42:43], v[28:29]
	ds_read_b128 v[26:29], v37 offset:2064
	s_waitcnt lgkmcnt(1)
	v_mul_f64 v[66:67], v[32:33], v[2:3]
	v_mul_f64 v[2:3], v[30:31], v[2:3]
	v_fma_f64 v[66:67], v[30:31], v[0:1], -v[66:67]
	v_fmac_f64_e32 v[2:3], v[32:33], v[0:1]
	v_mul_f64 v[0:1], v[32:33], v[60:61]
	v_add_f64 v[22:23], v[22:23], v[66:67]
	v_add_f64 v[24:25], v[2:3], v[24:25]
	v_fma_f64 v[66:67], v[30:31], v[58:59], -v[0:1]
	v_mul_f64 v[30:31], v[30:31], v[60:61]
	ds_read_b128 v[0:3], v36 offset:512
	v_fmac_f64_e32 v[30:31], v[32:33], v[58:59]
	v_add_f64 v[32:33], v[20:21], v[66:67]
	v_add_f64 v[30:31], v[30:31], v[18:19]
	ds_read_b128 v[18:21], v36 offset:768
	s_waitcnt lgkmcnt(1)
	v_mul_f64 v[58:59], v[48:49], v[2:3]
	v_fma_f64 v[58:59], v[46:47], v[0:1], -v[58:59]
	v_add_f64 v[58:59], v[62:63], v[58:59]
	v_mul_f64 v[60:61], v[46:47], v[2:3]
	s_waitcnt lgkmcnt(0)
	v_mul_f64 v[62:63], v[48:49], v[20:21]
	v_fma_f64 v[62:63], v[46:47], v[18:19], -v[62:63]
	v_mul_f64 v[46:47], v[46:47], v[20:21]
	v_fmac_f64_e32 v[46:47], v[48:49], v[18:19]
	v_add_f64 v[42:43], v[46:47], v[42:43]
	v_mul_f64 v[46:47], v[28:29], v[2:3]
	v_mul_f64 v[2:3], v[26:27], v[2:3]
	v_fmac_f64_e32 v[60:61], v[48:49], v[0:1]
	v_fma_f64 v[46:47], v[26:27], v[0:1], -v[46:47]
	v_fmac_f64_e32 v[2:3], v[28:29], v[0:1]
	v_mul_f64 v[0:1], v[28:29], v[20:21]
	v_add_f64 v[46:47], v[22:23], v[46:47]
	v_add_f64 v[48:49], v[2:3], v[24:25]
	v_fma_f64 v[22:23], v[26:27], v[18:19], -v[0:1]
	v_mul_f64 v[20:21], v[26:27], v[20:21]
	ds_read_b128 v[0:3], v36 offset:1024
	v_fmac_f64_e32 v[20:21], v[28:29], v[18:19]
	v_add_f64 v[30:31], v[20:21], v[30:31]
	ds_read_b128 v[18:21], v36 offset:1280
	v_add_f64 v[32:33], v[32:33], v[22:23]
	s_waitcnt lgkmcnt(1)
	v_mul_f64 v[22:23], v[52:53], v[2:3]
	v_fma_f64 v[22:23], v[50:51], v[0:1], -v[22:23]
	v_mul_f64 v[24:25], v[50:51], v[2:3]
	v_add_f64 v[60:61], v[60:61], v[64:65]
	v_fmac_f64_e32 v[24:25], v[52:53], v[0:1]
	v_add_f64 v[58:59], v[58:59], v[22:23]
	s_waitcnt lgkmcnt(0)
	v_mul_f64 v[22:23], v[52:53], v[20:21]
	v_add_f64 v[60:61], v[24:25], v[60:61]
	v_fma_f64 v[26:27], v[50:51], v[18:19], -v[22:23]
	ds_read_b128 v[22:25], v37 offset:2080
	v_mul_f64 v[28:29], v[50:51], v[20:21]
	v_add_f64 v[44:45], v[44:45], v[62:63]
	v_fmac_f64_e32 v[28:29], v[52:53], v[18:19]
	v_add_f64 v[44:45], v[44:45], v[26:27]
	v_add_f64 v[42:43], v[28:29], v[42:43]
	ds_read_b128 v[26:29], v37 offset:2096
	s_waitcnt lgkmcnt(1)
	v_mul_f64 v[50:51], v[24:25], v[2:3]
	v_mul_f64 v[2:3], v[22:23], v[2:3]
	v_fma_f64 v[50:51], v[22:23], v[0:1], -v[50:51]
	v_fmac_f64_e32 v[2:3], v[24:25], v[0:1]
	v_mul_f64 v[0:1], v[24:25], v[20:21]
	v_mul_f64 v[20:21], v[22:23], v[20:21]
	v_fmac_f64_e32 v[20:21], v[24:25], v[18:19]
	v_add_f64 v[46:47], v[46:47], v[50:51]
	v_add_f64 v[48:49], v[2:3], v[48:49]
	v_fma_f64 v[50:51], v[22:23], v[18:19], -v[0:1]
	ds_read_b128 v[0:3], v36 offset:1536
	v_add_f64 v[24:25], v[20:21], v[30:31]
	ds_read_b128 v[18:21], v36 offset:1792
	v_add_f64 v[22:23], v[32:33], v[50:51]
	s_add_u32 s10, s10, 8
	s_waitcnt lgkmcnt(1)
	v_mul_f64 v[30:31], v[56:57], v[2:3]
	v_mul_f64 v[32:33], v[54:55], v[2:3]
	s_waitcnt lgkmcnt(0)
	v_mul_f64 v[50:51], v[56:57], v[20:21]
	v_fma_f64 v[50:51], v[54:55], v[18:19], -v[50:51]
	v_add_f64 v[44:45], v[44:45], v[50:51]
	v_mul_f64 v[50:51], v[28:29], v[2:3]
	v_mul_f64 v[2:3], v[26:27], v[2:3]
	v_fma_f64 v[30:31], v[54:55], v[0:1], -v[30:31]
	v_fmac_f64_e32 v[32:33], v[56:57], v[0:1]
	v_fma_f64 v[50:51], v[26:27], v[0:1], -v[50:51]
	v_fmac_f64_e32 v[2:3], v[28:29], v[0:1]
	v_mul_f64 v[0:1], v[28:29], v[20:21]
	v_mul_f64 v[52:53], v[54:55], v[20:21]
	v_add_f64 v[46:47], v[46:47], v[50:51]
	v_fma_f64 v[50:51], v[26:27], v[18:19], -v[0:1]
	v_mul_f64 v[26:27], v[26:27], v[20:21]
	v_fmac_f64_e32 v[52:53], v[56:57], v[18:19]
	v_add_f64 v[48:49], v[2:3], v[48:49]
	v_fmac_f64_e32 v[26:27], v[28:29], v[18:19]
	ds_read_b128 v[0:3], v37 offset:64
	ds_read_b128 v[18:21], v36 offset:2048
	v_add_f64 v[42:43], v[52:53], v[42:43]
	v_add_f64 v[50:51], v[22:23], v[50:51]
	;; [unrolled: 1-line block ×3, first 2 shown]
	ds_read_b128 v[22:25], v36 offset:2304
	ds_read_b128 v[26:29], v37 offset:80
	s_waitcnt lgkmcnt(2)
	v_mul_f64 v[54:55], v[2:3], v[20:21]
	v_add_f64 v[30:31], v[58:59], v[30:31]
	v_fma_f64 v[54:55], v[0:1], v[18:19], -v[54:55]
	v_mul_f64 v[56:57], v[0:1], v[20:21]
	v_add_f64 v[32:33], v[32:33], v[60:61]
	v_fmac_f64_e32 v[56:57], v[2:3], v[18:19]
	v_add_f64 v[54:55], v[30:31], v[54:55]
	s_waitcnt lgkmcnt(1)
	v_mul_f64 v[30:31], v[2:3], v[24:25]
	v_add_f64 v[56:57], v[56:57], v[32:33]
	v_fma_f64 v[58:59], v[0:1], v[22:23], -v[30:31]
	ds_read_b128 v[30:33], v37 offset:2112
	v_mul_f64 v[0:1], v[0:1], v[24:25]
	v_fmac_f64_e32 v[0:1], v[2:3], v[22:23]
	v_add_f64 v[44:45], v[44:45], v[58:59]
	v_add_f64 v[42:43], v[0:1], v[42:43]
	ds_read_b128 v[0:3], v37 offset:2128
	s_waitcnt lgkmcnt(1)
	v_mul_f64 v[58:59], v[32:33], v[20:21]
	v_mul_f64 v[20:21], v[30:31], v[20:21]
	v_fma_f64 v[58:59], v[30:31], v[18:19], -v[58:59]
	v_fmac_f64_e32 v[20:21], v[32:33], v[18:19]
	v_mul_f64 v[18:19], v[32:33], v[24:25]
	v_add_f64 v[46:47], v[46:47], v[58:59]
	v_add_f64 v[48:49], v[20:21], v[48:49]
	v_fma_f64 v[58:59], v[30:31], v[22:23], -v[18:19]
	v_mul_f64 v[24:25], v[30:31], v[24:25]
	ds_read_b128 v[18:21], v36 offset:2560
	v_fmac_f64_e32 v[24:25], v[32:33], v[22:23]
	v_add_f64 v[32:33], v[24:25], v[52:53]
	ds_read_b128 v[22:25], v36 offset:2816
	v_add_f64 v[30:31], v[50:51], v[58:59]
	s_waitcnt lgkmcnt(1)
	v_mul_f64 v[50:51], v[28:29], v[20:21]
	v_fma_f64 v[50:51], v[26:27], v[18:19], -v[50:51]
	v_add_f64 v[50:51], v[54:55], v[50:51]
	s_waitcnt lgkmcnt(0)
	v_mul_f64 v[54:55], v[28:29], v[24:25]
	v_mul_f64 v[52:53], v[26:27], v[20:21]
	v_fma_f64 v[54:55], v[26:27], v[22:23], -v[54:55]
	v_mul_f64 v[26:27], v[26:27], v[24:25]
	v_fmac_f64_e32 v[26:27], v[28:29], v[22:23]
	v_add_f64 v[42:43], v[26:27], v[42:43]
	v_mul_f64 v[26:27], v[2:3], v[20:21]
	v_mul_f64 v[20:21], v[0:1], v[20:21]
	v_fmac_f64_e32 v[52:53], v[28:29], v[18:19]
	v_fma_f64 v[26:27], v[0:1], v[18:19], -v[26:27]
	v_fmac_f64_e32 v[20:21], v[2:3], v[18:19]
	v_mul_f64 v[18:19], v[2:3], v[24:25]
	v_mul_f64 v[24:25], v[0:1], v[24:25]
	v_add_f64 v[46:47], v[46:47], v[26:27]
	v_add_f64 v[48:49], v[20:21], v[48:49]
	v_fma_f64 v[26:27], v[0:1], v[22:23], -v[18:19]
	v_fmac_f64_e32 v[24:25], v[2:3], v[22:23]
	ds_read_b128 v[0:3], v37 offset:96
	ds_read_b128 v[18:21], v36 offset:3072
	v_add_f64 v[52:53], v[52:53], v[56:57]
	v_add_f64 v[44:45], v[44:45], v[54:55]
	;; [unrolled: 1-line block ×4, first 2 shown]
	ds_read_b128 v[22:25], v36 offset:3328
	ds_read_b128 v[26:29], v37 offset:112
	s_waitcnt lgkmcnt(2)
	v_mul_f64 v[30:31], v[2:3], v[20:21]
	v_fma_f64 v[30:31], v[0:1], v[18:19], -v[30:31]
	v_mul_f64 v[32:33], v[0:1], v[20:21]
	v_fmac_f64_e32 v[32:33], v[2:3], v[18:19]
	v_add_f64 v[50:51], v[50:51], v[30:31]
	s_waitcnt lgkmcnt(1)
	v_mul_f64 v[30:31], v[2:3], v[24:25]
	v_add_f64 v[52:53], v[32:33], v[52:53]
	v_fma_f64 v[58:59], v[0:1], v[22:23], -v[30:31]
	ds_read_b128 v[30:33], v37 offset:2144
	v_mul_f64 v[0:1], v[0:1], v[24:25]
	v_fmac_f64_e32 v[0:1], v[2:3], v[22:23]
	v_add_f64 v[60:61], v[0:1], v[42:43]
	ds_read_b128 v[0:3], v37 offset:2160
	s_waitcnt lgkmcnt(1)
	v_mul_f64 v[42:43], v[32:33], v[20:21]
	v_mul_f64 v[20:21], v[30:31], v[20:21]
	v_fma_f64 v[42:43], v[30:31], v[18:19], -v[42:43]
	v_fmac_f64_e32 v[20:21], v[32:33], v[18:19]
	v_mul_f64 v[18:19], v[32:33], v[24:25]
	v_add_f64 v[46:47], v[46:47], v[42:43]
	v_add_f64 v[48:49], v[20:21], v[48:49]
	v_fma_f64 v[42:43], v[30:31], v[22:23], -v[18:19]
	ds_read_b128 v[18:21], v36 offset:3584
	v_add_f64 v[58:59], v[44:45], v[58:59]
	v_add_f64 v[54:55], v[54:55], v[42:43]
	ds_read_b128 v[42:45], v36 offset:3840
	v_mul_f64 v[24:25], v[30:31], v[24:25]
	v_fmac_f64_e32 v[24:25], v[32:33], v[22:23]
	s_waitcnt lgkmcnt(1)
	v_mul_f64 v[22:23], v[28:29], v[20:21]
	v_fma_f64 v[22:23], v[26:27], v[18:19], -v[22:23]
	v_add_f64 v[56:57], v[24:25], v[56:57]
	v_mul_f64 v[24:25], v[26:27], v[20:21]
	v_add_f64 v[30:31], v[50:51], v[22:23]
	s_waitcnt lgkmcnt(0)
	v_mul_f64 v[22:23], v[28:29], v[44:45]
	v_fmac_f64_e32 v[24:25], v[28:29], v[18:19]
	v_fma_f64 v[22:23], v[26:27], v[42:43], -v[22:23]
	v_add_f64 v[32:33], v[24:25], v[52:53]
	v_mul_f64 v[24:25], v[26:27], v[44:45]
	v_add_f64 v[26:27], v[58:59], v[22:23]
	v_mul_f64 v[22:23], v[2:3], v[20:21]
	v_mul_f64 v[20:21], v[0:1], v[20:21]
	v_fma_f64 v[22:23], v[0:1], v[18:19], -v[22:23]
	v_fmac_f64_e32 v[20:21], v[2:3], v[18:19]
	v_mul_f64 v[18:19], v[2:3], v[44:45]
	v_fma_f64 v[18:19], v[0:1], v[42:43], -v[18:19]
	v_mul_f64 v[0:1], v[0:1], v[44:45]
	s_addc_u32 s11, s11, 0
	v_fmac_f64_e32 v[24:25], v[28:29], v[42:43]
	v_fmac_f64_e32 v[0:1], v[2:3], v[42:43]
	v_cmp_lt_i64_e32 vcc, s[10:11], v[16:17]
	v_add_f64 v[28:29], v[24:25], v[60:61]
	v_add_f64 v[22:23], v[46:47], v[22:23]
	;; [unrolled: 1-line block ×5, first 2 shown]
	v_lshl_add_u64 v[12:13], v[12:13], 0, s[8:9]
	v_lshl_add_u64 v[14:15], v[14:15], 0, s[2:3]
	s_barrier
	s_cbranch_vccz .LBB288_10
.LBB288_3:                              ; =>This Inner Loop Header: Depth=1
	v_lshl_add_u64 v[0:1], v[8:9], 0, s[10:11]
	v_cmp_le_i64_e32 vcc, s[40:41], v[0:1]
	s_or_b64 s[30:31], s[12:13], vcc
	s_and_saveexec_b64 s[34:35], s[30:31]
	s_xor_b64 s[30:31], exec, s[34:35]
; %bb.4:                                ;   in Loop: Header=BB288_3 Depth=1
	ds_write_b128 v34, v[38:41]
; %bb.5:                                ;   in Loop: Header=BB288_3 Depth=1
	s_andn2_saveexec_b64 s[30:31], s[30:31]
	s_cbranch_execz .LBB288_7
; %bb.6:                                ;   in Loop: Header=BB288_3 Depth=1
	flat_load_dwordx4 v[0:3], v[14:15]
	s_waitcnt vmcnt(0) lgkmcnt(0)
	ds_write2_b64 v34, v[0:1], v[2:3] offset1:1
.LBB288_7:                              ;   in Loop: Header=BB288_3 Depth=1
	s_or_b64 exec, exec, s[30:31]
	v_lshl_add_u64 v[0:1], v[10:11], 0, s[10:11]
	v_cmp_gt_i64_e32 vcc, s[40:41], v[0:1]
	s_and_b64 s[34:35], vcc, s[0:1]
	v_mov_b64_e32 v[0:1], 0
	v_mov_b64_e32 v[2:3], 0
	s_and_saveexec_b64 s[30:31], s[34:35]
	s_cbranch_execz .LBB288_2
; %bb.8:                                ;   in Loop: Header=BB288_3 Depth=1
	flat_load_dwordx4 v[0:3], v[12:13]
	s_waitcnt vmcnt(0) lgkmcnt(0)
	v_xor_b32_e32 v3, 0x80000000, v3
	s_branch .LBB288_2
.LBB288_9:
	v_mov_b64_e32 v[30:31], 0
	v_mov_b64_e32 v[32:33], 0
	;; [unrolled: 1-line block ×8, first 2 shown]
.LBB288_10:
	s_lshl_b64 s[0:1], s[28:29], 4
	s_waitcnt lgkmcnt(0)
	s_add_u32 s8, s4, s0
	s_addc_u32 s9, s5, s1
	v_cmp_neq_f64_e64 s[0:1], s[14:15], 0
	v_cmp_neq_f64_e64 s[2:3], s[16:17], 0
	v_lshl_add_u64 v[0:1], s[24:25], 0, v[6:7]
	s_or_b64 s[4:5], s[0:1], s[2:3]
	v_cmp_gt_i64_e64 s[0:1], s[38:39], v[0:1]
	s_mov_b64 s[2:3], -1
	s_and_b64 vcc, exec, s[4:5]
	s_cbranch_vccnz .LBB288_22
; %bb.11:
	s_and_saveexec_b64 s[10:11], s[0:1]
	s_cbranch_execz .LBB288_21
; %bb.12:
	v_mul_lo_u32 v8, v1, s26
	v_mul_lo_u32 v9, v0, s27
	v_mad_u64_u32 v[6:7], s[2:3], v0, s26, 0
	v_add3_u32 v7, v7, v9, v8
	v_lshl_add_u64 v[2:3], s[18:19], 0, v[4:5]
	v_lshl_add_u64 v[6:7], v[6:7], 4, s[8:9]
	v_cmp_gt_i64_e32 vcc, s[36:37], v[2:3]
	v_lshl_add_u64 v[8:9], v[2:3], 4, v[6:7]
	s_and_saveexec_b64 s[2:3], vcc
	s_cbranch_execz .LBB288_14
; %bb.13:
	v_mul_f64 v[10:11], s[44:45], v[32:33]
	v_mul_f64 v[12:13], s[42:43], v[32:33]
	v_fma_f64 v[10:11], s[42:43], v[30:31], -v[10:11]
	v_fmac_f64_e32 v[12:13], s[44:45], v[30:31]
	flat_store_dwordx4 v[8:9], v[10:13]
.LBB288_14:
	s_or_b64 exec, exec, s[2:3]
	s_nop 0
	v_lshl_add_u64 v[10:11], v[2:3], 0, 16
	v_cmp_gt_i64_e64 s[2:3], s[36:37], v[10:11]
	s_and_saveexec_b64 s[4:5], s[2:3]
	s_cbranch_execz .LBB288_16
; %bb.15:
	v_mul_f64 v[10:11], s[44:45], v[28:29]
	v_mul_f64 v[12:13], s[42:43], v[28:29]
	v_fma_f64 v[10:11], s[42:43], v[26:27], -v[10:11]
	v_fmac_f64_e32 v[12:13], s[44:45], v[26:27]
	flat_store_dwordx4 v[8:9], v[10:13] offset:256
.LBB288_16:
	s_or_b64 exec, exec, s[4:5]
	v_lshl_add_u64 v[8:9], v[0:1], 0, 16
	v_cmp_gt_i64_e64 s[4:5], s[38:39], v[8:9]
	s_and_b64 exec, exec, s[4:5]
	s_cbranch_execz .LBB288_21
; %bb.17:
	s_lshl_b64 s[4:5], s[26:27], 8
	v_lshl_add_u64 v[6:7], v[6:7], 0, s[4:5]
	v_lshl_add_u64 v[2:3], v[2:3], 4, v[6:7]
	s_and_saveexec_b64 s[4:5], vcc
	s_cbranch_execz .LBB288_19
; %bb.18:
	v_mul_f64 v[6:7], s[44:45], v[24:25]
	v_mul_f64 v[8:9], s[42:43], v[24:25]
	v_fma_f64 v[6:7], s[42:43], v[22:23], -v[6:7]
	v_fmac_f64_e32 v[8:9], s[44:45], v[22:23]
	flat_store_dwordx4 v[2:3], v[6:9]
.LBB288_19:
	s_or_b64 exec, exec, s[4:5]
	s_and_b64 exec, exec, s[2:3]
	s_cbranch_execz .LBB288_21
; %bb.20:
	v_mul_f64 v[6:7], s[44:45], v[18:19]
	v_mul_f64 v[8:9], s[42:43], v[18:19]
	v_fma_f64 v[6:7], s[42:43], v[20:21], -v[6:7]
	v_fmac_f64_e32 v[8:9], s[44:45], v[20:21]
	flat_store_dwordx4 v[2:3], v[6:9] offset:256
.LBB288_21:
	s_or_b64 exec, exec, s[10:11]
	s_mov_b64 s[2:3], 0
.LBB288_22:
	s_andn2_b64 vcc, exec, s[2:3]
	s_cbranch_vccnz .LBB288_33
; %bb.23:
	s_and_saveexec_b64 s[2:3], s[0:1]
	s_cbranch_execz .LBB288_33
; %bb.24:
	s_lshl_b64 s[0:1], s[22:23], 4
	v_lshl_add_u64 v[8:9], s[18:19], 0, v[4:5]
	v_mul_lo_u32 v4, v1, s20
	v_mul_lo_u32 v5, v0, s21
	v_mad_u64_u32 v[2:3], s[2:3], v0, s20, 0
	s_add_u32 s0, s6, s0
	v_add3_u32 v3, v3, v5, v4
	v_mul_lo_u32 v6, v1, s26
	v_mul_lo_u32 v7, v0, s27
	v_mad_u64_u32 v[4:5], s[2:3], v0, s26, 0
	s_addc_u32 s1, s7, s1
	v_add3_u32 v5, v5, v7, v6
	v_cmp_gt_i64_e32 vcc, s[36:37], v[8:9]
	v_lshl_add_u64 v[6:7], v[2:3], 4, s[0:1]
	v_lshl_add_u64 v[4:5], v[4:5], 4, s[8:9]
	v_lshlrev_b64 v[2:3], 4, v[8:9]
	s_and_saveexec_b64 s[0:1], vcc
	s_cbranch_execz .LBB288_26
; %bb.25:
	v_lshl_add_u64 v[10:11], v[6:7], 0, v[2:3]
	flat_load_dwordx4 v[10:13], v[10:11]
	v_mul_f64 v[14:15], s[44:45], v[32:33]
	v_mul_f64 v[16:17], s[42:43], v[32:33]
	v_fma_f64 v[14:15], s[42:43], v[30:31], -v[14:15]
	v_fmac_f64_e32 v[16:17], s[44:45], v[30:31]
	s_waitcnt vmcnt(0) lgkmcnt(0)
	v_mul_f64 v[30:31], s[16:17], v[12:13]
	v_mul_f64 v[12:13], s[14:15], v[12:13]
	v_fma_f64 v[30:31], s[14:15], v[10:11], -v[30:31]
	v_fmac_f64_e32 v[12:13], s[16:17], v[10:11]
	v_add_f64 v[10:11], v[14:15], v[30:31]
	v_add_f64 v[12:13], v[16:17], v[12:13]
	v_lshl_add_u64 v[14:15], v[4:5], 0, v[2:3]
	flat_store_dwordx4 v[14:15], v[10:13]
.LBB288_26:
	s_or_b64 exec, exec, s[0:1]
	v_lshl_add_u64 v[8:9], v[8:9], 0, 16
	v_cmp_gt_i64_e64 s[0:1], s[36:37], v[8:9]
	s_and_saveexec_b64 s[2:3], s[0:1]
	s_cbranch_execz .LBB288_28
; %bb.27:
	v_lshl_add_u64 v[8:9], v[6:7], 0, v[2:3]
	flat_load_dwordx4 v[8:11], v[8:9] offset:256
	v_mul_f64 v[12:13], s[44:45], v[28:29]
	v_mul_f64 v[14:15], s[42:43], v[28:29]
	v_fma_f64 v[12:13], s[42:43], v[26:27], -v[12:13]
	v_fmac_f64_e32 v[14:15], s[44:45], v[26:27]
	s_waitcnt vmcnt(0) lgkmcnt(0)
	v_mul_f64 v[16:17], s[16:17], v[10:11]
	v_mul_f64 v[10:11], s[14:15], v[10:11]
	v_fma_f64 v[16:17], s[14:15], v[8:9], -v[16:17]
	v_fmac_f64_e32 v[10:11], s[16:17], v[8:9]
	v_add_f64 v[8:9], v[12:13], v[16:17]
	v_add_f64 v[10:11], v[14:15], v[10:11]
	v_lshl_add_u64 v[12:13], v[4:5], 0, v[2:3]
	flat_store_dwordx4 v[12:13], v[8:11] offset:256
.LBB288_28:
	s_or_b64 exec, exec, s[2:3]
	v_lshl_add_u64 v[0:1], v[0:1], 0, 16
	v_cmp_gt_i64_e64 s[2:3], s[38:39], v[0:1]
	s_and_b64 exec, exec, s[2:3]
	s_cbranch_execz .LBB288_33
; %bb.29:
	s_lshl_b64 s[2:3], s[20:21], 8
	v_lshl_add_u64 v[0:1], v[6:7], 0, s[2:3]
	s_lshl_b64 s[2:3], s[26:27], 8
	v_lshl_add_u64 v[6:7], v[4:5], 0, s[2:3]
	v_lshl_add_u64 v[4:5], v[0:1], 0, v[2:3]
	v_lshl_add_u64 v[0:1], v[6:7], 0, v[2:3]
	s_and_saveexec_b64 s[2:3], vcc
	s_cbranch_execz .LBB288_31
; %bb.30:
	flat_load_dwordx4 v[6:9], v[4:5]
	v_mul_f64 v[2:3], s[44:45], v[24:25]
	v_mul_f64 v[10:11], s[42:43], v[24:25]
	v_fma_f64 v[2:3], s[42:43], v[22:23], -v[2:3]
	v_fmac_f64_e32 v[10:11], s[44:45], v[22:23]
	s_waitcnt vmcnt(0) lgkmcnt(0)
	v_mul_f64 v[12:13], s[16:17], v[8:9]
	v_mul_f64 v[8:9], s[14:15], v[8:9]
	v_fma_f64 v[12:13], s[14:15], v[6:7], -v[12:13]
	v_fmac_f64_e32 v[8:9], s[16:17], v[6:7]
	v_add_f64 v[6:7], v[2:3], v[12:13]
	v_add_f64 v[8:9], v[10:11], v[8:9]
	flat_store_dwordx4 v[0:1], v[6:9]
.LBB288_31:
	s_or_b64 exec, exec, s[2:3]
	s_and_b64 exec, exec, s[0:1]
	s_cbranch_execz .LBB288_33
; %bb.32:
	flat_load_dwordx4 v[2:5], v[4:5] offset:256
	v_mul_f64 v[6:7], s[44:45], v[18:19]
	v_mul_f64 v[8:9], s[42:43], v[18:19]
	v_fma_f64 v[6:7], s[42:43], v[20:21], -v[6:7]
	v_fmac_f64_e32 v[8:9], s[44:45], v[20:21]
	s_waitcnt vmcnt(0) lgkmcnt(0)
	v_mul_f64 v[10:11], s[16:17], v[4:5]
	v_mul_f64 v[4:5], s[14:15], v[4:5]
	v_fma_f64 v[10:11], s[14:15], v[2:3], -v[10:11]
	v_fmac_f64_e32 v[4:5], s[16:17], v[2:3]
	v_add_f64 v[2:3], v[6:7], v[10:11]
	v_add_f64 v[4:5], v[8:9], v[4:5]
	flat_store_dwordx4 v[0:1], v[2:5] offset:256
.LBB288_33:
	s_endpgm
	.section	.rodata,"a",@progbits
	.p2align	6, 0x0
	.amdhsa_kernel _ZN12_GLOBAL__N_135rocblas_gemm_batched_general_kernelI19rocblas_complex_numIdELi16ELi16ELi32ELi32ELi8ELi32ELi8ELi8ELi32ELc78ELc67EKPKS2_S5_KPS2_EEvlllT_PT11_llSA_llS8_PT12_llPT13_lli
		.amdhsa_group_segment_fixed_size 8192
		.amdhsa_private_segment_fixed_size 0
		.amdhsa_kernarg_size 156
		.amdhsa_user_sgpr_count 2
		.amdhsa_user_sgpr_dispatch_ptr 0
		.amdhsa_user_sgpr_queue_ptr 0
		.amdhsa_user_sgpr_kernarg_segment_ptr 1
		.amdhsa_user_sgpr_dispatch_id 0
		.amdhsa_user_sgpr_kernarg_preload_length 0
		.amdhsa_user_sgpr_kernarg_preload_offset 0
		.amdhsa_user_sgpr_private_segment_size 0
		.amdhsa_uses_dynamic_stack 0
		.amdhsa_enable_private_segment 0
		.amdhsa_system_sgpr_workgroup_id_x 1
		.amdhsa_system_sgpr_workgroup_id_y 1
		.amdhsa_system_sgpr_workgroup_id_z 1
		.amdhsa_system_sgpr_workgroup_info 0
		.amdhsa_system_vgpr_workitem_id 1
		.amdhsa_next_free_vgpr 68
		.amdhsa_next_free_sgpr 52
		.amdhsa_accum_offset 68
		.amdhsa_reserve_vcc 1
		.amdhsa_float_round_mode_32 0
		.amdhsa_float_round_mode_16_64 0
		.amdhsa_float_denorm_mode_32 3
		.amdhsa_float_denorm_mode_16_64 3
		.amdhsa_dx10_clamp 1
		.amdhsa_ieee_mode 1
		.amdhsa_fp16_overflow 0
		.amdhsa_tg_split 0
		.amdhsa_exception_fp_ieee_invalid_op 0
		.amdhsa_exception_fp_denorm_src 0
		.amdhsa_exception_fp_ieee_div_zero 0
		.amdhsa_exception_fp_ieee_overflow 0
		.amdhsa_exception_fp_ieee_underflow 0
		.amdhsa_exception_fp_ieee_inexact 0
		.amdhsa_exception_int_div_zero 0
	.end_amdhsa_kernel
	.section	.text._ZN12_GLOBAL__N_135rocblas_gemm_batched_general_kernelI19rocblas_complex_numIdELi16ELi16ELi32ELi32ELi8ELi32ELi8ELi8ELi32ELc78ELc67EKPKS2_S5_KPS2_EEvlllT_PT11_llSA_llS8_PT12_llPT13_lli,"axG",@progbits,_ZN12_GLOBAL__N_135rocblas_gemm_batched_general_kernelI19rocblas_complex_numIdELi16ELi16ELi32ELi32ELi8ELi32ELi8ELi8ELi32ELc78ELc67EKPKS2_S5_KPS2_EEvlllT_PT11_llSA_llS8_PT12_llPT13_lli,comdat
.Lfunc_end288:
	.size	_ZN12_GLOBAL__N_135rocblas_gemm_batched_general_kernelI19rocblas_complex_numIdELi16ELi16ELi32ELi32ELi8ELi32ELi8ELi8ELi32ELc78ELc67EKPKS2_S5_KPS2_EEvlllT_PT11_llSA_llS8_PT12_llPT13_lli, .Lfunc_end288-_ZN12_GLOBAL__N_135rocblas_gemm_batched_general_kernelI19rocblas_complex_numIdELi16ELi16ELi32ELi32ELi8ELi32ELi8ELi8ELi32ELc78ELc67EKPKS2_S5_KPS2_EEvlllT_PT11_llSA_llS8_PT12_llPT13_lli
                                        ; -- End function
	.set _ZN12_GLOBAL__N_135rocblas_gemm_batched_general_kernelI19rocblas_complex_numIdELi16ELi16ELi32ELi32ELi8ELi32ELi8ELi8ELi32ELc78ELc67EKPKS2_S5_KPS2_EEvlllT_PT11_llSA_llS8_PT12_llPT13_lli.num_vgpr, 68
	.set _ZN12_GLOBAL__N_135rocblas_gemm_batched_general_kernelI19rocblas_complex_numIdELi16ELi16ELi32ELi32ELi8ELi32ELi8ELi8ELi32ELc78ELc67EKPKS2_S5_KPS2_EEvlllT_PT11_llSA_llS8_PT12_llPT13_lli.num_agpr, 0
	.set _ZN12_GLOBAL__N_135rocblas_gemm_batched_general_kernelI19rocblas_complex_numIdELi16ELi16ELi32ELi32ELi8ELi32ELi8ELi8ELi32ELc78ELc67EKPKS2_S5_KPS2_EEvlllT_PT11_llSA_llS8_PT12_llPT13_lli.numbered_sgpr, 52
	.set _ZN12_GLOBAL__N_135rocblas_gemm_batched_general_kernelI19rocblas_complex_numIdELi16ELi16ELi32ELi32ELi8ELi32ELi8ELi8ELi32ELc78ELc67EKPKS2_S5_KPS2_EEvlllT_PT11_llSA_llS8_PT12_llPT13_lli.num_named_barrier, 0
	.set _ZN12_GLOBAL__N_135rocblas_gemm_batched_general_kernelI19rocblas_complex_numIdELi16ELi16ELi32ELi32ELi8ELi32ELi8ELi8ELi32ELc78ELc67EKPKS2_S5_KPS2_EEvlllT_PT11_llSA_llS8_PT12_llPT13_lli.private_seg_size, 0
	.set _ZN12_GLOBAL__N_135rocblas_gemm_batched_general_kernelI19rocblas_complex_numIdELi16ELi16ELi32ELi32ELi8ELi32ELi8ELi8ELi32ELc78ELc67EKPKS2_S5_KPS2_EEvlllT_PT11_llSA_llS8_PT12_llPT13_lli.uses_vcc, 1
	.set _ZN12_GLOBAL__N_135rocblas_gemm_batched_general_kernelI19rocblas_complex_numIdELi16ELi16ELi32ELi32ELi8ELi32ELi8ELi8ELi32ELc78ELc67EKPKS2_S5_KPS2_EEvlllT_PT11_llSA_llS8_PT12_llPT13_lli.uses_flat_scratch, 0
	.set _ZN12_GLOBAL__N_135rocblas_gemm_batched_general_kernelI19rocblas_complex_numIdELi16ELi16ELi32ELi32ELi8ELi32ELi8ELi8ELi32ELc78ELc67EKPKS2_S5_KPS2_EEvlllT_PT11_llSA_llS8_PT12_llPT13_lli.has_dyn_sized_stack, 0
	.set _ZN12_GLOBAL__N_135rocblas_gemm_batched_general_kernelI19rocblas_complex_numIdELi16ELi16ELi32ELi32ELi8ELi32ELi8ELi8ELi32ELc78ELc67EKPKS2_S5_KPS2_EEvlllT_PT11_llSA_llS8_PT12_llPT13_lli.has_recursion, 0
	.set _ZN12_GLOBAL__N_135rocblas_gemm_batched_general_kernelI19rocblas_complex_numIdELi16ELi16ELi32ELi32ELi8ELi32ELi8ELi8ELi32ELc78ELc67EKPKS2_S5_KPS2_EEvlllT_PT11_llSA_llS8_PT12_llPT13_lli.has_indirect_call, 0
	.section	.AMDGPU.csdata,"",@progbits
; Kernel info:
; codeLenInByte = 3500
; TotalNumSgprs: 58
; NumVgprs: 68
; NumAgprs: 0
; TotalNumVgprs: 68
; ScratchSize: 0
; MemoryBound: 1
; FloatMode: 240
; IeeeMode: 1
; LDSByteSize: 8192 bytes/workgroup (compile time only)
; SGPRBlocks: 7
; VGPRBlocks: 8
; NumSGPRsForWavesPerEU: 58
; NumVGPRsForWavesPerEU: 68
; AccumOffset: 68
; Occupancy: 7
; WaveLimiterHint : 1
; COMPUTE_PGM_RSRC2:SCRATCH_EN: 0
; COMPUTE_PGM_RSRC2:USER_SGPR: 2
; COMPUTE_PGM_RSRC2:TRAP_HANDLER: 0
; COMPUTE_PGM_RSRC2:TGID_X_EN: 1
; COMPUTE_PGM_RSRC2:TGID_Y_EN: 1
; COMPUTE_PGM_RSRC2:TGID_Z_EN: 1
; COMPUTE_PGM_RSRC2:TIDIG_COMP_CNT: 1
; COMPUTE_PGM_RSRC3_GFX90A:ACCUM_OFFSET: 16
; COMPUTE_PGM_RSRC3_GFX90A:TG_SPLIT: 0
	.section	.text._ZN12_GLOBAL__N_135rocblas_gemm_batched_general_kernelI19rocblas_complex_numIdELi16ELi16ELi32ELi32ELi8ELi32ELi8ELi8ELi32ELc84ELc67EKPKS2_S5_KPS2_EEvlllT_PT11_llSA_llS8_PT12_llPT13_lli,"axG",@progbits,_ZN12_GLOBAL__N_135rocblas_gemm_batched_general_kernelI19rocblas_complex_numIdELi16ELi16ELi32ELi32ELi8ELi32ELi8ELi8ELi32ELc84ELc67EKPKS2_S5_KPS2_EEvlllT_PT11_llSA_llS8_PT12_llPT13_lli,comdat
	.globl	_ZN12_GLOBAL__N_135rocblas_gemm_batched_general_kernelI19rocblas_complex_numIdELi16ELi16ELi32ELi32ELi8ELi32ELi8ELi8ELi32ELc84ELc67EKPKS2_S5_KPS2_EEvlllT_PT11_llSA_llS8_PT12_llPT13_lli ; -- Begin function _ZN12_GLOBAL__N_135rocblas_gemm_batched_general_kernelI19rocblas_complex_numIdELi16ELi16ELi32ELi32ELi8ELi32ELi8ELi8ELi32ELc84ELc67EKPKS2_S5_KPS2_EEvlllT_PT11_llSA_llS8_PT12_llPT13_lli
	.p2align	8
	.type	_ZN12_GLOBAL__N_135rocblas_gemm_batched_general_kernelI19rocblas_complex_numIdELi16ELi16ELi32ELi32ELi8ELi32ELi8ELi8ELi32ELc84ELc67EKPKS2_S5_KPS2_EEvlllT_PT11_llSA_llS8_PT12_llPT13_lli,@function
_ZN12_GLOBAL__N_135rocblas_gemm_batched_general_kernelI19rocblas_complex_numIdELi16ELi16ELi32ELi32ELi8ELi32ELi8ELi8ELi32ELc84ELc67EKPKS2_S5_KPS2_EEvlllT_PT11_llSA_llS8_PT12_llPT13_lli: ; @_ZN12_GLOBAL__N_135rocblas_gemm_batched_general_kernelI19rocblas_complex_numIdELi16ELi16ELi32ELi32ELi8ELi32ELi8ELi8ELi32ELc84ELc67EKPKS2_S5_KPS2_EEvlllT_PT11_llSA_llS8_PT12_llPT13_lli
; %bb.0:
	s_load_dwordx16 s[36:51], s[0:1], 0x0
	s_load_dwordx16 s[8:23], s[0:1], 0x40
	s_load_dwordx2 s[28:29], s[0:1], 0x90
	s_load_dwordx4 s[24:27], s[0:1], 0x80
	s_mov_b32 s5, 0
	s_lshl_b64 s[0:1], s[4:5], 3
	s_waitcnt lgkmcnt(0)
	s_add_u32 s4, s18, s0
	s_addc_u32 s5, s19, s1
	s_load_dwordx2 s[6:7], s[4:5], 0x0
	s_add_u32 s4, s24, s0
	s_addc_u32 s5, s25, s1
	s_load_dwordx2 s[4:5], s[4:5], 0x0
	s_mov_b32 s30, s3
	v_mov_b32_e32 v7, 0
	s_ashr_i32 s3, s2, 31
	s_ashr_i32 s31, s30, 31
	v_cmp_lt_i64_e64 s[24:25], s[40:41], 1
	v_and_b32_e32 v4, 0x3ff, v0
	v_bfe_u32 v6, v0, 10, 10
	v_mov_b32_e32 v5, v7
	s_lshl_b64 s[18:19], s[2:3], 5
	s_lshl_b64 s[2:3], s[30:31], 5
	s_and_b64 vcc, exec, s[24:25]
	s_cbranch_vccnz .LBB289_9
; %bb.1:
	s_add_u32 s8, s8, s0
	v_lshl_add_u32 v12, v6, 4, v4
	s_addc_u32 s9, s9, s1
	s_add_u32 s0, s46, s0
	v_lshrrev_b32_e32 v0, 3, v12
	v_mov_b32_e32 v1, v7
	v_and_b32_e32 v10, 7, v4
	s_addc_u32 s1, s47, s1
	v_lshl_add_u64 v[2:3], v[0:1], 0, s[2:3]
	v_and_b32_e32 v14, 31, v12
	v_lshrrev_b32_e32 v8, 5, v12
	s_load_dwordx2 s[24:25], s[0:1], 0x0
	v_or_b32_e32 v12, s18, v14
	v_mov_b32_e32 v13, s19
	v_lshlrev_b32_e32 v1, 4, v14
	v_cmp_gt_i64_e64 s[0:1], s[38:39], v[2:3]
	v_mad_u64_u32 v[2:3], s[34:35], s10, v10, 0
	s_load_dwordx2 s[8:9], s[8:9], 0x0
	v_cmp_gt_i64_e32 vcc, s[36:37], v[12:13]
	v_lshl_or_b32 v34, v8, 9, v1
	v_lshlrev_b32_e32 v1, 4, v10
	v_mov_b32_e32 v12, v3
	s_lshl_b64 s[30:31], s[30:31], 9
	s_lshl_b64 s[12:13], s[12:13], 4
	v_lshl_or_b32 v1, v0, 7, v1
	v_mad_u64_u32 v[12:13], s[34:35], s11, v10, v[12:13]
	s_add_u32 s12, s12, s30
	v_add_u32_e32 v35, 0x1000, v1
	v_mov_b32_e32 v1, 0x1000
	v_mov_b32_e32 v3, v12
	s_addc_u32 s13, s13, s31
	v_lshl_add_u32 v37, v6, 7, v1
	v_lshl_add_u64 v[2:3], v[2:3], 4, s[12:13]
	v_lshlrev_b32_e32 v0, 4, v0
	v_mov_b32_e32 v1, v7
	v_mov_b32_e32 v15, v7
	v_lshl_add_u64 v[0:1], v[2:3], 0, v[0:1]
	s_waitcnt lgkmcnt(0)
	v_lshl_add_u64 v[12:13], s[8:9], 0, v[0:1]
	v_lshl_add_u64 v[0:1], s[18:19], 0, v[14:15]
	s_lshl_b64 s[8:9], s[10:11], 7
	v_mul_lo_u32 v2, s49, v0
	v_mul_lo_u32 v3, s48, v1
	v_mad_u64_u32 v[0:1], s[10:11], s48, v0, 0
	v_add3_u32 v1, v1, v3, v2
	s_lshl_b64 s[10:11], s[50:51], 4
	v_lshl_add_u64 v[0:1], v[0:1], 4, s[10:11]
	v_lshlrev_b32_e32 v2, 4, v8
	v_mov_b32_e32 v3, v7
	v_lshl_add_u64 v[0:1], v[0:1], 0, v[2:3]
	v_mov_b32_e32 v9, v7
	v_mov_b32_e32 v11, v7
	v_lshlrev_b32_e32 v36, 4, v4
	v_lshl_add_u64 v[14:15], s[24:25], 0, v[0:1]
	s_mov_b64 s[10:11], 0
	v_mov_b64_e32 v[18:19], 0
	s_xor_b64 s[12:13], vcc, -1
	s_mov_b64 s[24:25], 0x80
	v_mov_b64_e32 v[16:17], s[40:41]
	v_mov_b32_e32 v38, v7
	v_mov_b32_e32 v39, v7
	;; [unrolled: 1-line block ×4, first 2 shown]
	v_mov_b64_e32 v[20:21], 0
	v_mov_b64_e32 v[24:25], 0
	;; [unrolled: 1-line block ×7, first 2 shown]
	s_branch .LBB289_3
.LBB289_2:                              ;   in Loop: Header=BB289_3 Depth=1
	s_or_b64 exec, exec, s[30:31]
	ds_write_b128 v35, v[0:3]
	s_waitcnt lgkmcnt(0)
	s_barrier
	ds_read_b128 v[0:3], v36
	ds_read_b128 v[42:45], v37
	ds_read_b128 v[46:49], v37 offset:16
	ds_read_b128 v[50:53], v37 offset:32
	;; [unrolled: 1-line block ×4, first 2 shown]
	s_waitcnt lgkmcnt(4)
	v_mul_f64 v[62:63], v[44:45], v[2:3]
	v_fma_f64 v[62:63], v[42:43], v[0:1], -v[62:63]
	v_mul_f64 v[64:65], v[42:43], v[2:3]
	v_fmac_f64_e32 v[64:65], v[44:45], v[0:1]
	v_add_f64 v[62:63], v[30:31], v[62:63]
	s_waitcnt lgkmcnt(0)
	v_mul_f64 v[30:31], v[44:45], v[60:61]
	v_add_f64 v[64:65], v[64:65], v[32:33]
	v_fma_f64 v[66:67], v[42:43], v[58:59], -v[30:31]
	ds_read_b128 v[30:33], v37 offset:2048
	v_mul_f64 v[42:43], v[42:43], v[60:61]
	v_fmac_f64_e32 v[42:43], v[44:45], v[58:59]
	v_add_f64 v[44:45], v[26:27], v[66:67]
	v_add_f64 v[42:43], v[42:43], v[28:29]
	ds_read_b128 v[26:29], v37 offset:2064
	s_waitcnt lgkmcnt(1)
	v_mul_f64 v[66:67], v[32:33], v[2:3]
	v_mul_f64 v[2:3], v[30:31], v[2:3]
	v_fma_f64 v[66:67], v[30:31], v[0:1], -v[66:67]
	v_fmac_f64_e32 v[2:3], v[32:33], v[0:1]
	v_mul_f64 v[0:1], v[32:33], v[60:61]
	v_add_f64 v[22:23], v[22:23], v[66:67]
	v_add_f64 v[24:25], v[2:3], v[24:25]
	v_fma_f64 v[66:67], v[30:31], v[58:59], -v[0:1]
	v_mul_f64 v[30:31], v[30:31], v[60:61]
	ds_read_b128 v[0:3], v36 offset:512
	v_fmac_f64_e32 v[30:31], v[32:33], v[58:59]
	v_add_f64 v[32:33], v[20:21], v[66:67]
	v_add_f64 v[30:31], v[30:31], v[18:19]
	ds_read_b128 v[18:21], v36 offset:768
	s_waitcnt lgkmcnt(1)
	v_mul_f64 v[58:59], v[48:49], v[2:3]
	v_fma_f64 v[58:59], v[46:47], v[0:1], -v[58:59]
	v_add_f64 v[58:59], v[62:63], v[58:59]
	v_mul_f64 v[60:61], v[46:47], v[2:3]
	s_waitcnt lgkmcnt(0)
	v_mul_f64 v[62:63], v[48:49], v[20:21]
	v_fma_f64 v[62:63], v[46:47], v[18:19], -v[62:63]
	v_mul_f64 v[46:47], v[46:47], v[20:21]
	v_fmac_f64_e32 v[46:47], v[48:49], v[18:19]
	v_add_f64 v[42:43], v[46:47], v[42:43]
	v_mul_f64 v[46:47], v[28:29], v[2:3]
	v_mul_f64 v[2:3], v[26:27], v[2:3]
	v_fmac_f64_e32 v[60:61], v[48:49], v[0:1]
	v_fma_f64 v[46:47], v[26:27], v[0:1], -v[46:47]
	v_fmac_f64_e32 v[2:3], v[28:29], v[0:1]
	v_mul_f64 v[0:1], v[28:29], v[20:21]
	v_add_f64 v[46:47], v[22:23], v[46:47]
	v_add_f64 v[48:49], v[2:3], v[24:25]
	v_fma_f64 v[22:23], v[26:27], v[18:19], -v[0:1]
	v_mul_f64 v[20:21], v[26:27], v[20:21]
	ds_read_b128 v[0:3], v36 offset:1024
	v_fmac_f64_e32 v[20:21], v[28:29], v[18:19]
	v_add_f64 v[30:31], v[20:21], v[30:31]
	ds_read_b128 v[18:21], v36 offset:1280
	v_add_f64 v[32:33], v[32:33], v[22:23]
	s_waitcnt lgkmcnt(1)
	v_mul_f64 v[22:23], v[52:53], v[2:3]
	v_fma_f64 v[22:23], v[50:51], v[0:1], -v[22:23]
	v_mul_f64 v[24:25], v[50:51], v[2:3]
	v_add_f64 v[60:61], v[60:61], v[64:65]
	v_fmac_f64_e32 v[24:25], v[52:53], v[0:1]
	v_add_f64 v[58:59], v[58:59], v[22:23]
	s_waitcnt lgkmcnt(0)
	v_mul_f64 v[22:23], v[52:53], v[20:21]
	v_add_f64 v[60:61], v[24:25], v[60:61]
	v_fma_f64 v[26:27], v[50:51], v[18:19], -v[22:23]
	ds_read_b128 v[22:25], v37 offset:2080
	v_mul_f64 v[28:29], v[50:51], v[20:21]
	v_add_f64 v[44:45], v[44:45], v[62:63]
	v_fmac_f64_e32 v[28:29], v[52:53], v[18:19]
	v_add_f64 v[44:45], v[44:45], v[26:27]
	v_add_f64 v[42:43], v[28:29], v[42:43]
	ds_read_b128 v[26:29], v37 offset:2096
	s_waitcnt lgkmcnt(1)
	v_mul_f64 v[50:51], v[24:25], v[2:3]
	v_mul_f64 v[2:3], v[22:23], v[2:3]
	v_fma_f64 v[50:51], v[22:23], v[0:1], -v[50:51]
	v_fmac_f64_e32 v[2:3], v[24:25], v[0:1]
	v_mul_f64 v[0:1], v[24:25], v[20:21]
	v_mul_f64 v[20:21], v[22:23], v[20:21]
	v_fmac_f64_e32 v[20:21], v[24:25], v[18:19]
	v_add_f64 v[46:47], v[46:47], v[50:51]
	v_add_f64 v[48:49], v[2:3], v[48:49]
	v_fma_f64 v[50:51], v[22:23], v[18:19], -v[0:1]
	ds_read_b128 v[0:3], v36 offset:1536
	v_add_f64 v[24:25], v[20:21], v[30:31]
	ds_read_b128 v[18:21], v36 offset:1792
	v_add_f64 v[22:23], v[32:33], v[50:51]
	s_add_u32 s10, s10, 8
	s_waitcnt lgkmcnt(1)
	v_mul_f64 v[30:31], v[56:57], v[2:3]
	v_mul_f64 v[32:33], v[54:55], v[2:3]
	s_waitcnt lgkmcnt(0)
	v_mul_f64 v[50:51], v[56:57], v[20:21]
	v_fma_f64 v[50:51], v[54:55], v[18:19], -v[50:51]
	v_add_f64 v[44:45], v[44:45], v[50:51]
	v_mul_f64 v[50:51], v[28:29], v[2:3]
	v_mul_f64 v[2:3], v[26:27], v[2:3]
	v_fma_f64 v[30:31], v[54:55], v[0:1], -v[30:31]
	v_fmac_f64_e32 v[32:33], v[56:57], v[0:1]
	v_fma_f64 v[50:51], v[26:27], v[0:1], -v[50:51]
	v_fmac_f64_e32 v[2:3], v[28:29], v[0:1]
	v_mul_f64 v[0:1], v[28:29], v[20:21]
	v_mul_f64 v[52:53], v[54:55], v[20:21]
	v_add_f64 v[46:47], v[46:47], v[50:51]
	v_fma_f64 v[50:51], v[26:27], v[18:19], -v[0:1]
	v_mul_f64 v[26:27], v[26:27], v[20:21]
	v_fmac_f64_e32 v[52:53], v[56:57], v[18:19]
	v_add_f64 v[48:49], v[2:3], v[48:49]
	v_fmac_f64_e32 v[26:27], v[28:29], v[18:19]
	ds_read_b128 v[0:3], v37 offset:64
	ds_read_b128 v[18:21], v36 offset:2048
	v_add_f64 v[42:43], v[52:53], v[42:43]
	v_add_f64 v[50:51], v[22:23], v[50:51]
	v_add_f64 v[52:53], v[26:27], v[24:25]
	ds_read_b128 v[22:25], v36 offset:2304
	ds_read_b128 v[26:29], v37 offset:80
	s_waitcnt lgkmcnt(2)
	v_mul_f64 v[54:55], v[2:3], v[20:21]
	v_add_f64 v[30:31], v[58:59], v[30:31]
	v_fma_f64 v[54:55], v[0:1], v[18:19], -v[54:55]
	v_mul_f64 v[56:57], v[0:1], v[20:21]
	v_add_f64 v[32:33], v[32:33], v[60:61]
	v_fmac_f64_e32 v[56:57], v[2:3], v[18:19]
	v_add_f64 v[54:55], v[30:31], v[54:55]
	s_waitcnt lgkmcnt(1)
	v_mul_f64 v[30:31], v[2:3], v[24:25]
	v_add_f64 v[56:57], v[56:57], v[32:33]
	v_fma_f64 v[58:59], v[0:1], v[22:23], -v[30:31]
	ds_read_b128 v[30:33], v37 offset:2112
	v_mul_f64 v[0:1], v[0:1], v[24:25]
	v_fmac_f64_e32 v[0:1], v[2:3], v[22:23]
	v_add_f64 v[44:45], v[44:45], v[58:59]
	v_add_f64 v[42:43], v[0:1], v[42:43]
	ds_read_b128 v[0:3], v37 offset:2128
	s_waitcnt lgkmcnt(1)
	v_mul_f64 v[58:59], v[32:33], v[20:21]
	v_mul_f64 v[20:21], v[30:31], v[20:21]
	v_fma_f64 v[58:59], v[30:31], v[18:19], -v[58:59]
	v_fmac_f64_e32 v[20:21], v[32:33], v[18:19]
	v_mul_f64 v[18:19], v[32:33], v[24:25]
	v_add_f64 v[46:47], v[46:47], v[58:59]
	v_add_f64 v[48:49], v[20:21], v[48:49]
	v_fma_f64 v[58:59], v[30:31], v[22:23], -v[18:19]
	v_mul_f64 v[24:25], v[30:31], v[24:25]
	ds_read_b128 v[18:21], v36 offset:2560
	v_fmac_f64_e32 v[24:25], v[32:33], v[22:23]
	v_add_f64 v[32:33], v[24:25], v[52:53]
	ds_read_b128 v[22:25], v36 offset:2816
	v_add_f64 v[30:31], v[50:51], v[58:59]
	s_waitcnt lgkmcnt(1)
	v_mul_f64 v[50:51], v[28:29], v[20:21]
	v_fma_f64 v[50:51], v[26:27], v[18:19], -v[50:51]
	v_add_f64 v[50:51], v[54:55], v[50:51]
	s_waitcnt lgkmcnt(0)
	v_mul_f64 v[54:55], v[28:29], v[24:25]
	v_mul_f64 v[52:53], v[26:27], v[20:21]
	v_fma_f64 v[54:55], v[26:27], v[22:23], -v[54:55]
	v_mul_f64 v[26:27], v[26:27], v[24:25]
	v_fmac_f64_e32 v[26:27], v[28:29], v[22:23]
	v_add_f64 v[42:43], v[26:27], v[42:43]
	v_mul_f64 v[26:27], v[2:3], v[20:21]
	v_mul_f64 v[20:21], v[0:1], v[20:21]
	v_fmac_f64_e32 v[52:53], v[28:29], v[18:19]
	v_fma_f64 v[26:27], v[0:1], v[18:19], -v[26:27]
	v_fmac_f64_e32 v[20:21], v[2:3], v[18:19]
	v_mul_f64 v[18:19], v[2:3], v[24:25]
	v_mul_f64 v[24:25], v[0:1], v[24:25]
	v_add_f64 v[46:47], v[46:47], v[26:27]
	v_add_f64 v[48:49], v[20:21], v[48:49]
	v_fma_f64 v[26:27], v[0:1], v[22:23], -v[18:19]
	v_fmac_f64_e32 v[24:25], v[2:3], v[22:23]
	ds_read_b128 v[0:3], v37 offset:96
	ds_read_b128 v[18:21], v36 offset:3072
	v_add_f64 v[52:53], v[52:53], v[56:57]
	v_add_f64 v[44:45], v[44:45], v[54:55]
	;; [unrolled: 1-line block ×4, first 2 shown]
	ds_read_b128 v[22:25], v36 offset:3328
	ds_read_b128 v[26:29], v37 offset:112
	s_waitcnt lgkmcnt(2)
	v_mul_f64 v[30:31], v[2:3], v[20:21]
	v_fma_f64 v[30:31], v[0:1], v[18:19], -v[30:31]
	v_mul_f64 v[32:33], v[0:1], v[20:21]
	v_fmac_f64_e32 v[32:33], v[2:3], v[18:19]
	v_add_f64 v[50:51], v[50:51], v[30:31]
	s_waitcnt lgkmcnt(1)
	v_mul_f64 v[30:31], v[2:3], v[24:25]
	v_add_f64 v[52:53], v[32:33], v[52:53]
	v_fma_f64 v[58:59], v[0:1], v[22:23], -v[30:31]
	ds_read_b128 v[30:33], v37 offset:2144
	v_mul_f64 v[0:1], v[0:1], v[24:25]
	v_fmac_f64_e32 v[0:1], v[2:3], v[22:23]
	v_add_f64 v[60:61], v[0:1], v[42:43]
	ds_read_b128 v[0:3], v37 offset:2160
	s_waitcnt lgkmcnt(1)
	v_mul_f64 v[42:43], v[32:33], v[20:21]
	v_mul_f64 v[20:21], v[30:31], v[20:21]
	v_fma_f64 v[42:43], v[30:31], v[18:19], -v[42:43]
	v_fmac_f64_e32 v[20:21], v[32:33], v[18:19]
	v_mul_f64 v[18:19], v[32:33], v[24:25]
	v_add_f64 v[46:47], v[46:47], v[42:43]
	v_add_f64 v[48:49], v[20:21], v[48:49]
	v_fma_f64 v[42:43], v[30:31], v[22:23], -v[18:19]
	ds_read_b128 v[18:21], v36 offset:3584
	v_add_f64 v[58:59], v[44:45], v[58:59]
	v_add_f64 v[54:55], v[54:55], v[42:43]
	ds_read_b128 v[42:45], v36 offset:3840
	v_mul_f64 v[24:25], v[30:31], v[24:25]
	v_fmac_f64_e32 v[24:25], v[32:33], v[22:23]
	s_waitcnt lgkmcnt(1)
	v_mul_f64 v[22:23], v[28:29], v[20:21]
	v_fma_f64 v[22:23], v[26:27], v[18:19], -v[22:23]
	v_add_f64 v[56:57], v[24:25], v[56:57]
	v_mul_f64 v[24:25], v[26:27], v[20:21]
	v_add_f64 v[30:31], v[50:51], v[22:23]
	s_waitcnt lgkmcnt(0)
	v_mul_f64 v[22:23], v[28:29], v[44:45]
	v_fmac_f64_e32 v[24:25], v[28:29], v[18:19]
	v_fma_f64 v[22:23], v[26:27], v[42:43], -v[22:23]
	v_add_f64 v[32:33], v[24:25], v[52:53]
	v_mul_f64 v[24:25], v[26:27], v[44:45]
	v_add_f64 v[26:27], v[58:59], v[22:23]
	v_mul_f64 v[22:23], v[2:3], v[20:21]
	v_mul_f64 v[20:21], v[0:1], v[20:21]
	v_fma_f64 v[22:23], v[0:1], v[18:19], -v[22:23]
	v_fmac_f64_e32 v[20:21], v[2:3], v[18:19]
	v_mul_f64 v[18:19], v[2:3], v[44:45]
	v_fma_f64 v[18:19], v[0:1], v[42:43], -v[18:19]
	v_mul_f64 v[0:1], v[0:1], v[44:45]
	s_addc_u32 s11, s11, 0
	v_fmac_f64_e32 v[24:25], v[28:29], v[42:43]
	v_fmac_f64_e32 v[0:1], v[2:3], v[42:43]
	v_cmp_lt_i64_e32 vcc, s[10:11], v[16:17]
	v_add_f64 v[28:29], v[24:25], v[60:61]
	v_add_f64 v[22:23], v[46:47], v[22:23]
	;; [unrolled: 1-line block ×5, first 2 shown]
	v_lshl_add_u64 v[12:13], v[12:13], 0, s[8:9]
	v_lshl_add_u64 v[14:15], v[14:15], 0, s[24:25]
	s_barrier
	s_cbranch_vccz .LBB289_10
.LBB289_3:                              ; =>This Inner Loop Header: Depth=1
	v_lshl_add_u64 v[0:1], v[8:9], 0, s[10:11]
	v_cmp_le_i64_e32 vcc, s[40:41], v[0:1]
	s_or_b64 s[30:31], s[12:13], vcc
	s_and_saveexec_b64 s[34:35], s[30:31]
	s_xor_b64 s[30:31], exec, s[34:35]
; %bb.4:                                ;   in Loop: Header=BB289_3 Depth=1
	ds_write_b128 v34, v[38:41]
; %bb.5:                                ;   in Loop: Header=BB289_3 Depth=1
	s_andn2_saveexec_b64 s[30:31], s[30:31]
	s_cbranch_execz .LBB289_7
; %bb.6:                                ;   in Loop: Header=BB289_3 Depth=1
	flat_load_dwordx4 v[0:3], v[14:15]
	s_waitcnt vmcnt(0) lgkmcnt(0)
	ds_write2_b64 v34, v[0:1], v[2:3] offset1:1
.LBB289_7:                              ;   in Loop: Header=BB289_3 Depth=1
	s_or_b64 exec, exec, s[30:31]
	v_lshl_add_u64 v[0:1], v[10:11], 0, s[10:11]
	v_cmp_gt_i64_e32 vcc, s[40:41], v[0:1]
	s_and_b64 s[34:35], vcc, s[0:1]
	v_mov_b64_e32 v[0:1], 0
	v_mov_b64_e32 v[2:3], 0
	s_and_saveexec_b64 s[30:31], s[34:35]
	s_cbranch_execz .LBB289_2
; %bb.8:                                ;   in Loop: Header=BB289_3 Depth=1
	flat_load_dwordx4 v[0:3], v[12:13]
	s_waitcnt vmcnt(0) lgkmcnt(0)
	v_xor_b32_e32 v3, 0x80000000, v3
	s_branch .LBB289_2
.LBB289_9:
	v_mov_b64_e32 v[30:31], 0
	v_mov_b64_e32 v[32:33], 0
	;; [unrolled: 1-line block ×8, first 2 shown]
.LBB289_10:
	s_lshl_b64 s[0:1], s[28:29], 4
	s_waitcnt lgkmcnt(0)
	s_add_u32 s8, s4, s0
	s_addc_u32 s9, s5, s1
	v_lshl_add_u64 v[0:1], s[2:3], 0, v[6:7]
	v_cmp_neq_f64_e64 s[0:1], s[14:15], 0
	v_cmp_neq_f64_e64 s[2:3], s[16:17], 0
	s_or_b64 s[4:5], s[0:1], s[2:3]
	v_cmp_gt_i64_e64 s[0:1], s[38:39], v[0:1]
	s_mov_b64 s[2:3], -1
	s_and_b64 vcc, exec, s[4:5]
	s_cbranch_vccnz .LBB289_22
; %bb.11:
	s_and_saveexec_b64 s[10:11], s[0:1]
	s_cbranch_execz .LBB289_21
; %bb.12:
	v_mul_lo_u32 v8, v1, s26
	v_mul_lo_u32 v9, v0, s27
	v_mad_u64_u32 v[6:7], s[2:3], v0, s26, 0
	v_add3_u32 v7, v7, v9, v8
	v_lshl_add_u64 v[2:3], s[18:19], 0, v[4:5]
	v_lshl_add_u64 v[6:7], v[6:7], 4, s[8:9]
	v_cmp_gt_i64_e32 vcc, s[36:37], v[2:3]
	v_lshl_add_u64 v[8:9], v[2:3], 4, v[6:7]
	s_and_saveexec_b64 s[2:3], vcc
	s_cbranch_execz .LBB289_14
; %bb.13:
	v_mul_f64 v[10:11], s[44:45], v[32:33]
	v_mul_f64 v[12:13], s[42:43], v[32:33]
	v_fma_f64 v[10:11], s[42:43], v[30:31], -v[10:11]
	v_fmac_f64_e32 v[12:13], s[44:45], v[30:31]
	flat_store_dwordx4 v[8:9], v[10:13]
.LBB289_14:
	s_or_b64 exec, exec, s[2:3]
	s_nop 0
	v_lshl_add_u64 v[10:11], v[2:3], 0, 16
	v_cmp_gt_i64_e64 s[2:3], s[36:37], v[10:11]
	s_and_saveexec_b64 s[4:5], s[2:3]
	s_cbranch_execz .LBB289_16
; %bb.15:
	v_mul_f64 v[10:11], s[44:45], v[28:29]
	v_mul_f64 v[12:13], s[42:43], v[28:29]
	v_fma_f64 v[10:11], s[42:43], v[26:27], -v[10:11]
	v_fmac_f64_e32 v[12:13], s[44:45], v[26:27]
	flat_store_dwordx4 v[8:9], v[10:13] offset:256
.LBB289_16:
	s_or_b64 exec, exec, s[4:5]
	v_lshl_add_u64 v[8:9], v[0:1], 0, 16
	v_cmp_gt_i64_e64 s[4:5], s[38:39], v[8:9]
	s_and_b64 exec, exec, s[4:5]
	s_cbranch_execz .LBB289_21
; %bb.17:
	s_lshl_b64 s[4:5], s[26:27], 8
	v_lshl_add_u64 v[6:7], v[6:7], 0, s[4:5]
	v_lshl_add_u64 v[2:3], v[2:3], 4, v[6:7]
	s_and_saveexec_b64 s[4:5], vcc
	s_cbranch_execz .LBB289_19
; %bb.18:
	v_mul_f64 v[6:7], s[44:45], v[24:25]
	v_mul_f64 v[8:9], s[42:43], v[24:25]
	v_fma_f64 v[6:7], s[42:43], v[22:23], -v[6:7]
	v_fmac_f64_e32 v[8:9], s[44:45], v[22:23]
	flat_store_dwordx4 v[2:3], v[6:9]
.LBB289_19:
	s_or_b64 exec, exec, s[4:5]
	s_and_b64 exec, exec, s[2:3]
	s_cbranch_execz .LBB289_21
; %bb.20:
	v_mul_f64 v[6:7], s[44:45], v[18:19]
	v_mul_f64 v[8:9], s[42:43], v[18:19]
	v_fma_f64 v[6:7], s[42:43], v[20:21], -v[6:7]
	v_fmac_f64_e32 v[8:9], s[44:45], v[20:21]
	flat_store_dwordx4 v[2:3], v[6:9] offset:256
.LBB289_21:
	s_or_b64 exec, exec, s[10:11]
	s_mov_b64 s[2:3], 0
.LBB289_22:
	s_andn2_b64 vcc, exec, s[2:3]
	s_cbranch_vccnz .LBB289_33
; %bb.23:
	s_and_saveexec_b64 s[2:3], s[0:1]
	s_cbranch_execz .LBB289_33
; %bb.24:
	s_lshl_b64 s[0:1], s[22:23], 4
	v_lshl_add_u64 v[8:9], s[18:19], 0, v[4:5]
	v_mul_lo_u32 v4, v1, s20
	v_mul_lo_u32 v5, v0, s21
	v_mad_u64_u32 v[2:3], s[2:3], v0, s20, 0
	s_add_u32 s0, s6, s0
	v_add3_u32 v3, v3, v5, v4
	v_mul_lo_u32 v6, v1, s26
	v_mul_lo_u32 v7, v0, s27
	v_mad_u64_u32 v[4:5], s[2:3], v0, s26, 0
	s_addc_u32 s1, s7, s1
	v_add3_u32 v5, v5, v7, v6
	v_cmp_gt_i64_e32 vcc, s[36:37], v[8:9]
	v_lshl_add_u64 v[6:7], v[2:3], 4, s[0:1]
	v_lshl_add_u64 v[4:5], v[4:5], 4, s[8:9]
	v_lshlrev_b64 v[2:3], 4, v[8:9]
	s_and_saveexec_b64 s[0:1], vcc
	s_cbranch_execz .LBB289_26
; %bb.25:
	v_lshl_add_u64 v[10:11], v[6:7], 0, v[2:3]
	flat_load_dwordx4 v[10:13], v[10:11]
	v_mul_f64 v[14:15], s[44:45], v[32:33]
	v_mul_f64 v[16:17], s[42:43], v[32:33]
	v_fma_f64 v[14:15], s[42:43], v[30:31], -v[14:15]
	v_fmac_f64_e32 v[16:17], s[44:45], v[30:31]
	s_waitcnt vmcnt(0) lgkmcnt(0)
	v_mul_f64 v[30:31], s[16:17], v[12:13]
	v_mul_f64 v[12:13], s[14:15], v[12:13]
	v_fma_f64 v[30:31], s[14:15], v[10:11], -v[30:31]
	v_fmac_f64_e32 v[12:13], s[16:17], v[10:11]
	v_add_f64 v[10:11], v[14:15], v[30:31]
	v_add_f64 v[12:13], v[16:17], v[12:13]
	v_lshl_add_u64 v[14:15], v[4:5], 0, v[2:3]
	flat_store_dwordx4 v[14:15], v[10:13]
.LBB289_26:
	s_or_b64 exec, exec, s[0:1]
	v_lshl_add_u64 v[8:9], v[8:9], 0, 16
	v_cmp_gt_i64_e64 s[0:1], s[36:37], v[8:9]
	s_and_saveexec_b64 s[2:3], s[0:1]
	s_cbranch_execz .LBB289_28
; %bb.27:
	v_lshl_add_u64 v[8:9], v[6:7], 0, v[2:3]
	flat_load_dwordx4 v[8:11], v[8:9] offset:256
	v_mul_f64 v[12:13], s[44:45], v[28:29]
	v_mul_f64 v[14:15], s[42:43], v[28:29]
	v_fma_f64 v[12:13], s[42:43], v[26:27], -v[12:13]
	v_fmac_f64_e32 v[14:15], s[44:45], v[26:27]
	s_waitcnt vmcnt(0) lgkmcnt(0)
	v_mul_f64 v[16:17], s[16:17], v[10:11]
	v_mul_f64 v[10:11], s[14:15], v[10:11]
	v_fma_f64 v[16:17], s[14:15], v[8:9], -v[16:17]
	v_fmac_f64_e32 v[10:11], s[16:17], v[8:9]
	v_add_f64 v[8:9], v[12:13], v[16:17]
	v_add_f64 v[10:11], v[14:15], v[10:11]
	v_lshl_add_u64 v[12:13], v[4:5], 0, v[2:3]
	flat_store_dwordx4 v[12:13], v[8:11] offset:256
.LBB289_28:
	s_or_b64 exec, exec, s[2:3]
	v_lshl_add_u64 v[0:1], v[0:1], 0, 16
	v_cmp_gt_i64_e64 s[2:3], s[38:39], v[0:1]
	s_and_b64 exec, exec, s[2:3]
	s_cbranch_execz .LBB289_33
; %bb.29:
	s_lshl_b64 s[2:3], s[20:21], 8
	v_lshl_add_u64 v[0:1], v[6:7], 0, s[2:3]
	s_lshl_b64 s[2:3], s[26:27], 8
	v_lshl_add_u64 v[6:7], v[4:5], 0, s[2:3]
	v_lshl_add_u64 v[4:5], v[0:1], 0, v[2:3]
	;; [unrolled: 1-line block ×3, first 2 shown]
	s_and_saveexec_b64 s[2:3], vcc
	s_cbranch_execz .LBB289_31
; %bb.30:
	flat_load_dwordx4 v[6:9], v[4:5]
	v_mul_f64 v[2:3], s[44:45], v[24:25]
	v_mul_f64 v[10:11], s[42:43], v[24:25]
	v_fma_f64 v[2:3], s[42:43], v[22:23], -v[2:3]
	v_fmac_f64_e32 v[10:11], s[44:45], v[22:23]
	s_waitcnt vmcnt(0) lgkmcnt(0)
	v_mul_f64 v[12:13], s[16:17], v[8:9]
	v_mul_f64 v[8:9], s[14:15], v[8:9]
	v_fma_f64 v[12:13], s[14:15], v[6:7], -v[12:13]
	v_fmac_f64_e32 v[8:9], s[16:17], v[6:7]
	v_add_f64 v[6:7], v[2:3], v[12:13]
	v_add_f64 v[8:9], v[10:11], v[8:9]
	flat_store_dwordx4 v[0:1], v[6:9]
.LBB289_31:
	s_or_b64 exec, exec, s[2:3]
	s_and_b64 exec, exec, s[0:1]
	s_cbranch_execz .LBB289_33
; %bb.32:
	flat_load_dwordx4 v[2:5], v[4:5] offset:256
	v_mul_f64 v[6:7], s[44:45], v[18:19]
	v_mul_f64 v[8:9], s[42:43], v[18:19]
	v_fma_f64 v[6:7], s[42:43], v[20:21], -v[6:7]
	v_fmac_f64_e32 v[8:9], s[44:45], v[20:21]
	s_waitcnt vmcnt(0) lgkmcnt(0)
	v_mul_f64 v[10:11], s[16:17], v[4:5]
	v_mul_f64 v[4:5], s[14:15], v[4:5]
	v_fma_f64 v[10:11], s[14:15], v[2:3], -v[10:11]
	v_fmac_f64_e32 v[4:5], s[16:17], v[2:3]
	v_add_f64 v[2:3], v[6:7], v[10:11]
	v_add_f64 v[4:5], v[8:9], v[4:5]
	flat_store_dwordx4 v[0:1], v[2:5] offset:256
.LBB289_33:
	s_endpgm
	.section	.rodata,"a",@progbits
	.p2align	6, 0x0
	.amdhsa_kernel _ZN12_GLOBAL__N_135rocblas_gemm_batched_general_kernelI19rocblas_complex_numIdELi16ELi16ELi32ELi32ELi8ELi32ELi8ELi8ELi32ELc84ELc67EKPKS2_S5_KPS2_EEvlllT_PT11_llSA_llS8_PT12_llPT13_lli
		.amdhsa_group_segment_fixed_size 8192
		.amdhsa_private_segment_fixed_size 0
		.amdhsa_kernarg_size 156
		.amdhsa_user_sgpr_count 2
		.amdhsa_user_sgpr_dispatch_ptr 0
		.amdhsa_user_sgpr_queue_ptr 0
		.amdhsa_user_sgpr_kernarg_segment_ptr 1
		.amdhsa_user_sgpr_dispatch_id 0
		.amdhsa_user_sgpr_kernarg_preload_length 0
		.amdhsa_user_sgpr_kernarg_preload_offset 0
		.amdhsa_user_sgpr_private_segment_size 0
		.amdhsa_uses_dynamic_stack 0
		.amdhsa_enable_private_segment 0
		.amdhsa_system_sgpr_workgroup_id_x 1
		.amdhsa_system_sgpr_workgroup_id_y 1
		.amdhsa_system_sgpr_workgroup_id_z 1
		.amdhsa_system_sgpr_workgroup_info 0
		.amdhsa_system_vgpr_workitem_id 1
		.amdhsa_next_free_vgpr 68
		.amdhsa_next_free_sgpr 52
		.amdhsa_accum_offset 68
		.amdhsa_reserve_vcc 1
		.amdhsa_float_round_mode_32 0
		.amdhsa_float_round_mode_16_64 0
		.amdhsa_float_denorm_mode_32 3
		.amdhsa_float_denorm_mode_16_64 3
		.amdhsa_dx10_clamp 1
		.amdhsa_ieee_mode 1
		.amdhsa_fp16_overflow 0
		.amdhsa_tg_split 0
		.amdhsa_exception_fp_ieee_invalid_op 0
		.amdhsa_exception_fp_denorm_src 0
		.amdhsa_exception_fp_ieee_div_zero 0
		.amdhsa_exception_fp_ieee_overflow 0
		.amdhsa_exception_fp_ieee_underflow 0
		.amdhsa_exception_fp_ieee_inexact 0
		.amdhsa_exception_int_div_zero 0
	.end_amdhsa_kernel
	.section	.text._ZN12_GLOBAL__N_135rocblas_gemm_batched_general_kernelI19rocblas_complex_numIdELi16ELi16ELi32ELi32ELi8ELi32ELi8ELi8ELi32ELc84ELc67EKPKS2_S5_KPS2_EEvlllT_PT11_llSA_llS8_PT12_llPT13_lli,"axG",@progbits,_ZN12_GLOBAL__N_135rocblas_gemm_batched_general_kernelI19rocblas_complex_numIdELi16ELi16ELi32ELi32ELi8ELi32ELi8ELi8ELi32ELc84ELc67EKPKS2_S5_KPS2_EEvlllT_PT11_llSA_llS8_PT12_llPT13_lli,comdat
.Lfunc_end289:
	.size	_ZN12_GLOBAL__N_135rocblas_gemm_batched_general_kernelI19rocblas_complex_numIdELi16ELi16ELi32ELi32ELi8ELi32ELi8ELi8ELi32ELc84ELc67EKPKS2_S5_KPS2_EEvlllT_PT11_llSA_llS8_PT12_llPT13_lli, .Lfunc_end289-_ZN12_GLOBAL__N_135rocblas_gemm_batched_general_kernelI19rocblas_complex_numIdELi16ELi16ELi32ELi32ELi8ELi32ELi8ELi8ELi32ELc84ELc67EKPKS2_S5_KPS2_EEvlllT_PT11_llSA_llS8_PT12_llPT13_lli
                                        ; -- End function
	.set _ZN12_GLOBAL__N_135rocblas_gemm_batched_general_kernelI19rocblas_complex_numIdELi16ELi16ELi32ELi32ELi8ELi32ELi8ELi8ELi32ELc84ELc67EKPKS2_S5_KPS2_EEvlllT_PT11_llSA_llS8_PT12_llPT13_lli.num_vgpr, 68
	.set _ZN12_GLOBAL__N_135rocblas_gemm_batched_general_kernelI19rocblas_complex_numIdELi16ELi16ELi32ELi32ELi8ELi32ELi8ELi8ELi32ELc84ELc67EKPKS2_S5_KPS2_EEvlllT_PT11_llSA_llS8_PT12_llPT13_lli.num_agpr, 0
	.set _ZN12_GLOBAL__N_135rocblas_gemm_batched_general_kernelI19rocblas_complex_numIdELi16ELi16ELi32ELi32ELi8ELi32ELi8ELi8ELi32ELc84ELc67EKPKS2_S5_KPS2_EEvlllT_PT11_llSA_llS8_PT12_llPT13_lli.numbered_sgpr, 52
	.set _ZN12_GLOBAL__N_135rocblas_gemm_batched_general_kernelI19rocblas_complex_numIdELi16ELi16ELi32ELi32ELi8ELi32ELi8ELi8ELi32ELc84ELc67EKPKS2_S5_KPS2_EEvlllT_PT11_llSA_llS8_PT12_llPT13_lli.num_named_barrier, 0
	.set _ZN12_GLOBAL__N_135rocblas_gemm_batched_general_kernelI19rocblas_complex_numIdELi16ELi16ELi32ELi32ELi8ELi32ELi8ELi8ELi32ELc84ELc67EKPKS2_S5_KPS2_EEvlllT_PT11_llSA_llS8_PT12_llPT13_lli.private_seg_size, 0
	.set _ZN12_GLOBAL__N_135rocblas_gemm_batched_general_kernelI19rocblas_complex_numIdELi16ELi16ELi32ELi32ELi8ELi32ELi8ELi8ELi32ELc84ELc67EKPKS2_S5_KPS2_EEvlllT_PT11_llSA_llS8_PT12_llPT13_lli.uses_vcc, 1
	.set _ZN12_GLOBAL__N_135rocblas_gemm_batched_general_kernelI19rocblas_complex_numIdELi16ELi16ELi32ELi32ELi8ELi32ELi8ELi8ELi32ELc84ELc67EKPKS2_S5_KPS2_EEvlllT_PT11_llSA_llS8_PT12_llPT13_lli.uses_flat_scratch, 0
	.set _ZN12_GLOBAL__N_135rocblas_gemm_batched_general_kernelI19rocblas_complex_numIdELi16ELi16ELi32ELi32ELi8ELi32ELi8ELi8ELi32ELc84ELc67EKPKS2_S5_KPS2_EEvlllT_PT11_llSA_llS8_PT12_llPT13_lli.has_dyn_sized_stack, 0
	.set _ZN12_GLOBAL__N_135rocblas_gemm_batched_general_kernelI19rocblas_complex_numIdELi16ELi16ELi32ELi32ELi8ELi32ELi8ELi8ELi32ELc84ELc67EKPKS2_S5_KPS2_EEvlllT_PT11_llSA_llS8_PT12_llPT13_lli.has_recursion, 0
	.set _ZN12_GLOBAL__N_135rocblas_gemm_batched_general_kernelI19rocblas_complex_numIdELi16ELi16ELi32ELi32ELi8ELi32ELi8ELi8ELi32ELc84ELc67EKPKS2_S5_KPS2_EEvlllT_PT11_llSA_llS8_PT12_llPT13_lli.has_indirect_call, 0
	.section	.AMDGPU.csdata,"",@progbits
; Kernel info:
; codeLenInByte = 3516
; TotalNumSgprs: 58
; NumVgprs: 68
; NumAgprs: 0
; TotalNumVgprs: 68
; ScratchSize: 0
; MemoryBound: 1
; FloatMode: 240
; IeeeMode: 1
; LDSByteSize: 8192 bytes/workgroup (compile time only)
; SGPRBlocks: 7
; VGPRBlocks: 8
; NumSGPRsForWavesPerEU: 58
; NumVGPRsForWavesPerEU: 68
; AccumOffset: 68
; Occupancy: 7
; WaveLimiterHint : 1
; COMPUTE_PGM_RSRC2:SCRATCH_EN: 0
; COMPUTE_PGM_RSRC2:USER_SGPR: 2
; COMPUTE_PGM_RSRC2:TRAP_HANDLER: 0
; COMPUTE_PGM_RSRC2:TGID_X_EN: 1
; COMPUTE_PGM_RSRC2:TGID_Y_EN: 1
; COMPUTE_PGM_RSRC2:TGID_Z_EN: 1
; COMPUTE_PGM_RSRC2:TIDIG_COMP_CNT: 1
; COMPUTE_PGM_RSRC3_GFX90A:ACCUM_OFFSET: 16
; COMPUTE_PGM_RSRC3_GFX90A:TG_SPLIT: 0
	.section	.AMDGPU.gpr_maximums,"",@progbits
	.set amdgpu.max_num_vgpr, 0
	.set amdgpu.max_num_agpr, 0
	.set amdgpu.max_num_sgpr, 0
	.section	.AMDGPU.csdata,"",@progbits
	.type	__hip_cuid_968b60b1ed02cf67,@object ; @__hip_cuid_968b60b1ed02cf67
	.section	.bss,"aw",@nobits
	.globl	__hip_cuid_968b60b1ed02cf67
__hip_cuid_968b60b1ed02cf67:
	.byte	0                               ; 0x0
	.size	__hip_cuid_968b60b1ed02cf67, 1

	.ident	"AMD clang version 22.0.0git (https://github.com/RadeonOpenCompute/llvm-project roc-7.2.4 26084 f58b06dce1f9c15707c5f808fd002e18c2accf7e)"
	.section	".note.GNU-stack","",@progbits
	.addrsig
	.addrsig_sym __hip_cuid_968b60b1ed02cf67
	.amdgpu_metadata
---
amdhsa.kernels:
  - .agpr_count:     0
    .args:
      - .offset:         0
        .size:           4
        .value_kind:     by_value
      - .offset:         4
        .size:           4
        .value_kind:     by_value
      - .offset:         8
        .size:           2
        .value_kind:     by_value
      - .address_space:  global
        .offset:         16
        .size:           8
        .value_kind:     global_buffer
      - .offset:         24
        .size:           8
        .value_kind:     by_value
      - .offset:         32
        .size:           8
        .value_kind:     by_value
      - .offset:         40
        .size:           8
        .value_kind:     by_value
      - .offset:         48
        .size:           4
        .value_kind:     by_value
    .group_segment_fixed_size: 0
    .kernarg_segment_align: 8
    .kernarg_segment_size: 52
    .language:       OpenCL C
    .language_version:
      - 2
      - 0
    .max_flat_workgroup_size: 1024
    .name:           _ZN12_GLOBAL__N_125rocblas_gemm_scale_kernelILi32ELi32EDF16_PDF16_EEviiT1_T2_llli
    .private_segment_fixed_size: 0
    .sgpr_count:     26
    .sgpr_spill_count: 0
    .symbol:         _ZN12_GLOBAL__N_125rocblas_gemm_scale_kernelILi32ELi32EDF16_PDF16_EEviiT1_T2_llli.kd
    .uniform_work_group_size: 1
    .uses_dynamic_stack: false
    .vgpr_count:     8
    .vgpr_spill_count: 0
    .wavefront_size: 64
  - .agpr_count:     0
    .args:
      - .offset:         0
        .size:           4
        .value_kind:     by_value
      - .offset:         4
        .size:           4
        .value_kind:     by_value
      - .offset:         8
        .size:           2
        .value_kind:     by_value
      - .address_space:  global
        .offset:         16
        .size:           8
        .value_kind:     global_buffer
      - .offset:         24
        .size:           8
        .value_kind:     by_value
      - .offset:         32
        .size:           8
        .value_kind:     by_value
      - .offset:         40
        .size:           8
        .value_kind:     by_value
      - .address_space:  global
        .offset:         48
        .size:           8
        .value_kind:     global_buffer
      - .offset:         56
        .size:           8
        .value_kind:     by_value
      - .offset:         64
        .size:           8
        .value_kind:     by_value
      - .offset:         72
        .size:           8
        .value_kind:     by_value
      - .offset:         80
        .size:           4
        .value_kind:     by_value
    .group_segment_fixed_size: 0
    .kernarg_segment_align: 8
    .kernarg_segment_size: 84
    .language:       OpenCL C
    .language_version:
      - 2
      - 0
    .max_flat_workgroup_size: 1024
    .name:           _ZN12_GLOBAL__N_120gemm_ex_scale_kernelILi32ELi32EDF16_PKDF16_PDF16_EEviiT1_T2_lllT3_llli
    .private_segment_fixed_size: 0
    .sgpr_count:     34
    .sgpr_spill_count: 0
    .symbol:         _ZN12_GLOBAL__N_120gemm_ex_scale_kernelILi32ELi32EDF16_PKDF16_PDF16_EEviiT1_T2_lllT3_llli.kd
    .uniform_work_group_size: 1
    .uses_dynamic_stack: false
    .vgpr_count:     10
    .vgpr_spill_count: 0
    .wavefront_size: 64
  - .agpr_count:     0
    .args:
      - .offset:         0
        .size:           8
        .value_kind:     by_value
      - .offset:         8
        .size:           8
        .value_kind:     by_value
      - .offset:         16
        .size:           8
        .value_kind:     by_value
      - .offset:         24
        .size:           2
        .value_kind:     by_value
      - .address_space:  global
        .offset:         32
        .size:           8
        .value_kind:     global_buffer
      - .offset:         40
        .size:           8
        .value_kind:     by_value
      - .offset:         48
        .size:           8
        .value_kind:     by_value
      - .address_space:  global
        .offset:         56
        .size:           8
        .value_kind:     global_buffer
      - .offset:         64
        .size:           8
        .value_kind:     by_value
      - .offset:         72
        .size:           8
        .value_kind:     by_value
      - .offset:         80
        .size:           2
        .value_kind:     by_value
      - .address_space:  global
        .offset:         88
        .size:           8
        .value_kind:     global_buffer
      - .offset:         96
        .size:           8
        .value_kind:     by_value
      - .offset:         104
        .size:           8
        .value_kind:     by_value
      - .address_space:  global
        .offset:         112
        .size:           8
        .value_kind:     global_buffer
      - .offset:         120
        .size:           8
        .value_kind:     by_value
      - .offset:         128
        .size:           8
        .value_kind:     by_value
      - .offset:         136
        .size:           4
        .value_kind:     by_value
    .group_segment_fixed_size: 1024
    .kernarg_segment_align: 8
    .kernarg_segment_size: 140
    .language:       OpenCL C
    .language_version:
      - 2
      - 0
    .max_flat_workgroup_size: 256
    .name:           _ZN12_GLOBAL__N_127rocblas_gemm_batched_kernelIDF16_Li16ELi16ELi64ELi64ELi4ELi64ELi4ELi4ELi64ELc78ELc78EKDF16_S1_DF16_EEvlllT_PT11_llS4_llS2_PT12_llPT13_lli
    .private_segment_fixed_size: 0
    .sgpr_count:     30
    .sgpr_spill_count: 0
    .symbol:         _ZN12_GLOBAL__N_127rocblas_gemm_batched_kernelIDF16_Li16ELi16ELi64ELi64ELi4ELi64ELi4ELi4ELi64ELc78ELc78EKDF16_S1_DF16_EEvlllT_PT11_llS4_llS2_PT12_llPT13_lli.kd
    .uniform_work_group_size: 1
    .uses_dynamic_stack: false
    .vgpr_count:     46
    .vgpr_spill_count: 0
    .wavefront_size: 64
  - .agpr_count:     0
    .args:
      - .offset:         0
        .size:           8
        .value_kind:     by_value
      - .offset:         8
        .size:           8
        .value_kind:     by_value
      - .offset:         16
        .size:           8
        .value_kind:     by_value
      - .offset:         24
        .size:           2
        .value_kind:     by_value
      - .address_space:  global
        .offset:         32
        .size:           8
        .value_kind:     global_buffer
      - .offset:         40
        .size:           8
        .value_kind:     by_value
      - .offset:         48
        .size:           8
        .value_kind:     by_value
      - .address_space:  global
        .offset:         56
        .size:           8
        .value_kind:     global_buffer
      - .offset:         64
        .size:           8
        .value_kind:     by_value
      - .offset:         72
        .size:           8
        .value_kind:     by_value
      - .offset:         80
        .size:           2
        .value_kind:     by_value
      - .address_space:  global
        .offset:         88
        .size:           8
        .value_kind:     global_buffer
      - .offset:         96
        .size:           8
        .value_kind:     by_value
      - .offset:         104
        .size:           8
        .value_kind:     by_value
      - .address_space:  global
        .offset:         112
        .size:           8
        .value_kind:     global_buffer
      - .offset:         120
        .size:           8
        .value_kind:     by_value
      - .offset:         128
        .size:           8
        .value_kind:     by_value
      - .offset:         136
        .size:           4
        .value_kind:     by_value
    .group_segment_fixed_size: 1024
    .kernarg_segment_align: 8
    .kernarg_segment_size: 140
    .language:       OpenCL C
    .language_version:
      - 2
      - 0
    .max_flat_workgroup_size: 256
    .name:           _ZN12_GLOBAL__N_127rocblas_gemm_batched_kernelIDF16_Li16ELi16ELi64ELi64ELi4ELi64ELi4ELi4ELi64ELc84ELc78EKDF16_S1_DF16_EEvlllT_PT11_llS4_llS2_PT12_llPT13_lli
    .private_segment_fixed_size: 0
    .sgpr_count:     30
    .sgpr_spill_count: 0
    .symbol:         _ZN12_GLOBAL__N_127rocblas_gemm_batched_kernelIDF16_Li16ELi16ELi64ELi64ELi4ELi64ELi4ELi4ELi64ELc84ELc78EKDF16_S1_DF16_EEvlllT_PT11_llS4_llS2_PT12_llPT13_lli.kd
    .uniform_work_group_size: 1
    .uses_dynamic_stack: false
    .vgpr_count:     46
    .vgpr_spill_count: 0
    .wavefront_size: 64
  - .agpr_count:     0
    .args:
      - .offset:         0
        .size:           8
        .value_kind:     by_value
      - .offset:         8
        .size:           8
        .value_kind:     by_value
      - .offset:         16
        .size:           8
        .value_kind:     by_value
      - .offset:         24
        .size:           2
        .value_kind:     by_value
      - .address_space:  global
        .offset:         32
        .size:           8
        .value_kind:     global_buffer
      - .offset:         40
        .size:           8
        .value_kind:     by_value
      - .offset:         48
        .size:           8
        .value_kind:     by_value
      - .address_space:  global
        .offset:         56
        .size:           8
        .value_kind:     global_buffer
      - .offset:         64
        .size:           8
        .value_kind:     by_value
      - .offset:         72
        .size:           8
        .value_kind:     by_value
      - .offset:         80
        .size:           2
        .value_kind:     by_value
      - .address_space:  global
        .offset:         88
        .size:           8
        .value_kind:     global_buffer
      - .offset:         96
        .size:           8
        .value_kind:     by_value
      - .offset:         104
        .size:           8
        .value_kind:     by_value
      - .address_space:  global
        .offset:         112
        .size:           8
        .value_kind:     global_buffer
      - .offset:         120
        .size:           8
        .value_kind:     by_value
      - .offset:         128
        .size:           8
        .value_kind:     by_value
      - .offset:         136
        .size:           4
        .value_kind:     by_value
    .group_segment_fixed_size: 1024
    .kernarg_segment_align: 8
    .kernarg_segment_size: 140
    .language:       OpenCL C
    .language_version:
      - 2
      - 0
    .max_flat_workgroup_size: 256
    .name:           _ZN12_GLOBAL__N_127rocblas_gemm_batched_kernelIDF16_Li16ELi16ELi64ELi64ELi4ELi64ELi4ELi4ELi64ELc78ELc84EKDF16_S1_DF16_EEvlllT_PT11_llS4_llS2_PT12_llPT13_lli
    .private_segment_fixed_size: 0
    .sgpr_count:     30
    .sgpr_spill_count: 0
    .symbol:         _ZN12_GLOBAL__N_127rocblas_gemm_batched_kernelIDF16_Li16ELi16ELi64ELi64ELi4ELi64ELi4ELi4ELi64ELc78ELc84EKDF16_S1_DF16_EEvlllT_PT11_llS4_llS2_PT12_llPT13_lli.kd
    .uniform_work_group_size: 1
    .uses_dynamic_stack: false
    .vgpr_count:     46
    .vgpr_spill_count: 0
    .wavefront_size: 64
  - .agpr_count:     0
    .args:
      - .offset:         0
        .size:           8
        .value_kind:     by_value
      - .offset:         8
        .size:           8
        .value_kind:     by_value
      - .offset:         16
        .size:           8
        .value_kind:     by_value
      - .offset:         24
        .size:           2
        .value_kind:     by_value
      - .address_space:  global
        .offset:         32
        .size:           8
        .value_kind:     global_buffer
      - .offset:         40
        .size:           8
        .value_kind:     by_value
      - .offset:         48
        .size:           8
        .value_kind:     by_value
      - .address_space:  global
        .offset:         56
        .size:           8
        .value_kind:     global_buffer
      - .offset:         64
        .size:           8
        .value_kind:     by_value
      - .offset:         72
        .size:           8
        .value_kind:     by_value
      - .offset:         80
        .size:           2
        .value_kind:     by_value
      - .address_space:  global
        .offset:         88
        .size:           8
        .value_kind:     global_buffer
      - .offset:         96
        .size:           8
        .value_kind:     by_value
      - .offset:         104
        .size:           8
        .value_kind:     by_value
      - .address_space:  global
        .offset:         112
        .size:           8
        .value_kind:     global_buffer
      - .offset:         120
        .size:           8
        .value_kind:     by_value
      - .offset:         128
        .size:           8
        .value_kind:     by_value
      - .offset:         136
        .size:           4
        .value_kind:     by_value
    .group_segment_fixed_size: 1024
    .kernarg_segment_align: 8
    .kernarg_segment_size: 140
    .language:       OpenCL C
    .language_version:
      - 2
      - 0
    .max_flat_workgroup_size: 256
    .name:           _ZN12_GLOBAL__N_127rocblas_gemm_batched_kernelIDF16_Li16ELi16ELi64ELi64ELi4ELi64ELi4ELi4ELi64ELc84ELc84EKDF16_S1_DF16_EEvlllT_PT11_llS4_llS2_PT12_llPT13_lli
    .private_segment_fixed_size: 0
    .sgpr_count:     30
    .sgpr_spill_count: 0
    .symbol:         _ZN12_GLOBAL__N_127rocblas_gemm_batched_kernelIDF16_Li16ELi16ELi64ELi64ELi4ELi64ELi4ELi4ELi64ELc84ELc84EKDF16_S1_DF16_EEvlllT_PT11_llS4_llS2_PT12_llPT13_lli.kd
    .uniform_work_group_size: 1
    .uses_dynamic_stack: false
    .vgpr_count:     46
    .vgpr_spill_count: 0
    .wavefront_size: 64
  - .agpr_count:     0
    .args:
      - .offset:         0
        .size:           8
        .value_kind:     by_value
      - .offset:         8
        .size:           8
        .value_kind:     by_value
      - .offset:         16
        .size:           8
        .value_kind:     by_value
      - .offset:         24
        .size:           2
        .value_kind:     by_value
      - .address_space:  global
        .offset:         32
        .size:           8
        .value_kind:     global_buffer
      - .offset:         40
        .size:           8
        .value_kind:     by_value
      - .offset:         48
        .size:           8
        .value_kind:     by_value
      - .address_space:  global
        .offset:         56
        .size:           8
        .value_kind:     global_buffer
      - .offset:         64
        .size:           8
        .value_kind:     by_value
      - .offset:         72
        .size:           8
        .value_kind:     by_value
      - .offset:         80
        .size:           2
        .value_kind:     by_value
      - .address_space:  global
        .offset:         88
        .size:           8
        .value_kind:     global_buffer
      - .offset:         96
        .size:           8
        .value_kind:     by_value
      - .offset:         104
        .size:           8
        .value_kind:     by_value
      - .address_space:  global
        .offset:         112
        .size:           8
        .value_kind:     global_buffer
      - .offset:         120
        .size:           8
        .value_kind:     by_value
      - .offset:         128
        .size:           8
        .value_kind:     by_value
      - .offset:         136
        .size:           4
        .value_kind:     by_value
    .group_segment_fixed_size: 1024
    .kernarg_segment_align: 8
    .kernarg_segment_size: 140
    .language:       OpenCL C
    .language_version:
      - 2
      - 0
    .max_flat_workgroup_size: 256
    .name:           _ZN12_GLOBAL__N_127rocblas_gemm_batched_kernelIDF16_Li16ELi16ELi64ELi64ELi4ELi64ELi4ELi4ELi64ELc67ELc67EKDF16_S1_DF16_EEvlllT_PT11_llS4_llS2_PT12_llPT13_lli
    .private_segment_fixed_size: 0
    .sgpr_count:     30
    .sgpr_spill_count: 0
    .symbol:         _ZN12_GLOBAL__N_127rocblas_gemm_batched_kernelIDF16_Li16ELi16ELi64ELi64ELi4ELi64ELi4ELi4ELi64ELc67ELc67EKDF16_S1_DF16_EEvlllT_PT11_llS4_llS2_PT12_llPT13_lli.kd
    .uniform_work_group_size: 1
    .uses_dynamic_stack: false
    .vgpr_count:     46
    .vgpr_spill_count: 0
    .wavefront_size: 64
  - .agpr_count:     0
    .args:
      - .offset:         0
        .size:           8
        .value_kind:     by_value
      - .offset:         8
        .size:           8
        .value_kind:     by_value
      - .offset:         16
        .size:           8
        .value_kind:     by_value
      - .offset:         24
        .size:           2
        .value_kind:     by_value
      - .address_space:  global
        .offset:         32
        .size:           8
        .value_kind:     global_buffer
      - .offset:         40
        .size:           8
        .value_kind:     by_value
      - .offset:         48
        .size:           8
        .value_kind:     by_value
      - .address_space:  global
        .offset:         56
        .size:           8
        .value_kind:     global_buffer
      - .offset:         64
        .size:           8
        .value_kind:     by_value
      - .offset:         72
        .size:           8
        .value_kind:     by_value
      - .offset:         80
        .size:           2
        .value_kind:     by_value
      - .address_space:  global
        .offset:         88
        .size:           8
        .value_kind:     global_buffer
      - .offset:         96
        .size:           8
        .value_kind:     by_value
      - .offset:         104
        .size:           8
        .value_kind:     by_value
      - .address_space:  global
        .offset:         112
        .size:           8
        .value_kind:     global_buffer
      - .offset:         120
        .size:           8
        .value_kind:     by_value
      - .offset:         128
        .size:           8
        .value_kind:     by_value
      - .offset:         136
        .size:           4
        .value_kind:     by_value
    .group_segment_fixed_size: 1024
    .kernarg_segment_align: 8
    .kernarg_segment_size: 140
    .language:       OpenCL C
    .language_version:
      - 2
      - 0
    .max_flat_workgroup_size: 256
    .name:           _ZN12_GLOBAL__N_127rocblas_gemm_batched_kernelIDF16_Li16ELi16ELi64ELi64ELi4ELi64ELi4ELi4ELi64ELc67ELc78EKDF16_S1_DF16_EEvlllT_PT11_llS4_llS2_PT12_llPT13_lli
    .private_segment_fixed_size: 0
    .sgpr_count:     30
    .sgpr_spill_count: 0
    .symbol:         _ZN12_GLOBAL__N_127rocblas_gemm_batched_kernelIDF16_Li16ELi16ELi64ELi64ELi4ELi64ELi4ELi4ELi64ELc67ELc78EKDF16_S1_DF16_EEvlllT_PT11_llS4_llS2_PT12_llPT13_lli.kd
    .uniform_work_group_size: 1
    .uses_dynamic_stack: false
    .vgpr_count:     46
    .vgpr_spill_count: 0
    .wavefront_size: 64
  - .agpr_count:     0
    .args:
      - .offset:         0
        .size:           8
        .value_kind:     by_value
      - .offset:         8
        .size:           8
        .value_kind:     by_value
      - .offset:         16
        .size:           8
        .value_kind:     by_value
      - .offset:         24
        .size:           2
        .value_kind:     by_value
      - .address_space:  global
        .offset:         32
        .size:           8
        .value_kind:     global_buffer
      - .offset:         40
        .size:           8
        .value_kind:     by_value
      - .offset:         48
        .size:           8
        .value_kind:     by_value
      - .address_space:  global
        .offset:         56
        .size:           8
        .value_kind:     global_buffer
      - .offset:         64
        .size:           8
        .value_kind:     by_value
      - .offset:         72
        .size:           8
        .value_kind:     by_value
      - .offset:         80
        .size:           2
        .value_kind:     by_value
      - .address_space:  global
        .offset:         88
        .size:           8
        .value_kind:     global_buffer
      - .offset:         96
        .size:           8
        .value_kind:     by_value
      - .offset:         104
        .size:           8
        .value_kind:     by_value
      - .address_space:  global
        .offset:         112
        .size:           8
        .value_kind:     global_buffer
      - .offset:         120
        .size:           8
        .value_kind:     by_value
      - .offset:         128
        .size:           8
        .value_kind:     by_value
      - .offset:         136
        .size:           4
        .value_kind:     by_value
    .group_segment_fixed_size: 1024
    .kernarg_segment_align: 8
    .kernarg_segment_size: 140
    .language:       OpenCL C
    .language_version:
      - 2
      - 0
    .max_flat_workgroup_size: 256
    .name:           _ZN12_GLOBAL__N_127rocblas_gemm_batched_kernelIDF16_Li16ELi16ELi64ELi64ELi4ELi64ELi4ELi4ELi64ELc67ELc84EKDF16_S1_DF16_EEvlllT_PT11_llS4_llS2_PT12_llPT13_lli
    .private_segment_fixed_size: 0
    .sgpr_count:     30
    .sgpr_spill_count: 0
    .symbol:         _ZN12_GLOBAL__N_127rocblas_gemm_batched_kernelIDF16_Li16ELi16ELi64ELi64ELi4ELi64ELi4ELi4ELi64ELc67ELc84EKDF16_S1_DF16_EEvlllT_PT11_llS4_llS2_PT12_llPT13_lli.kd
    .uniform_work_group_size: 1
    .uses_dynamic_stack: false
    .vgpr_count:     46
    .vgpr_spill_count: 0
    .wavefront_size: 64
  - .agpr_count:     0
    .args:
      - .offset:         0
        .size:           8
        .value_kind:     by_value
      - .offset:         8
        .size:           8
        .value_kind:     by_value
      - .offset:         16
        .size:           8
        .value_kind:     by_value
      - .offset:         24
        .size:           2
        .value_kind:     by_value
      - .address_space:  global
        .offset:         32
        .size:           8
        .value_kind:     global_buffer
      - .offset:         40
        .size:           8
        .value_kind:     by_value
      - .offset:         48
        .size:           8
        .value_kind:     by_value
      - .address_space:  global
        .offset:         56
        .size:           8
        .value_kind:     global_buffer
      - .offset:         64
        .size:           8
        .value_kind:     by_value
      - .offset:         72
        .size:           8
        .value_kind:     by_value
      - .offset:         80
        .size:           2
        .value_kind:     by_value
      - .address_space:  global
        .offset:         88
        .size:           8
        .value_kind:     global_buffer
      - .offset:         96
        .size:           8
        .value_kind:     by_value
      - .offset:         104
        .size:           8
        .value_kind:     by_value
      - .address_space:  global
        .offset:         112
        .size:           8
        .value_kind:     global_buffer
      - .offset:         120
        .size:           8
        .value_kind:     by_value
      - .offset:         128
        .size:           8
        .value_kind:     by_value
      - .offset:         136
        .size:           4
        .value_kind:     by_value
    .group_segment_fixed_size: 1024
    .kernarg_segment_align: 8
    .kernarg_segment_size: 140
    .language:       OpenCL C
    .language_version:
      - 2
      - 0
    .max_flat_workgroup_size: 256
    .name:           _ZN12_GLOBAL__N_127rocblas_gemm_batched_kernelIDF16_Li16ELi16ELi64ELi64ELi4ELi64ELi4ELi4ELi64ELc78ELc67EKDF16_S1_DF16_EEvlllT_PT11_llS4_llS2_PT12_llPT13_lli
    .private_segment_fixed_size: 0
    .sgpr_count:     30
    .sgpr_spill_count: 0
    .symbol:         _ZN12_GLOBAL__N_127rocblas_gemm_batched_kernelIDF16_Li16ELi16ELi64ELi64ELi4ELi64ELi4ELi4ELi64ELc78ELc67EKDF16_S1_DF16_EEvlllT_PT11_llS4_llS2_PT12_llPT13_lli.kd
    .uniform_work_group_size: 1
    .uses_dynamic_stack: false
    .vgpr_count:     46
    .vgpr_spill_count: 0
    .wavefront_size: 64
  - .agpr_count:     0
    .args:
      - .offset:         0
        .size:           8
        .value_kind:     by_value
      - .offset:         8
        .size:           8
        .value_kind:     by_value
      - .offset:         16
        .size:           8
        .value_kind:     by_value
      - .offset:         24
        .size:           2
        .value_kind:     by_value
      - .address_space:  global
        .offset:         32
        .size:           8
        .value_kind:     global_buffer
      - .offset:         40
        .size:           8
        .value_kind:     by_value
      - .offset:         48
        .size:           8
        .value_kind:     by_value
      - .address_space:  global
        .offset:         56
        .size:           8
        .value_kind:     global_buffer
      - .offset:         64
        .size:           8
        .value_kind:     by_value
      - .offset:         72
        .size:           8
        .value_kind:     by_value
      - .offset:         80
        .size:           2
        .value_kind:     by_value
      - .address_space:  global
        .offset:         88
        .size:           8
        .value_kind:     global_buffer
      - .offset:         96
        .size:           8
        .value_kind:     by_value
      - .offset:         104
        .size:           8
        .value_kind:     by_value
      - .address_space:  global
        .offset:         112
        .size:           8
        .value_kind:     global_buffer
      - .offset:         120
        .size:           8
        .value_kind:     by_value
      - .offset:         128
        .size:           8
        .value_kind:     by_value
      - .offset:         136
        .size:           4
        .value_kind:     by_value
    .group_segment_fixed_size: 1024
    .kernarg_segment_align: 8
    .kernarg_segment_size: 140
    .language:       OpenCL C
    .language_version:
      - 2
      - 0
    .max_flat_workgroup_size: 256
    .name:           _ZN12_GLOBAL__N_127rocblas_gemm_batched_kernelIDF16_Li16ELi16ELi64ELi64ELi4ELi64ELi4ELi4ELi64ELc84ELc67EKDF16_S1_DF16_EEvlllT_PT11_llS4_llS2_PT12_llPT13_lli
    .private_segment_fixed_size: 0
    .sgpr_count:     30
    .sgpr_spill_count: 0
    .symbol:         _ZN12_GLOBAL__N_127rocblas_gemm_batched_kernelIDF16_Li16ELi16ELi64ELi64ELi4ELi64ELi4ELi4ELi64ELc84ELc67EKDF16_S1_DF16_EEvlllT_PT11_llS4_llS2_PT12_llPT13_lli.kd
    .uniform_work_group_size: 1
    .uses_dynamic_stack: false
    .vgpr_count:     46
    .vgpr_spill_count: 0
    .wavefront_size: 64
  - .agpr_count:     0
    .args:
      - .offset:         0
        .size:           8
        .value_kind:     by_value
      - .offset:         8
        .size:           8
        .value_kind:     by_value
      - .offset:         16
        .size:           8
        .value_kind:     by_value
      - .offset:         24
        .size:           2
        .value_kind:     by_value
      - .address_space:  global
        .offset:         32
        .size:           8
        .value_kind:     global_buffer
      - .offset:         40
        .size:           8
        .value_kind:     by_value
      - .offset:         48
        .size:           8
        .value_kind:     by_value
      - .address_space:  global
        .offset:         56
        .size:           8
        .value_kind:     global_buffer
      - .offset:         64
        .size:           8
        .value_kind:     by_value
      - .offset:         72
        .size:           8
        .value_kind:     by_value
      - .offset:         80
        .size:           2
        .value_kind:     by_value
      - .address_space:  global
        .offset:         88
        .size:           8
        .value_kind:     global_buffer
      - .offset:         96
        .size:           8
        .value_kind:     by_value
      - .offset:         104
        .size:           8
        .value_kind:     by_value
      - .address_space:  global
        .offset:         112
        .size:           8
        .value_kind:     global_buffer
      - .offset:         120
        .size:           8
        .value_kind:     by_value
      - .offset:         128
        .size:           8
        .value_kind:     by_value
      - .offset:         136
        .size:           4
        .value_kind:     by_value
    .group_segment_fixed_size: 1024
    .kernarg_segment_align: 8
    .kernarg_segment_size: 140
    .language:       OpenCL C
    .language_version:
      - 2
      - 0
    .max_flat_workgroup_size: 256
    .name:           _ZN12_GLOBAL__N_127rocblas_gemm_batched_kernelIDF16_Li16ELi16ELi32ELi32ELi8ELi32ELi8ELi8ELi32ELc78ELc78EKDF16_S1_DF16_EEvlllT_PT11_llS4_llS2_PT12_llPT13_lli
    .private_segment_fixed_size: 0
    .sgpr_count:     30
    .sgpr_spill_count: 0
    .symbol:         _ZN12_GLOBAL__N_127rocblas_gemm_batched_kernelIDF16_Li16ELi16ELi32ELi32ELi8ELi32ELi8ELi8ELi32ELc78ELc78EKDF16_S1_DF16_EEvlllT_PT11_llS4_llS2_PT12_llPT13_lli.kd
    .uniform_work_group_size: 1
    .uses_dynamic_stack: false
    .vgpr_count:     40
    .vgpr_spill_count: 0
    .wavefront_size: 64
  - .agpr_count:     0
    .args:
      - .offset:         0
        .size:           8
        .value_kind:     by_value
      - .offset:         8
        .size:           8
        .value_kind:     by_value
      - .offset:         16
        .size:           8
        .value_kind:     by_value
      - .offset:         24
        .size:           2
        .value_kind:     by_value
      - .address_space:  global
        .offset:         32
        .size:           8
        .value_kind:     global_buffer
      - .offset:         40
        .size:           8
        .value_kind:     by_value
      - .offset:         48
        .size:           8
        .value_kind:     by_value
      - .address_space:  global
        .offset:         56
        .size:           8
        .value_kind:     global_buffer
      - .offset:         64
        .size:           8
        .value_kind:     by_value
      - .offset:         72
        .size:           8
        .value_kind:     by_value
      - .offset:         80
        .size:           2
        .value_kind:     by_value
      - .address_space:  global
        .offset:         88
        .size:           8
        .value_kind:     global_buffer
      - .offset:         96
        .size:           8
        .value_kind:     by_value
      - .offset:         104
        .size:           8
        .value_kind:     by_value
      - .address_space:  global
        .offset:         112
        .size:           8
        .value_kind:     global_buffer
      - .offset:         120
        .size:           8
        .value_kind:     by_value
      - .offset:         128
        .size:           8
        .value_kind:     by_value
      - .offset:         136
        .size:           4
        .value_kind:     by_value
    .group_segment_fixed_size: 1024
    .kernarg_segment_align: 8
    .kernarg_segment_size: 140
    .language:       OpenCL C
    .language_version:
      - 2
      - 0
    .max_flat_workgroup_size: 256
    .name:           _ZN12_GLOBAL__N_127rocblas_gemm_batched_kernelIDF16_Li16ELi16ELi32ELi32ELi8ELi32ELi8ELi8ELi32ELc84ELc78EKDF16_S1_DF16_EEvlllT_PT11_llS4_llS2_PT12_llPT13_lli
    .private_segment_fixed_size: 0
    .sgpr_count:     30
    .sgpr_spill_count: 0
    .symbol:         _ZN12_GLOBAL__N_127rocblas_gemm_batched_kernelIDF16_Li16ELi16ELi32ELi32ELi8ELi32ELi8ELi8ELi32ELc84ELc78EKDF16_S1_DF16_EEvlllT_PT11_llS4_llS2_PT12_llPT13_lli.kd
    .uniform_work_group_size: 1
    .uses_dynamic_stack: false
    .vgpr_count:     40
    .vgpr_spill_count: 0
    .wavefront_size: 64
  - .agpr_count:     0
    .args:
      - .offset:         0
        .size:           8
        .value_kind:     by_value
      - .offset:         8
        .size:           8
        .value_kind:     by_value
      - .offset:         16
        .size:           8
        .value_kind:     by_value
      - .offset:         24
        .size:           2
        .value_kind:     by_value
      - .address_space:  global
        .offset:         32
        .size:           8
        .value_kind:     global_buffer
      - .offset:         40
        .size:           8
        .value_kind:     by_value
      - .offset:         48
        .size:           8
        .value_kind:     by_value
      - .address_space:  global
        .offset:         56
        .size:           8
        .value_kind:     global_buffer
      - .offset:         64
        .size:           8
        .value_kind:     by_value
      - .offset:         72
        .size:           8
        .value_kind:     by_value
      - .offset:         80
        .size:           2
        .value_kind:     by_value
      - .address_space:  global
        .offset:         88
        .size:           8
        .value_kind:     global_buffer
      - .offset:         96
        .size:           8
        .value_kind:     by_value
      - .offset:         104
        .size:           8
        .value_kind:     by_value
      - .address_space:  global
        .offset:         112
        .size:           8
        .value_kind:     global_buffer
      - .offset:         120
        .size:           8
        .value_kind:     by_value
      - .offset:         128
        .size:           8
        .value_kind:     by_value
      - .offset:         136
        .size:           4
        .value_kind:     by_value
    .group_segment_fixed_size: 1024
    .kernarg_segment_align: 8
    .kernarg_segment_size: 140
    .language:       OpenCL C
    .language_version:
      - 2
      - 0
    .max_flat_workgroup_size: 256
    .name:           _ZN12_GLOBAL__N_127rocblas_gemm_batched_kernelIDF16_Li16ELi16ELi32ELi32ELi8ELi32ELi8ELi8ELi32ELc78ELc84EKDF16_S1_DF16_EEvlllT_PT11_llS4_llS2_PT12_llPT13_lli
    .private_segment_fixed_size: 0
    .sgpr_count:     30
    .sgpr_spill_count: 0
    .symbol:         _ZN12_GLOBAL__N_127rocblas_gemm_batched_kernelIDF16_Li16ELi16ELi32ELi32ELi8ELi32ELi8ELi8ELi32ELc78ELc84EKDF16_S1_DF16_EEvlllT_PT11_llS4_llS2_PT12_llPT13_lli.kd
    .uniform_work_group_size: 1
    .uses_dynamic_stack: false
    .vgpr_count:     40
    .vgpr_spill_count: 0
    .wavefront_size: 64
  - .agpr_count:     0
    .args:
      - .offset:         0
        .size:           8
        .value_kind:     by_value
      - .offset:         8
        .size:           8
        .value_kind:     by_value
      - .offset:         16
        .size:           8
        .value_kind:     by_value
      - .offset:         24
        .size:           2
        .value_kind:     by_value
      - .address_space:  global
        .offset:         32
        .size:           8
        .value_kind:     global_buffer
      - .offset:         40
        .size:           8
        .value_kind:     by_value
      - .offset:         48
        .size:           8
        .value_kind:     by_value
      - .address_space:  global
        .offset:         56
        .size:           8
        .value_kind:     global_buffer
      - .offset:         64
        .size:           8
        .value_kind:     by_value
      - .offset:         72
        .size:           8
        .value_kind:     by_value
      - .offset:         80
        .size:           2
        .value_kind:     by_value
      - .address_space:  global
        .offset:         88
        .size:           8
        .value_kind:     global_buffer
      - .offset:         96
        .size:           8
        .value_kind:     by_value
      - .offset:         104
        .size:           8
        .value_kind:     by_value
      - .address_space:  global
        .offset:         112
        .size:           8
        .value_kind:     global_buffer
      - .offset:         120
        .size:           8
        .value_kind:     by_value
      - .offset:         128
        .size:           8
        .value_kind:     by_value
      - .offset:         136
        .size:           4
        .value_kind:     by_value
    .group_segment_fixed_size: 1024
    .kernarg_segment_align: 8
    .kernarg_segment_size: 140
    .language:       OpenCL C
    .language_version:
      - 2
      - 0
    .max_flat_workgroup_size: 256
    .name:           _ZN12_GLOBAL__N_127rocblas_gemm_batched_kernelIDF16_Li16ELi16ELi32ELi32ELi8ELi32ELi8ELi8ELi32ELc84ELc84EKDF16_S1_DF16_EEvlllT_PT11_llS4_llS2_PT12_llPT13_lli
    .private_segment_fixed_size: 0
    .sgpr_count:     30
    .sgpr_spill_count: 0
    .symbol:         _ZN12_GLOBAL__N_127rocblas_gemm_batched_kernelIDF16_Li16ELi16ELi32ELi32ELi8ELi32ELi8ELi8ELi32ELc84ELc84EKDF16_S1_DF16_EEvlllT_PT11_llS4_llS2_PT12_llPT13_lli.kd
    .uniform_work_group_size: 1
    .uses_dynamic_stack: false
    .vgpr_count:     40
    .vgpr_spill_count: 0
    .wavefront_size: 64
  - .agpr_count:     0
    .args:
      - .offset:         0
        .size:           8
        .value_kind:     by_value
      - .offset:         8
        .size:           8
        .value_kind:     by_value
      - .offset:         16
        .size:           8
        .value_kind:     by_value
      - .offset:         24
        .size:           2
        .value_kind:     by_value
      - .address_space:  global
        .offset:         32
        .size:           8
        .value_kind:     global_buffer
      - .offset:         40
        .size:           8
        .value_kind:     by_value
      - .offset:         48
        .size:           8
        .value_kind:     by_value
      - .address_space:  global
        .offset:         56
        .size:           8
        .value_kind:     global_buffer
      - .offset:         64
        .size:           8
        .value_kind:     by_value
      - .offset:         72
        .size:           8
        .value_kind:     by_value
      - .offset:         80
        .size:           2
        .value_kind:     by_value
      - .address_space:  global
        .offset:         88
        .size:           8
        .value_kind:     global_buffer
      - .offset:         96
        .size:           8
        .value_kind:     by_value
      - .offset:         104
        .size:           8
        .value_kind:     by_value
      - .address_space:  global
        .offset:         112
        .size:           8
        .value_kind:     global_buffer
      - .offset:         120
        .size:           8
        .value_kind:     by_value
      - .offset:         128
        .size:           8
        .value_kind:     by_value
      - .offset:         136
        .size:           4
        .value_kind:     by_value
    .group_segment_fixed_size: 1024
    .kernarg_segment_align: 8
    .kernarg_segment_size: 140
    .language:       OpenCL C
    .language_version:
      - 2
      - 0
    .max_flat_workgroup_size: 256
    .name:           _ZN12_GLOBAL__N_127rocblas_gemm_batched_kernelIDF16_Li16ELi16ELi32ELi32ELi8ELi32ELi8ELi8ELi32ELc67ELc67EKDF16_S1_DF16_EEvlllT_PT11_llS4_llS2_PT12_llPT13_lli
    .private_segment_fixed_size: 0
    .sgpr_count:     30
    .sgpr_spill_count: 0
    .symbol:         _ZN12_GLOBAL__N_127rocblas_gemm_batched_kernelIDF16_Li16ELi16ELi32ELi32ELi8ELi32ELi8ELi8ELi32ELc67ELc67EKDF16_S1_DF16_EEvlllT_PT11_llS4_llS2_PT12_llPT13_lli.kd
    .uniform_work_group_size: 1
    .uses_dynamic_stack: false
    .vgpr_count:     40
    .vgpr_spill_count: 0
    .wavefront_size: 64
  - .agpr_count:     0
    .args:
      - .offset:         0
        .size:           8
        .value_kind:     by_value
      - .offset:         8
        .size:           8
        .value_kind:     by_value
      - .offset:         16
        .size:           8
        .value_kind:     by_value
      - .offset:         24
        .size:           2
        .value_kind:     by_value
      - .address_space:  global
        .offset:         32
        .size:           8
        .value_kind:     global_buffer
      - .offset:         40
        .size:           8
        .value_kind:     by_value
      - .offset:         48
        .size:           8
        .value_kind:     by_value
      - .address_space:  global
        .offset:         56
        .size:           8
        .value_kind:     global_buffer
      - .offset:         64
        .size:           8
        .value_kind:     by_value
      - .offset:         72
        .size:           8
        .value_kind:     by_value
      - .offset:         80
        .size:           2
        .value_kind:     by_value
      - .address_space:  global
        .offset:         88
        .size:           8
        .value_kind:     global_buffer
      - .offset:         96
        .size:           8
        .value_kind:     by_value
      - .offset:         104
        .size:           8
        .value_kind:     by_value
      - .address_space:  global
        .offset:         112
        .size:           8
        .value_kind:     global_buffer
      - .offset:         120
        .size:           8
        .value_kind:     by_value
      - .offset:         128
        .size:           8
        .value_kind:     by_value
      - .offset:         136
        .size:           4
        .value_kind:     by_value
    .group_segment_fixed_size: 1024
    .kernarg_segment_align: 8
    .kernarg_segment_size: 140
    .language:       OpenCL C
    .language_version:
      - 2
      - 0
    .max_flat_workgroup_size: 256
    .name:           _ZN12_GLOBAL__N_127rocblas_gemm_batched_kernelIDF16_Li16ELi16ELi32ELi32ELi8ELi32ELi8ELi8ELi32ELc67ELc78EKDF16_S1_DF16_EEvlllT_PT11_llS4_llS2_PT12_llPT13_lli
    .private_segment_fixed_size: 0
    .sgpr_count:     30
    .sgpr_spill_count: 0
    .symbol:         _ZN12_GLOBAL__N_127rocblas_gemm_batched_kernelIDF16_Li16ELi16ELi32ELi32ELi8ELi32ELi8ELi8ELi32ELc67ELc78EKDF16_S1_DF16_EEvlllT_PT11_llS4_llS2_PT12_llPT13_lli.kd
    .uniform_work_group_size: 1
    .uses_dynamic_stack: false
    .vgpr_count:     40
    .vgpr_spill_count: 0
    .wavefront_size: 64
  - .agpr_count:     0
    .args:
      - .offset:         0
        .size:           8
        .value_kind:     by_value
      - .offset:         8
        .size:           8
        .value_kind:     by_value
      - .offset:         16
        .size:           8
        .value_kind:     by_value
      - .offset:         24
        .size:           2
        .value_kind:     by_value
      - .address_space:  global
        .offset:         32
        .size:           8
        .value_kind:     global_buffer
      - .offset:         40
        .size:           8
        .value_kind:     by_value
      - .offset:         48
        .size:           8
        .value_kind:     by_value
      - .address_space:  global
        .offset:         56
        .size:           8
        .value_kind:     global_buffer
      - .offset:         64
        .size:           8
        .value_kind:     by_value
      - .offset:         72
        .size:           8
        .value_kind:     by_value
      - .offset:         80
        .size:           2
        .value_kind:     by_value
      - .address_space:  global
        .offset:         88
        .size:           8
        .value_kind:     global_buffer
      - .offset:         96
        .size:           8
        .value_kind:     by_value
      - .offset:         104
        .size:           8
        .value_kind:     by_value
      - .address_space:  global
        .offset:         112
        .size:           8
        .value_kind:     global_buffer
      - .offset:         120
        .size:           8
        .value_kind:     by_value
      - .offset:         128
        .size:           8
        .value_kind:     by_value
      - .offset:         136
        .size:           4
        .value_kind:     by_value
    .group_segment_fixed_size: 1024
    .kernarg_segment_align: 8
    .kernarg_segment_size: 140
    .language:       OpenCL C
    .language_version:
      - 2
      - 0
    .max_flat_workgroup_size: 256
    .name:           _ZN12_GLOBAL__N_127rocblas_gemm_batched_kernelIDF16_Li16ELi16ELi32ELi32ELi8ELi32ELi8ELi8ELi32ELc67ELc84EKDF16_S1_DF16_EEvlllT_PT11_llS4_llS2_PT12_llPT13_lli
    .private_segment_fixed_size: 0
    .sgpr_count:     30
    .sgpr_spill_count: 0
    .symbol:         _ZN12_GLOBAL__N_127rocblas_gemm_batched_kernelIDF16_Li16ELi16ELi32ELi32ELi8ELi32ELi8ELi8ELi32ELc67ELc84EKDF16_S1_DF16_EEvlllT_PT11_llS4_llS2_PT12_llPT13_lli.kd
    .uniform_work_group_size: 1
    .uses_dynamic_stack: false
    .vgpr_count:     40
    .vgpr_spill_count: 0
    .wavefront_size: 64
  - .agpr_count:     0
    .args:
      - .offset:         0
        .size:           8
        .value_kind:     by_value
      - .offset:         8
        .size:           8
        .value_kind:     by_value
      - .offset:         16
        .size:           8
        .value_kind:     by_value
      - .offset:         24
        .size:           2
        .value_kind:     by_value
      - .address_space:  global
        .offset:         32
        .size:           8
        .value_kind:     global_buffer
      - .offset:         40
        .size:           8
        .value_kind:     by_value
      - .offset:         48
        .size:           8
        .value_kind:     by_value
      - .address_space:  global
        .offset:         56
        .size:           8
        .value_kind:     global_buffer
      - .offset:         64
        .size:           8
        .value_kind:     by_value
      - .offset:         72
        .size:           8
        .value_kind:     by_value
      - .offset:         80
        .size:           2
        .value_kind:     by_value
      - .address_space:  global
        .offset:         88
        .size:           8
        .value_kind:     global_buffer
      - .offset:         96
        .size:           8
        .value_kind:     by_value
      - .offset:         104
        .size:           8
        .value_kind:     by_value
      - .address_space:  global
        .offset:         112
        .size:           8
        .value_kind:     global_buffer
      - .offset:         120
        .size:           8
        .value_kind:     by_value
      - .offset:         128
        .size:           8
        .value_kind:     by_value
      - .offset:         136
        .size:           4
        .value_kind:     by_value
    .group_segment_fixed_size: 1024
    .kernarg_segment_align: 8
    .kernarg_segment_size: 140
    .language:       OpenCL C
    .language_version:
      - 2
      - 0
    .max_flat_workgroup_size: 256
    .name:           _ZN12_GLOBAL__N_127rocblas_gemm_batched_kernelIDF16_Li16ELi16ELi32ELi32ELi8ELi32ELi8ELi8ELi32ELc78ELc67EKDF16_S1_DF16_EEvlllT_PT11_llS4_llS2_PT12_llPT13_lli
    .private_segment_fixed_size: 0
    .sgpr_count:     30
    .sgpr_spill_count: 0
    .symbol:         _ZN12_GLOBAL__N_127rocblas_gemm_batched_kernelIDF16_Li16ELi16ELi32ELi32ELi8ELi32ELi8ELi8ELi32ELc78ELc67EKDF16_S1_DF16_EEvlllT_PT11_llS4_llS2_PT12_llPT13_lli.kd
    .uniform_work_group_size: 1
    .uses_dynamic_stack: false
    .vgpr_count:     40
    .vgpr_spill_count: 0
    .wavefront_size: 64
  - .agpr_count:     0
    .args:
      - .offset:         0
        .size:           8
        .value_kind:     by_value
      - .offset:         8
        .size:           8
        .value_kind:     by_value
      - .offset:         16
        .size:           8
        .value_kind:     by_value
      - .offset:         24
        .size:           2
        .value_kind:     by_value
      - .address_space:  global
        .offset:         32
        .size:           8
        .value_kind:     global_buffer
      - .offset:         40
        .size:           8
        .value_kind:     by_value
      - .offset:         48
        .size:           8
        .value_kind:     by_value
      - .address_space:  global
        .offset:         56
        .size:           8
        .value_kind:     global_buffer
      - .offset:         64
        .size:           8
        .value_kind:     by_value
      - .offset:         72
        .size:           8
        .value_kind:     by_value
      - .offset:         80
        .size:           2
        .value_kind:     by_value
      - .address_space:  global
        .offset:         88
        .size:           8
        .value_kind:     global_buffer
      - .offset:         96
        .size:           8
        .value_kind:     by_value
      - .offset:         104
        .size:           8
        .value_kind:     by_value
      - .address_space:  global
        .offset:         112
        .size:           8
        .value_kind:     global_buffer
      - .offset:         120
        .size:           8
        .value_kind:     by_value
      - .offset:         128
        .size:           8
        .value_kind:     by_value
      - .offset:         136
        .size:           4
        .value_kind:     by_value
    .group_segment_fixed_size: 1024
    .kernarg_segment_align: 8
    .kernarg_segment_size: 140
    .language:       OpenCL C
    .language_version:
      - 2
      - 0
    .max_flat_workgroup_size: 256
    .name:           _ZN12_GLOBAL__N_127rocblas_gemm_batched_kernelIDF16_Li16ELi16ELi32ELi32ELi8ELi32ELi8ELi8ELi32ELc84ELc67EKDF16_S1_DF16_EEvlllT_PT11_llS4_llS2_PT12_llPT13_lli
    .private_segment_fixed_size: 0
    .sgpr_count:     30
    .sgpr_spill_count: 0
    .symbol:         _ZN12_GLOBAL__N_127rocblas_gemm_batched_kernelIDF16_Li16ELi16ELi32ELi32ELi8ELi32ELi8ELi8ELi32ELc84ELc67EKDF16_S1_DF16_EEvlllT_PT11_llS4_llS2_PT12_llPT13_lli.kd
    .uniform_work_group_size: 1
    .uses_dynamic_stack: false
    .vgpr_count:     40
    .vgpr_spill_count: 0
    .wavefront_size: 64
  - .agpr_count:     0
    .args:
      - .offset:         0
        .size:           8
        .value_kind:     by_value
      - .offset:         8
        .size:           8
        .value_kind:     by_value
      - .offset:         16
        .size:           8
        .value_kind:     by_value
      - .offset:         24
        .size:           2
        .value_kind:     by_value
      - .address_space:  global
        .offset:         32
        .size:           8
        .value_kind:     global_buffer
      - .offset:         40
        .size:           8
        .value_kind:     by_value
      - .offset:         48
        .size:           8
        .value_kind:     by_value
      - .address_space:  global
        .offset:         56
        .size:           8
        .value_kind:     global_buffer
      - .offset:         64
        .size:           8
        .value_kind:     by_value
      - .offset:         72
        .size:           8
        .value_kind:     by_value
      - .offset:         80
        .size:           2
        .value_kind:     by_value
      - .address_space:  global
        .offset:         88
        .size:           8
        .value_kind:     global_buffer
      - .offset:         96
        .size:           8
        .value_kind:     by_value
      - .offset:         104
        .size:           8
        .value_kind:     by_value
      - .address_space:  global
        .offset:         112
        .size:           8
        .value_kind:     global_buffer
      - .offset:         120
        .size:           8
        .value_kind:     by_value
      - .offset:         128
        .size:           8
        .value_kind:     by_value
      - .offset:         136
        .size:           4
        .value_kind:     by_value
    .group_segment_fixed_size: 1024
    .kernarg_segment_align: 8
    .kernarg_segment_size: 140
    .language:       OpenCL C
    .language_version:
      - 2
      - 0
    .max_flat_workgroup_size: 256
    .name:           _ZN12_GLOBAL__N_135rocblas_gemm_batched_general_kernelIDF16_Li16ELi16ELi32ELi32ELi8ELi32ELi8ELi8ELi32ELc78ELc78EKDF16_S1_DF16_EEvlllT_PT11_llS4_llS2_PT12_llPT13_lli
    .private_segment_fixed_size: 0
    .sgpr_count:     38
    .sgpr_spill_count: 0
    .symbol:         _ZN12_GLOBAL__N_135rocblas_gemm_batched_general_kernelIDF16_Li16ELi16ELi32ELi32ELi8ELi32ELi8ELi8ELi32ELc78ELc78EKDF16_S1_DF16_EEvlllT_PT11_llS4_llS2_PT12_llPT13_lli.kd
    .uniform_work_group_size: 1
    .uses_dynamic_stack: false
    .vgpr_count:     44
    .vgpr_spill_count: 0
    .wavefront_size: 64
  - .agpr_count:     0
    .args:
      - .offset:         0
        .size:           8
        .value_kind:     by_value
      - .offset:         8
        .size:           8
        .value_kind:     by_value
      - .offset:         16
        .size:           8
        .value_kind:     by_value
      - .offset:         24
        .size:           2
        .value_kind:     by_value
      - .address_space:  global
        .offset:         32
        .size:           8
        .value_kind:     global_buffer
      - .offset:         40
        .size:           8
        .value_kind:     by_value
      - .offset:         48
        .size:           8
        .value_kind:     by_value
      - .address_space:  global
        .offset:         56
        .size:           8
        .value_kind:     global_buffer
      - .offset:         64
        .size:           8
        .value_kind:     by_value
      - .offset:         72
        .size:           8
        .value_kind:     by_value
      - .offset:         80
        .size:           2
        .value_kind:     by_value
      - .address_space:  global
        .offset:         88
        .size:           8
        .value_kind:     global_buffer
      - .offset:         96
        .size:           8
        .value_kind:     by_value
      - .offset:         104
        .size:           8
        .value_kind:     by_value
      - .address_space:  global
        .offset:         112
        .size:           8
        .value_kind:     global_buffer
      - .offset:         120
        .size:           8
        .value_kind:     by_value
      - .offset:         128
        .size:           8
        .value_kind:     by_value
      - .offset:         136
        .size:           4
        .value_kind:     by_value
    .group_segment_fixed_size: 1024
    .kernarg_segment_align: 8
    .kernarg_segment_size: 140
    .language:       OpenCL C
    .language_version:
      - 2
      - 0
    .max_flat_workgroup_size: 256
    .name:           _ZN12_GLOBAL__N_135rocblas_gemm_batched_general_kernelIDF16_Li16ELi16ELi32ELi32ELi8ELi32ELi8ELi8ELi32ELc84ELc78EKDF16_S1_DF16_EEvlllT_PT11_llS4_llS2_PT12_llPT13_lli
    .private_segment_fixed_size: 0
    .sgpr_count:     38
    .sgpr_spill_count: 0
    .symbol:         _ZN12_GLOBAL__N_135rocblas_gemm_batched_general_kernelIDF16_Li16ELi16ELi32ELi32ELi8ELi32ELi8ELi8ELi32ELc84ELc78EKDF16_S1_DF16_EEvlllT_PT11_llS4_llS2_PT12_llPT13_lli.kd
    .uniform_work_group_size: 1
    .uses_dynamic_stack: false
    .vgpr_count:     44
    .vgpr_spill_count: 0
    .wavefront_size: 64
  - .agpr_count:     0
    .args:
      - .offset:         0
        .size:           8
        .value_kind:     by_value
      - .offset:         8
        .size:           8
        .value_kind:     by_value
      - .offset:         16
        .size:           8
        .value_kind:     by_value
      - .offset:         24
        .size:           2
        .value_kind:     by_value
      - .address_space:  global
        .offset:         32
        .size:           8
        .value_kind:     global_buffer
      - .offset:         40
        .size:           8
        .value_kind:     by_value
      - .offset:         48
        .size:           8
        .value_kind:     by_value
      - .address_space:  global
        .offset:         56
        .size:           8
        .value_kind:     global_buffer
      - .offset:         64
        .size:           8
        .value_kind:     by_value
      - .offset:         72
        .size:           8
        .value_kind:     by_value
      - .offset:         80
        .size:           2
        .value_kind:     by_value
      - .address_space:  global
        .offset:         88
        .size:           8
        .value_kind:     global_buffer
      - .offset:         96
        .size:           8
        .value_kind:     by_value
      - .offset:         104
        .size:           8
        .value_kind:     by_value
      - .address_space:  global
        .offset:         112
        .size:           8
        .value_kind:     global_buffer
      - .offset:         120
        .size:           8
        .value_kind:     by_value
      - .offset:         128
        .size:           8
        .value_kind:     by_value
      - .offset:         136
        .size:           4
        .value_kind:     by_value
    .group_segment_fixed_size: 1024
    .kernarg_segment_align: 8
    .kernarg_segment_size: 140
    .language:       OpenCL C
    .language_version:
      - 2
      - 0
    .max_flat_workgroup_size: 256
    .name:           _ZN12_GLOBAL__N_135rocblas_gemm_batched_general_kernelIDF16_Li16ELi16ELi32ELi32ELi8ELi32ELi8ELi8ELi32ELc78ELc84EKDF16_S1_DF16_EEvlllT_PT11_llS4_llS2_PT12_llPT13_lli
    .private_segment_fixed_size: 0
    .sgpr_count:     44
    .sgpr_spill_count: 0
    .symbol:         _ZN12_GLOBAL__N_135rocblas_gemm_batched_general_kernelIDF16_Li16ELi16ELi32ELi32ELi8ELi32ELi8ELi8ELi32ELc78ELc84EKDF16_S1_DF16_EEvlllT_PT11_llS4_llS2_PT12_llPT13_lli.kd
    .uniform_work_group_size: 1
    .uses_dynamic_stack: false
    .vgpr_count:     44
    .vgpr_spill_count: 0
    .wavefront_size: 64
  - .agpr_count:     0
    .args:
      - .offset:         0
        .size:           8
        .value_kind:     by_value
      - .offset:         8
        .size:           8
        .value_kind:     by_value
      - .offset:         16
        .size:           8
        .value_kind:     by_value
      - .offset:         24
        .size:           2
        .value_kind:     by_value
      - .address_space:  global
        .offset:         32
        .size:           8
        .value_kind:     global_buffer
      - .offset:         40
        .size:           8
        .value_kind:     by_value
      - .offset:         48
        .size:           8
        .value_kind:     by_value
      - .address_space:  global
        .offset:         56
        .size:           8
        .value_kind:     global_buffer
      - .offset:         64
        .size:           8
        .value_kind:     by_value
      - .offset:         72
        .size:           8
        .value_kind:     by_value
      - .offset:         80
        .size:           2
        .value_kind:     by_value
      - .address_space:  global
        .offset:         88
        .size:           8
        .value_kind:     global_buffer
      - .offset:         96
        .size:           8
        .value_kind:     by_value
      - .offset:         104
        .size:           8
        .value_kind:     by_value
      - .address_space:  global
        .offset:         112
        .size:           8
        .value_kind:     global_buffer
      - .offset:         120
        .size:           8
        .value_kind:     by_value
      - .offset:         128
        .size:           8
        .value_kind:     by_value
      - .offset:         136
        .size:           4
        .value_kind:     by_value
    .group_segment_fixed_size: 1024
    .kernarg_segment_align: 8
    .kernarg_segment_size: 140
    .language:       OpenCL C
    .language_version:
      - 2
      - 0
    .max_flat_workgroup_size: 256
    .name:           _ZN12_GLOBAL__N_135rocblas_gemm_batched_general_kernelIDF16_Li16ELi16ELi32ELi32ELi8ELi32ELi8ELi8ELi32ELc84ELc84EKDF16_S1_DF16_EEvlllT_PT11_llS4_llS2_PT12_llPT13_lli
    .private_segment_fixed_size: 0
    .sgpr_count:     42
    .sgpr_spill_count: 0
    .symbol:         _ZN12_GLOBAL__N_135rocblas_gemm_batched_general_kernelIDF16_Li16ELi16ELi32ELi32ELi8ELi32ELi8ELi8ELi32ELc84ELc84EKDF16_S1_DF16_EEvlllT_PT11_llS4_llS2_PT12_llPT13_lli.kd
    .uniform_work_group_size: 1
    .uses_dynamic_stack: false
    .vgpr_count:     44
    .vgpr_spill_count: 0
    .wavefront_size: 64
  - .agpr_count:     0
    .args:
      - .offset:         0
        .size:           8
        .value_kind:     by_value
      - .offset:         8
        .size:           8
        .value_kind:     by_value
      - .offset:         16
        .size:           8
        .value_kind:     by_value
      - .offset:         24
        .size:           2
        .value_kind:     by_value
      - .address_space:  global
        .offset:         32
        .size:           8
        .value_kind:     global_buffer
      - .offset:         40
        .size:           8
        .value_kind:     by_value
      - .offset:         48
        .size:           8
        .value_kind:     by_value
      - .address_space:  global
        .offset:         56
        .size:           8
        .value_kind:     global_buffer
      - .offset:         64
        .size:           8
        .value_kind:     by_value
      - .offset:         72
        .size:           8
        .value_kind:     by_value
      - .offset:         80
        .size:           2
        .value_kind:     by_value
      - .address_space:  global
        .offset:         88
        .size:           8
        .value_kind:     global_buffer
      - .offset:         96
        .size:           8
        .value_kind:     by_value
      - .offset:         104
        .size:           8
        .value_kind:     by_value
      - .address_space:  global
        .offset:         112
        .size:           8
        .value_kind:     global_buffer
      - .offset:         120
        .size:           8
        .value_kind:     by_value
      - .offset:         128
        .size:           8
        .value_kind:     by_value
      - .offset:         136
        .size:           4
        .value_kind:     by_value
    .group_segment_fixed_size: 1024
    .kernarg_segment_align: 8
    .kernarg_segment_size: 140
    .language:       OpenCL C
    .language_version:
      - 2
      - 0
    .max_flat_workgroup_size: 256
    .name:           _ZN12_GLOBAL__N_135rocblas_gemm_batched_general_kernelIDF16_Li16ELi16ELi32ELi32ELi8ELi32ELi8ELi8ELi32ELc67ELc67EKDF16_S1_DF16_EEvlllT_PT11_llS4_llS2_PT12_llPT13_lli
    .private_segment_fixed_size: 0
    .sgpr_count:     42
    .sgpr_spill_count: 0
    .symbol:         _ZN12_GLOBAL__N_135rocblas_gemm_batched_general_kernelIDF16_Li16ELi16ELi32ELi32ELi8ELi32ELi8ELi8ELi32ELc67ELc67EKDF16_S1_DF16_EEvlllT_PT11_llS4_llS2_PT12_llPT13_lli.kd
    .uniform_work_group_size: 1
    .uses_dynamic_stack: false
    .vgpr_count:     44
    .vgpr_spill_count: 0
    .wavefront_size: 64
  - .agpr_count:     0
    .args:
      - .offset:         0
        .size:           8
        .value_kind:     by_value
      - .offset:         8
        .size:           8
        .value_kind:     by_value
      - .offset:         16
        .size:           8
        .value_kind:     by_value
      - .offset:         24
        .size:           2
        .value_kind:     by_value
      - .address_space:  global
        .offset:         32
        .size:           8
        .value_kind:     global_buffer
      - .offset:         40
        .size:           8
        .value_kind:     by_value
      - .offset:         48
        .size:           8
        .value_kind:     by_value
      - .address_space:  global
        .offset:         56
        .size:           8
        .value_kind:     global_buffer
      - .offset:         64
        .size:           8
        .value_kind:     by_value
      - .offset:         72
        .size:           8
        .value_kind:     by_value
      - .offset:         80
        .size:           2
        .value_kind:     by_value
      - .address_space:  global
        .offset:         88
        .size:           8
        .value_kind:     global_buffer
      - .offset:         96
        .size:           8
        .value_kind:     by_value
      - .offset:         104
        .size:           8
        .value_kind:     by_value
      - .address_space:  global
        .offset:         112
        .size:           8
        .value_kind:     global_buffer
      - .offset:         120
        .size:           8
        .value_kind:     by_value
      - .offset:         128
        .size:           8
        .value_kind:     by_value
      - .offset:         136
        .size:           4
        .value_kind:     by_value
    .group_segment_fixed_size: 1024
    .kernarg_segment_align: 8
    .kernarg_segment_size: 140
    .language:       OpenCL C
    .language_version:
      - 2
      - 0
    .max_flat_workgroup_size: 256
    .name:           _ZN12_GLOBAL__N_135rocblas_gemm_batched_general_kernelIDF16_Li16ELi16ELi32ELi32ELi8ELi32ELi8ELi8ELi32ELc67ELc78EKDF16_S1_DF16_EEvlllT_PT11_llS4_llS2_PT12_llPT13_lli
    .private_segment_fixed_size: 0
    .sgpr_count:     38
    .sgpr_spill_count: 0
    .symbol:         _ZN12_GLOBAL__N_135rocblas_gemm_batched_general_kernelIDF16_Li16ELi16ELi32ELi32ELi8ELi32ELi8ELi8ELi32ELc67ELc78EKDF16_S1_DF16_EEvlllT_PT11_llS4_llS2_PT12_llPT13_lli.kd
    .uniform_work_group_size: 1
    .uses_dynamic_stack: false
    .vgpr_count:     44
    .vgpr_spill_count: 0
    .wavefront_size: 64
  - .agpr_count:     0
    .args:
      - .offset:         0
        .size:           8
        .value_kind:     by_value
      - .offset:         8
        .size:           8
        .value_kind:     by_value
      - .offset:         16
        .size:           8
        .value_kind:     by_value
      - .offset:         24
        .size:           2
        .value_kind:     by_value
      - .address_space:  global
        .offset:         32
        .size:           8
        .value_kind:     global_buffer
      - .offset:         40
        .size:           8
        .value_kind:     by_value
      - .offset:         48
        .size:           8
        .value_kind:     by_value
      - .address_space:  global
        .offset:         56
        .size:           8
        .value_kind:     global_buffer
      - .offset:         64
        .size:           8
        .value_kind:     by_value
      - .offset:         72
        .size:           8
        .value_kind:     by_value
      - .offset:         80
        .size:           2
        .value_kind:     by_value
      - .address_space:  global
        .offset:         88
        .size:           8
        .value_kind:     global_buffer
      - .offset:         96
        .size:           8
        .value_kind:     by_value
      - .offset:         104
        .size:           8
        .value_kind:     by_value
      - .address_space:  global
        .offset:         112
        .size:           8
        .value_kind:     global_buffer
      - .offset:         120
        .size:           8
        .value_kind:     by_value
      - .offset:         128
        .size:           8
        .value_kind:     by_value
      - .offset:         136
        .size:           4
        .value_kind:     by_value
    .group_segment_fixed_size: 1024
    .kernarg_segment_align: 8
    .kernarg_segment_size: 140
    .language:       OpenCL C
    .language_version:
      - 2
      - 0
    .max_flat_workgroup_size: 256
    .name:           _ZN12_GLOBAL__N_135rocblas_gemm_batched_general_kernelIDF16_Li16ELi16ELi32ELi32ELi8ELi32ELi8ELi8ELi32ELc67ELc84EKDF16_S1_DF16_EEvlllT_PT11_llS4_llS2_PT12_llPT13_lli
    .private_segment_fixed_size: 0
    .sgpr_count:     42
    .sgpr_spill_count: 0
    .symbol:         _ZN12_GLOBAL__N_135rocblas_gemm_batched_general_kernelIDF16_Li16ELi16ELi32ELi32ELi8ELi32ELi8ELi8ELi32ELc67ELc84EKDF16_S1_DF16_EEvlllT_PT11_llS4_llS2_PT12_llPT13_lli.kd
    .uniform_work_group_size: 1
    .uses_dynamic_stack: false
    .vgpr_count:     44
    .vgpr_spill_count: 0
    .wavefront_size: 64
  - .agpr_count:     0
    .args:
      - .offset:         0
        .size:           8
        .value_kind:     by_value
      - .offset:         8
        .size:           8
        .value_kind:     by_value
      - .offset:         16
        .size:           8
        .value_kind:     by_value
      - .offset:         24
        .size:           2
        .value_kind:     by_value
      - .address_space:  global
        .offset:         32
        .size:           8
        .value_kind:     global_buffer
      - .offset:         40
        .size:           8
        .value_kind:     by_value
      - .offset:         48
        .size:           8
        .value_kind:     by_value
      - .address_space:  global
        .offset:         56
        .size:           8
        .value_kind:     global_buffer
      - .offset:         64
        .size:           8
        .value_kind:     by_value
      - .offset:         72
        .size:           8
        .value_kind:     by_value
      - .offset:         80
        .size:           2
        .value_kind:     by_value
      - .address_space:  global
        .offset:         88
        .size:           8
        .value_kind:     global_buffer
      - .offset:         96
        .size:           8
        .value_kind:     by_value
      - .offset:         104
        .size:           8
        .value_kind:     by_value
      - .address_space:  global
        .offset:         112
        .size:           8
        .value_kind:     global_buffer
      - .offset:         120
        .size:           8
        .value_kind:     by_value
      - .offset:         128
        .size:           8
        .value_kind:     by_value
      - .offset:         136
        .size:           4
        .value_kind:     by_value
    .group_segment_fixed_size: 1024
    .kernarg_segment_align: 8
    .kernarg_segment_size: 140
    .language:       OpenCL C
    .language_version:
      - 2
      - 0
    .max_flat_workgroup_size: 256
    .name:           _ZN12_GLOBAL__N_135rocblas_gemm_batched_general_kernelIDF16_Li16ELi16ELi32ELi32ELi8ELi32ELi8ELi8ELi32ELc78ELc67EKDF16_S1_DF16_EEvlllT_PT11_llS4_llS2_PT12_llPT13_lli
    .private_segment_fixed_size: 0
    .sgpr_count:     44
    .sgpr_spill_count: 0
    .symbol:         _ZN12_GLOBAL__N_135rocblas_gemm_batched_general_kernelIDF16_Li16ELi16ELi32ELi32ELi8ELi32ELi8ELi8ELi32ELc78ELc67EKDF16_S1_DF16_EEvlllT_PT11_llS4_llS2_PT12_llPT13_lli.kd
    .uniform_work_group_size: 1
    .uses_dynamic_stack: false
    .vgpr_count:     44
    .vgpr_spill_count: 0
    .wavefront_size: 64
  - .agpr_count:     0
    .args:
      - .offset:         0
        .size:           8
        .value_kind:     by_value
      - .offset:         8
        .size:           8
        .value_kind:     by_value
      - .offset:         16
        .size:           8
        .value_kind:     by_value
      - .offset:         24
        .size:           2
        .value_kind:     by_value
      - .address_space:  global
        .offset:         32
        .size:           8
        .value_kind:     global_buffer
      - .offset:         40
        .size:           8
        .value_kind:     by_value
      - .offset:         48
        .size:           8
        .value_kind:     by_value
      - .address_space:  global
        .offset:         56
        .size:           8
        .value_kind:     global_buffer
      - .offset:         64
        .size:           8
        .value_kind:     by_value
      - .offset:         72
        .size:           8
        .value_kind:     by_value
      - .offset:         80
        .size:           2
        .value_kind:     by_value
      - .address_space:  global
        .offset:         88
        .size:           8
        .value_kind:     global_buffer
      - .offset:         96
        .size:           8
        .value_kind:     by_value
      - .offset:         104
        .size:           8
        .value_kind:     by_value
      - .address_space:  global
        .offset:         112
        .size:           8
        .value_kind:     global_buffer
      - .offset:         120
        .size:           8
        .value_kind:     by_value
      - .offset:         128
        .size:           8
        .value_kind:     by_value
      - .offset:         136
        .size:           4
        .value_kind:     by_value
    .group_segment_fixed_size: 1024
    .kernarg_segment_align: 8
    .kernarg_segment_size: 140
    .language:       OpenCL C
    .language_version:
      - 2
      - 0
    .max_flat_workgroup_size: 256
    .name:           _ZN12_GLOBAL__N_135rocblas_gemm_batched_general_kernelIDF16_Li16ELi16ELi32ELi32ELi8ELi32ELi8ELi8ELi32ELc84ELc67EKDF16_S1_DF16_EEvlllT_PT11_llS4_llS2_PT12_llPT13_lli
    .private_segment_fixed_size: 0
    .sgpr_count:     42
    .sgpr_spill_count: 0
    .symbol:         _ZN12_GLOBAL__N_135rocblas_gemm_batched_general_kernelIDF16_Li16ELi16ELi32ELi32ELi8ELi32ELi8ELi8ELi32ELc84ELc67EKDF16_S1_DF16_EEvlllT_PT11_llS4_llS2_PT12_llPT13_lli.kd
    .uniform_work_group_size: 1
    .uses_dynamic_stack: false
    .vgpr_count:     44
    .vgpr_spill_count: 0
    .wavefront_size: 64
  - .agpr_count:     0
    .args:
      - .offset:         0
        .size:           4
        .value_kind:     by_value
      - .offset:         4
        .size:           4
        .value_kind:     by_value
      - .offset:         8
        .size:           4
        .value_kind:     by_value
      - .address_space:  global
        .offset:         16
        .size:           8
        .value_kind:     global_buffer
      - .offset:         24
        .size:           8
        .value_kind:     by_value
      - .offset:         32
        .size:           8
        .value_kind:     by_value
      - .offset:         40
        .size:           8
        .value_kind:     by_value
      - .offset:         48
        .size:           4
        .value_kind:     by_value
    .group_segment_fixed_size: 0
    .kernarg_segment_align: 8
    .kernarg_segment_size: 52
    .language:       OpenCL C
    .language_version:
      - 2
      - 0
    .max_flat_workgroup_size: 1024
    .name:           _ZN12_GLOBAL__N_125rocblas_gemm_scale_kernelILi32ELi32EfPfEEviiT1_T2_llli
    .private_segment_fixed_size: 0
    .sgpr_count:     26
    .sgpr_spill_count: 0
    .symbol:         _ZN12_GLOBAL__N_125rocblas_gemm_scale_kernelILi32ELi32EfPfEEviiT1_T2_llli.kd
    .uniform_work_group_size: 1
    .uses_dynamic_stack: false
    .vgpr_count:     8
    .vgpr_spill_count: 0
    .wavefront_size: 64
  - .agpr_count:     0
    .args:
      - .offset:         0
        .size:           4
        .value_kind:     by_value
      - .offset:         4
        .size:           4
        .value_kind:     by_value
      - .offset:         8
        .size:           4
        .value_kind:     by_value
      - .address_space:  global
        .offset:         16
        .size:           8
        .value_kind:     global_buffer
      - .offset:         24
        .size:           8
        .value_kind:     by_value
      - .offset:         32
        .size:           8
        .value_kind:     by_value
      - .offset:         40
        .size:           8
        .value_kind:     by_value
      - .address_space:  global
        .offset:         48
        .size:           8
        .value_kind:     global_buffer
      - .offset:         56
        .size:           8
        .value_kind:     by_value
      - .offset:         64
        .size:           8
        .value_kind:     by_value
      - .offset:         72
        .size:           8
        .value_kind:     by_value
      - .offset:         80
        .size:           4
        .value_kind:     by_value
    .group_segment_fixed_size: 0
    .kernarg_segment_align: 8
    .kernarg_segment_size: 84
    .language:       OpenCL C
    .language_version:
      - 2
      - 0
    .max_flat_workgroup_size: 1024
    .name:           _ZN12_GLOBAL__N_120gemm_ex_scale_kernelILi32ELi32EfPKfPfEEviiT1_T2_lllT3_llli
    .private_segment_fixed_size: 0
    .sgpr_count:     34
    .sgpr_spill_count: 0
    .symbol:         _ZN12_GLOBAL__N_120gemm_ex_scale_kernelILi32ELi32EfPKfPfEEviiT1_T2_lllT3_llli.kd
    .uniform_work_group_size: 1
    .uses_dynamic_stack: false
    .vgpr_count:     10
    .vgpr_spill_count: 0
    .wavefront_size: 64
  - .agpr_count:     0
    .args:
      - .offset:         0
        .size:           8
        .value_kind:     by_value
      - .offset:         8
        .size:           8
        .value_kind:     by_value
      - .offset:         16
        .size:           8
        .value_kind:     by_value
      - .offset:         24
        .size:           4
        .value_kind:     by_value
      - .address_space:  global
        .offset:         32
        .size:           8
        .value_kind:     global_buffer
      - .offset:         40
        .size:           8
        .value_kind:     by_value
      - .offset:         48
        .size:           8
        .value_kind:     by_value
      - .address_space:  global
        .offset:         56
        .size:           8
        .value_kind:     global_buffer
      - .offset:         64
        .size:           8
        .value_kind:     by_value
      - .offset:         72
        .size:           8
        .value_kind:     by_value
      - .offset:         80
        .size:           4
        .value_kind:     by_value
      - .address_space:  global
        .offset:         88
        .size:           8
        .value_kind:     global_buffer
      - .offset:         96
        .size:           8
        .value_kind:     by_value
      - .offset:         104
        .size:           8
        .value_kind:     by_value
      - .address_space:  global
        .offset:         112
        .size:           8
        .value_kind:     global_buffer
      - .offset:         120
        .size:           8
        .value_kind:     by_value
      - .offset:         128
        .size:           8
        .value_kind:     by_value
      - .offset:         136
        .size:           4
        .value_kind:     by_value
    .group_segment_fixed_size: 2048
    .kernarg_segment_align: 8
    .kernarg_segment_size: 140
    .language:       OpenCL C
    .language_version:
      - 2
      - 0
    .max_flat_workgroup_size: 256
    .name:           _ZN12_GLOBAL__N_127rocblas_gemm_batched_kernelIfLi16ELi16ELi64ELi64ELi4ELi64ELi4ELi4ELi64ELc78ELc78EKfS1_fEEvlllT_PT11_llS4_llS2_PT12_llPT13_lli
    .private_segment_fixed_size: 0
    .sgpr_count:     30
    .sgpr_spill_count: 0
    .symbol:         _ZN12_GLOBAL__N_127rocblas_gemm_batched_kernelIfLi16ELi16ELi64ELi64ELi4ELi64ELi4ELi4ELi64ELc78ELc78EKfS1_fEEvlllT_PT11_llS4_llS2_PT12_llPT13_lli.kd
    .uniform_work_group_size: 1
    .uses_dynamic_stack: false
    .vgpr_count:     66
    .vgpr_spill_count: 0
    .wavefront_size: 64
  - .agpr_count:     0
    .args:
      - .offset:         0
        .size:           8
        .value_kind:     by_value
      - .offset:         8
        .size:           8
        .value_kind:     by_value
      - .offset:         16
        .size:           8
        .value_kind:     by_value
      - .offset:         24
        .size:           4
        .value_kind:     by_value
      - .address_space:  global
        .offset:         32
        .size:           8
        .value_kind:     global_buffer
      - .offset:         40
        .size:           8
        .value_kind:     by_value
      - .offset:         48
        .size:           8
        .value_kind:     by_value
      - .address_space:  global
        .offset:         56
        .size:           8
        .value_kind:     global_buffer
      - .offset:         64
        .size:           8
        .value_kind:     by_value
      - .offset:         72
        .size:           8
        .value_kind:     by_value
      - .offset:         80
        .size:           4
        .value_kind:     by_value
      - .address_space:  global
        .offset:         88
        .size:           8
        .value_kind:     global_buffer
      - .offset:         96
        .size:           8
        .value_kind:     by_value
      - .offset:         104
        .size:           8
        .value_kind:     by_value
      - .address_space:  global
        .offset:         112
        .size:           8
        .value_kind:     global_buffer
      - .offset:         120
        .size:           8
        .value_kind:     by_value
      - .offset:         128
        .size:           8
        .value_kind:     by_value
      - .offset:         136
        .size:           4
        .value_kind:     by_value
    .group_segment_fixed_size: 2048
    .kernarg_segment_align: 8
    .kernarg_segment_size: 140
    .language:       OpenCL C
    .language_version:
      - 2
      - 0
    .max_flat_workgroup_size: 256
    .name:           _ZN12_GLOBAL__N_127rocblas_gemm_batched_kernelIfLi16ELi16ELi64ELi64ELi4ELi64ELi4ELi4ELi64ELc84ELc78EKfS1_fEEvlllT_PT11_llS4_llS2_PT12_llPT13_lli
    .private_segment_fixed_size: 0
    .sgpr_count:     30
    .sgpr_spill_count: 0
    .symbol:         _ZN12_GLOBAL__N_127rocblas_gemm_batched_kernelIfLi16ELi16ELi64ELi64ELi4ELi64ELi4ELi4ELi64ELc84ELc78EKfS1_fEEvlllT_PT11_llS4_llS2_PT12_llPT13_lli.kd
    .uniform_work_group_size: 1
    .uses_dynamic_stack: false
    .vgpr_count:     66
    .vgpr_spill_count: 0
    .wavefront_size: 64
  - .agpr_count:     0
    .args:
      - .offset:         0
        .size:           8
        .value_kind:     by_value
      - .offset:         8
        .size:           8
        .value_kind:     by_value
      - .offset:         16
        .size:           8
        .value_kind:     by_value
      - .offset:         24
        .size:           4
        .value_kind:     by_value
      - .address_space:  global
        .offset:         32
        .size:           8
        .value_kind:     global_buffer
      - .offset:         40
        .size:           8
        .value_kind:     by_value
      - .offset:         48
        .size:           8
        .value_kind:     by_value
      - .address_space:  global
        .offset:         56
        .size:           8
        .value_kind:     global_buffer
      - .offset:         64
        .size:           8
        .value_kind:     by_value
      - .offset:         72
        .size:           8
        .value_kind:     by_value
      - .offset:         80
        .size:           4
        .value_kind:     by_value
      - .address_space:  global
        .offset:         88
        .size:           8
        .value_kind:     global_buffer
      - .offset:         96
        .size:           8
        .value_kind:     by_value
      - .offset:         104
        .size:           8
        .value_kind:     by_value
      - .address_space:  global
        .offset:         112
        .size:           8
        .value_kind:     global_buffer
      - .offset:         120
        .size:           8
        .value_kind:     by_value
      - .offset:         128
        .size:           8
        .value_kind:     by_value
      - .offset:         136
        .size:           4
        .value_kind:     by_value
    .group_segment_fixed_size: 2048
    .kernarg_segment_align: 8
    .kernarg_segment_size: 140
    .language:       OpenCL C
    .language_version:
      - 2
      - 0
    .max_flat_workgroup_size: 256
    .name:           _ZN12_GLOBAL__N_127rocblas_gemm_batched_kernelIfLi16ELi16ELi64ELi64ELi4ELi64ELi4ELi4ELi64ELc78ELc84EKfS1_fEEvlllT_PT11_llS4_llS2_PT12_llPT13_lli
    .private_segment_fixed_size: 0
    .sgpr_count:     30
    .sgpr_spill_count: 0
    .symbol:         _ZN12_GLOBAL__N_127rocblas_gemm_batched_kernelIfLi16ELi16ELi64ELi64ELi4ELi64ELi4ELi4ELi64ELc78ELc84EKfS1_fEEvlllT_PT11_llS4_llS2_PT12_llPT13_lli.kd
    .uniform_work_group_size: 1
    .uses_dynamic_stack: false
    .vgpr_count:     66
    .vgpr_spill_count: 0
    .wavefront_size: 64
  - .agpr_count:     0
    .args:
      - .offset:         0
        .size:           8
        .value_kind:     by_value
      - .offset:         8
        .size:           8
        .value_kind:     by_value
      - .offset:         16
        .size:           8
        .value_kind:     by_value
      - .offset:         24
        .size:           4
        .value_kind:     by_value
      - .address_space:  global
        .offset:         32
        .size:           8
        .value_kind:     global_buffer
      - .offset:         40
        .size:           8
        .value_kind:     by_value
      - .offset:         48
        .size:           8
        .value_kind:     by_value
      - .address_space:  global
        .offset:         56
        .size:           8
        .value_kind:     global_buffer
      - .offset:         64
        .size:           8
        .value_kind:     by_value
      - .offset:         72
        .size:           8
        .value_kind:     by_value
      - .offset:         80
        .size:           4
        .value_kind:     by_value
      - .address_space:  global
        .offset:         88
        .size:           8
        .value_kind:     global_buffer
      - .offset:         96
        .size:           8
        .value_kind:     by_value
      - .offset:         104
        .size:           8
        .value_kind:     by_value
      - .address_space:  global
        .offset:         112
        .size:           8
        .value_kind:     global_buffer
      - .offset:         120
        .size:           8
        .value_kind:     by_value
      - .offset:         128
        .size:           8
        .value_kind:     by_value
      - .offset:         136
        .size:           4
        .value_kind:     by_value
    .group_segment_fixed_size: 2048
    .kernarg_segment_align: 8
    .kernarg_segment_size: 140
    .language:       OpenCL C
    .language_version:
      - 2
      - 0
    .max_flat_workgroup_size: 256
    .name:           _ZN12_GLOBAL__N_127rocblas_gemm_batched_kernelIfLi16ELi16ELi64ELi64ELi4ELi64ELi4ELi4ELi64ELc84ELc84EKfS1_fEEvlllT_PT11_llS4_llS2_PT12_llPT13_lli
    .private_segment_fixed_size: 0
    .sgpr_count:     30
    .sgpr_spill_count: 0
    .symbol:         _ZN12_GLOBAL__N_127rocblas_gemm_batched_kernelIfLi16ELi16ELi64ELi64ELi4ELi64ELi4ELi4ELi64ELc84ELc84EKfS1_fEEvlllT_PT11_llS4_llS2_PT12_llPT13_lli.kd
    .uniform_work_group_size: 1
    .uses_dynamic_stack: false
    .vgpr_count:     66
    .vgpr_spill_count: 0
    .wavefront_size: 64
  - .agpr_count:     0
    .args:
      - .offset:         0
        .size:           8
        .value_kind:     by_value
      - .offset:         8
        .size:           8
        .value_kind:     by_value
      - .offset:         16
        .size:           8
        .value_kind:     by_value
      - .offset:         24
        .size:           4
        .value_kind:     by_value
      - .address_space:  global
        .offset:         32
        .size:           8
        .value_kind:     global_buffer
      - .offset:         40
        .size:           8
        .value_kind:     by_value
      - .offset:         48
        .size:           8
        .value_kind:     by_value
      - .address_space:  global
        .offset:         56
        .size:           8
        .value_kind:     global_buffer
      - .offset:         64
        .size:           8
        .value_kind:     by_value
      - .offset:         72
        .size:           8
        .value_kind:     by_value
      - .offset:         80
        .size:           4
        .value_kind:     by_value
      - .address_space:  global
        .offset:         88
        .size:           8
        .value_kind:     global_buffer
      - .offset:         96
        .size:           8
        .value_kind:     by_value
      - .offset:         104
        .size:           8
        .value_kind:     by_value
      - .address_space:  global
        .offset:         112
        .size:           8
        .value_kind:     global_buffer
      - .offset:         120
        .size:           8
        .value_kind:     by_value
      - .offset:         128
        .size:           8
        .value_kind:     by_value
      - .offset:         136
        .size:           4
        .value_kind:     by_value
    .group_segment_fixed_size: 2048
    .kernarg_segment_align: 8
    .kernarg_segment_size: 140
    .language:       OpenCL C
    .language_version:
      - 2
      - 0
    .max_flat_workgroup_size: 256
    .name:           _ZN12_GLOBAL__N_127rocblas_gemm_batched_kernelIfLi16ELi16ELi64ELi64ELi4ELi64ELi4ELi4ELi64ELc67ELc67EKfS1_fEEvlllT_PT11_llS4_llS2_PT12_llPT13_lli
    .private_segment_fixed_size: 0
    .sgpr_count:     30
    .sgpr_spill_count: 0
    .symbol:         _ZN12_GLOBAL__N_127rocblas_gemm_batched_kernelIfLi16ELi16ELi64ELi64ELi4ELi64ELi4ELi4ELi64ELc67ELc67EKfS1_fEEvlllT_PT11_llS4_llS2_PT12_llPT13_lli.kd
    .uniform_work_group_size: 1
    .uses_dynamic_stack: false
    .vgpr_count:     66
    .vgpr_spill_count: 0
    .wavefront_size: 64
  - .agpr_count:     0
    .args:
      - .offset:         0
        .size:           8
        .value_kind:     by_value
      - .offset:         8
        .size:           8
        .value_kind:     by_value
      - .offset:         16
        .size:           8
        .value_kind:     by_value
      - .offset:         24
        .size:           4
        .value_kind:     by_value
      - .address_space:  global
        .offset:         32
        .size:           8
        .value_kind:     global_buffer
      - .offset:         40
        .size:           8
        .value_kind:     by_value
      - .offset:         48
        .size:           8
        .value_kind:     by_value
      - .address_space:  global
        .offset:         56
        .size:           8
        .value_kind:     global_buffer
      - .offset:         64
        .size:           8
        .value_kind:     by_value
      - .offset:         72
        .size:           8
        .value_kind:     by_value
      - .offset:         80
        .size:           4
        .value_kind:     by_value
      - .address_space:  global
        .offset:         88
        .size:           8
        .value_kind:     global_buffer
      - .offset:         96
        .size:           8
        .value_kind:     by_value
      - .offset:         104
        .size:           8
        .value_kind:     by_value
      - .address_space:  global
        .offset:         112
        .size:           8
        .value_kind:     global_buffer
      - .offset:         120
        .size:           8
        .value_kind:     by_value
      - .offset:         128
        .size:           8
        .value_kind:     by_value
      - .offset:         136
        .size:           4
        .value_kind:     by_value
    .group_segment_fixed_size: 2048
    .kernarg_segment_align: 8
    .kernarg_segment_size: 140
    .language:       OpenCL C
    .language_version:
      - 2
      - 0
    .max_flat_workgroup_size: 256
    .name:           _ZN12_GLOBAL__N_127rocblas_gemm_batched_kernelIfLi16ELi16ELi64ELi64ELi4ELi64ELi4ELi4ELi64ELc67ELc78EKfS1_fEEvlllT_PT11_llS4_llS2_PT12_llPT13_lli
    .private_segment_fixed_size: 0
    .sgpr_count:     30
    .sgpr_spill_count: 0
    .symbol:         _ZN12_GLOBAL__N_127rocblas_gemm_batched_kernelIfLi16ELi16ELi64ELi64ELi4ELi64ELi4ELi4ELi64ELc67ELc78EKfS1_fEEvlllT_PT11_llS4_llS2_PT12_llPT13_lli.kd
    .uniform_work_group_size: 1
    .uses_dynamic_stack: false
    .vgpr_count:     66
    .vgpr_spill_count: 0
    .wavefront_size: 64
  - .agpr_count:     0
    .args:
      - .offset:         0
        .size:           8
        .value_kind:     by_value
      - .offset:         8
        .size:           8
        .value_kind:     by_value
      - .offset:         16
        .size:           8
        .value_kind:     by_value
      - .offset:         24
        .size:           4
        .value_kind:     by_value
      - .address_space:  global
        .offset:         32
        .size:           8
        .value_kind:     global_buffer
      - .offset:         40
        .size:           8
        .value_kind:     by_value
      - .offset:         48
        .size:           8
        .value_kind:     by_value
      - .address_space:  global
        .offset:         56
        .size:           8
        .value_kind:     global_buffer
      - .offset:         64
        .size:           8
        .value_kind:     by_value
      - .offset:         72
        .size:           8
        .value_kind:     by_value
      - .offset:         80
        .size:           4
        .value_kind:     by_value
      - .address_space:  global
        .offset:         88
        .size:           8
        .value_kind:     global_buffer
      - .offset:         96
        .size:           8
        .value_kind:     by_value
      - .offset:         104
        .size:           8
        .value_kind:     by_value
      - .address_space:  global
        .offset:         112
        .size:           8
        .value_kind:     global_buffer
      - .offset:         120
        .size:           8
        .value_kind:     by_value
      - .offset:         128
        .size:           8
        .value_kind:     by_value
      - .offset:         136
        .size:           4
        .value_kind:     by_value
    .group_segment_fixed_size: 2048
    .kernarg_segment_align: 8
    .kernarg_segment_size: 140
    .language:       OpenCL C
    .language_version:
      - 2
      - 0
    .max_flat_workgroup_size: 256
    .name:           _ZN12_GLOBAL__N_127rocblas_gemm_batched_kernelIfLi16ELi16ELi64ELi64ELi4ELi64ELi4ELi4ELi64ELc67ELc84EKfS1_fEEvlllT_PT11_llS4_llS2_PT12_llPT13_lli
    .private_segment_fixed_size: 0
    .sgpr_count:     30
    .sgpr_spill_count: 0
    .symbol:         _ZN12_GLOBAL__N_127rocblas_gemm_batched_kernelIfLi16ELi16ELi64ELi64ELi4ELi64ELi4ELi4ELi64ELc67ELc84EKfS1_fEEvlllT_PT11_llS4_llS2_PT12_llPT13_lli.kd
    .uniform_work_group_size: 1
    .uses_dynamic_stack: false
    .vgpr_count:     66
    .vgpr_spill_count: 0
    .wavefront_size: 64
  - .agpr_count:     0
    .args:
      - .offset:         0
        .size:           8
        .value_kind:     by_value
      - .offset:         8
        .size:           8
        .value_kind:     by_value
      - .offset:         16
        .size:           8
        .value_kind:     by_value
      - .offset:         24
        .size:           4
        .value_kind:     by_value
      - .address_space:  global
        .offset:         32
        .size:           8
        .value_kind:     global_buffer
      - .offset:         40
        .size:           8
        .value_kind:     by_value
      - .offset:         48
        .size:           8
        .value_kind:     by_value
      - .address_space:  global
        .offset:         56
        .size:           8
        .value_kind:     global_buffer
      - .offset:         64
        .size:           8
        .value_kind:     by_value
      - .offset:         72
        .size:           8
        .value_kind:     by_value
      - .offset:         80
        .size:           4
        .value_kind:     by_value
      - .address_space:  global
        .offset:         88
        .size:           8
        .value_kind:     global_buffer
      - .offset:         96
        .size:           8
        .value_kind:     by_value
      - .offset:         104
        .size:           8
        .value_kind:     by_value
      - .address_space:  global
        .offset:         112
        .size:           8
        .value_kind:     global_buffer
      - .offset:         120
        .size:           8
        .value_kind:     by_value
      - .offset:         128
        .size:           8
        .value_kind:     by_value
      - .offset:         136
        .size:           4
        .value_kind:     by_value
    .group_segment_fixed_size: 2048
    .kernarg_segment_align: 8
    .kernarg_segment_size: 140
    .language:       OpenCL C
    .language_version:
      - 2
      - 0
    .max_flat_workgroup_size: 256
    .name:           _ZN12_GLOBAL__N_127rocblas_gemm_batched_kernelIfLi16ELi16ELi64ELi64ELi4ELi64ELi4ELi4ELi64ELc78ELc67EKfS1_fEEvlllT_PT11_llS4_llS2_PT12_llPT13_lli
    .private_segment_fixed_size: 0
    .sgpr_count:     30
    .sgpr_spill_count: 0
    .symbol:         _ZN12_GLOBAL__N_127rocblas_gemm_batched_kernelIfLi16ELi16ELi64ELi64ELi4ELi64ELi4ELi4ELi64ELc78ELc67EKfS1_fEEvlllT_PT11_llS4_llS2_PT12_llPT13_lli.kd
    .uniform_work_group_size: 1
    .uses_dynamic_stack: false
    .vgpr_count:     66
    .vgpr_spill_count: 0
    .wavefront_size: 64
  - .agpr_count:     0
    .args:
      - .offset:         0
        .size:           8
        .value_kind:     by_value
      - .offset:         8
        .size:           8
        .value_kind:     by_value
      - .offset:         16
        .size:           8
        .value_kind:     by_value
      - .offset:         24
        .size:           4
        .value_kind:     by_value
      - .address_space:  global
        .offset:         32
        .size:           8
        .value_kind:     global_buffer
      - .offset:         40
        .size:           8
        .value_kind:     by_value
      - .offset:         48
        .size:           8
        .value_kind:     by_value
      - .address_space:  global
        .offset:         56
        .size:           8
        .value_kind:     global_buffer
      - .offset:         64
        .size:           8
        .value_kind:     by_value
      - .offset:         72
        .size:           8
        .value_kind:     by_value
      - .offset:         80
        .size:           4
        .value_kind:     by_value
      - .address_space:  global
        .offset:         88
        .size:           8
        .value_kind:     global_buffer
      - .offset:         96
        .size:           8
        .value_kind:     by_value
      - .offset:         104
        .size:           8
        .value_kind:     by_value
      - .address_space:  global
        .offset:         112
        .size:           8
        .value_kind:     global_buffer
      - .offset:         120
        .size:           8
        .value_kind:     by_value
      - .offset:         128
        .size:           8
        .value_kind:     by_value
      - .offset:         136
        .size:           4
        .value_kind:     by_value
    .group_segment_fixed_size: 2048
    .kernarg_segment_align: 8
    .kernarg_segment_size: 140
    .language:       OpenCL C
    .language_version:
      - 2
      - 0
    .max_flat_workgroup_size: 256
    .name:           _ZN12_GLOBAL__N_127rocblas_gemm_batched_kernelIfLi16ELi16ELi64ELi64ELi4ELi64ELi4ELi4ELi64ELc84ELc67EKfS1_fEEvlllT_PT11_llS4_llS2_PT12_llPT13_lli
    .private_segment_fixed_size: 0
    .sgpr_count:     30
    .sgpr_spill_count: 0
    .symbol:         _ZN12_GLOBAL__N_127rocblas_gemm_batched_kernelIfLi16ELi16ELi64ELi64ELi4ELi64ELi4ELi4ELi64ELc84ELc67EKfS1_fEEvlllT_PT11_llS4_llS2_PT12_llPT13_lli.kd
    .uniform_work_group_size: 1
    .uses_dynamic_stack: false
    .vgpr_count:     66
    .vgpr_spill_count: 0
    .wavefront_size: 64
  - .agpr_count:     0
    .args:
      - .offset:         0
        .size:           8
        .value_kind:     by_value
      - .offset:         8
        .size:           8
        .value_kind:     by_value
      - .offset:         16
        .size:           8
        .value_kind:     by_value
      - .offset:         24
        .size:           4
        .value_kind:     by_value
      - .address_space:  global
        .offset:         32
        .size:           8
        .value_kind:     global_buffer
      - .offset:         40
        .size:           8
        .value_kind:     by_value
      - .offset:         48
        .size:           8
        .value_kind:     by_value
      - .address_space:  global
        .offset:         56
        .size:           8
        .value_kind:     global_buffer
      - .offset:         64
        .size:           8
        .value_kind:     by_value
      - .offset:         72
        .size:           8
        .value_kind:     by_value
      - .offset:         80
        .size:           4
        .value_kind:     by_value
      - .address_space:  global
        .offset:         88
        .size:           8
        .value_kind:     global_buffer
      - .offset:         96
        .size:           8
        .value_kind:     by_value
      - .offset:         104
        .size:           8
        .value_kind:     by_value
      - .address_space:  global
        .offset:         112
        .size:           8
        .value_kind:     global_buffer
      - .offset:         120
        .size:           8
        .value_kind:     by_value
      - .offset:         128
        .size:           8
        .value_kind:     by_value
      - .offset:         136
        .size:           4
        .value_kind:     by_value
    .group_segment_fixed_size: 2048
    .kernarg_segment_align: 8
    .kernarg_segment_size: 140
    .language:       OpenCL C
    .language_version:
      - 2
      - 0
    .max_flat_workgroup_size: 256
    .name:           _ZN12_GLOBAL__N_127rocblas_gemm_batched_kernelIfLi16ELi16ELi32ELi32ELi8ELi32ELi8ELi8ELi32ELc78ELc78EKfS1_fEEvlllT_PT11_llS4_llS2_PT12_llPT13_lli
    .private_segment_fixed_size: 0
    .sgpr_count:     30
    .sgpr_spill_count: 0
    .symbol:         _ZN12_GLOBAL__N_127rocblas_gemm_batched_kernelIfLi16ELi16ELi32ELi32ELi8ELi32ELi8ELi8ELi32ELc78ELc78EKfS1_fEEvlllT_PT11_llS4_llS2_PT12_llPT13_lli.kd
    .uniform_work_group_size: 1
    .uses_dynamic_stack: false
    .vgpr_count:     52
    .vgpr_spill_count: 0
    .wavefront_size: 64
  - .agpr_count:     0
    .args:
      - .offset:         0
        .size:           8
        .value_kind:     by_value
      - .offset:         8
        .size:           8
        .value_kind:     by_value
      - .offset:         16
        .size:           8
        .value_kind:     by_value
      - .offset:         24
        .size:           4
        .value_kind:     by_value
      - .address_space:  global
        .offset:         32
        .size:           8
        .value_kind:     global_buffer
      - .offset:         40
        .size:           8
        .value_kind:     by_value
      - .offset:         48
        .size:           8
        .value_kind:     by_value
      - .address_space:  global
        .offset:         56
        .size:           8
        .value_kind:     global_buffer
      - .offset:         64
        .size:           8
        .value_kind:     by_value
      - .offset:         72
        .size:           8
        .value_kind:     by_value
      - .offset:         80
        .size:           4
        .value_kind:     by_value
      - .address_space:  global
        .offset:         88
        .size:           8
        .value_kind:     global_buffer
      - .offset:         96
        .size:           8
        .value_kind:     by_value
      - .offset:         104
        .size:           8
        .value_kind:     by_value
      - .address_space:  global
        .offset:         112
        .size:           8
        .value_kind:     global_buffer
      - .offset:         120
        .size:           8
        .value_kind:     by_value
      - .offset:         128
        .size:           8
        .value_kind:     by_value
      - .offset:         136
        .size:           4
        .value_kind:     by_value
    .group_segment_fixed_size: 2048
    .kernarg_segment_align: 8
    .kernarg_segment_size: 140
    .language:       OpenCL C
    .language_version:
      - 2
      - 0
    .max_flat_workgroup_size: 256
    .name:           _ZN12_GLOBAL__N_127rocblas_gemm_batched_kernelIfLi16ELi16ELi32ELi32ELi8ELi32ELi8ELi8ELi32ELc84ELc78EKfS1_fEEvlllT_PT11_llS4_llS2_PT12_llPT13_lli
    .private_segment_fixed_size: 0
    .sgpr_count:     30
    .sgpr_spill_count: 0
    .symbol:         _ZN12_GLOBAL__N_127rocblas_gemm_batched_kernelIfLi16ELi16ELi32ELi32ELi8ELi32ELi8ELi8ELi32ELc84ELc78EKfS1_fEEvlllT_PT11_llS4_llS2_PT12_llPT13_lli.kd
    .uniform_work_group_size: 1
    .uses_dynamic_stack: false
    .vgpr_count:     52
    .vgpr_spill_count: 0
    .wavefront_size: 64
  - .agpr_count:     0
    .args:
      - .offset:         0
        .size:           8
        .value_kind:     by_value
      - .offset:         8
        .size:           8
        .value_kind:     by_value
      - .offset:         16
        .size:           8
        .value_kind:     by_value
      - .offset:         24
        .size:           4
        .value_kind:     by_value
      - .address_space:  global
        .offset:         32
        .size:           8
        .value_kind:     global_buffer
      - .offset:         40
        .size:           8
        .value_kind:     by_value
      - .offset:         48
        .size:           8
        .value_kind:     by_value
      - .address_space:  global
        .offset:         56
        .size:           8
        .value_kind:     global_buffer
      - .offset:         64
        .size:           8
        .value_kind:     by_value
      - .offset:         72
        .size:           8
        .value_kind:     by_value
      - .offset:         80
        .size:           4
        .value_kind:     by_value
      - .address_space:  global
        .offset:         88
        .size:           8
        .value_kind:     global_buffer
      - .offset:         96
        .size:           8
        .value_kind:     by_value
      - .offset:         104
        .size:           8
        .value_kind:     by_value
      - .address_space:  global
        .offset:         112
        .size:           8
        .value_kind:     global_buffer
      - .offset:         120
        .size:           8
        .value_kind:     by_value
      - .offset:         128
        .size:           8
        .value_kind:     by_value
      - .offset:         136
        .size:           4
        .value_kind:     by_value
    .group_segment_fixed_size: 2048
    .kernarg_segment_align: 8
    .kernarg_segment_size: 140
    .language:       OpenCL C
    .language_version:
      - 2
      - 0
    .max_flat_workgroup_size: 256
    .name:           _ZN12_GLOBAL__N_127rocblas_gemm_batched_kernelIfLi16ELi16ELi32ELi32ELi8ELi32ELi8ELi8ELi32ELc78ELc84EKfS1_fEEvlllT_PT11_llS4_llS2_PT12_llPT13_lli
    .private_segment_fixed_size: 0
    .sgpr_count:     30
    .sgpr_spill_count: 0
    .symbol:         _ZN12_GLOBAL__N_127rocblas_gemm_batched_kernelIfLi16ELi16ELi32ELi32ELi8ELi32ELi8ELi8ELi32ELc78ELc84EKfS1_fEEvlllT_PT11_llS4_llS2_PT12_llPT13_lli.kd
    .uniform_work_group_size: 1
    .uses_dynamic_stack: false
    .vgpr_count:     52
    .vgpr_spill_count: 0
    .wavefront_size: 64
  - .agpr_count:     0
    .args:
      - .offset:         0
        .size:           8
        .value_kind:     by_value
      - .offset:         8
        .size:           8
        .value_kind:     by_value
      - .offset:         16
        .size:           8
        .value_kind:     by_value
      - .offset:         24
        .size:           4
        .value_kind:     by_value
      - .address_space:  global
        .offset:         32
        .size:           8
        .value_kind:     global_buffer
      - .offset:         40
        .size:           8
        .value_kind:     by_value
      - .offset:         48
        .size:           8
        .value_kind:     by_value
      - .address_space:  global
        .offset:         56
        .size:           8
        .value_kind:     global_buffer
      - .offset:         64
        .size:           8
        .value_kind:     by_value
      - .offset:         72
        .size:           8
        .value_kind:     by_value
      - .offset:         80
        .size:           4
        .value_kind:     by_value
      - .address_space:  global
        .offset:         88
        .size:           8
        .value_kind:     global_buffer
      - .offset:         96
        .size:           8
        .value_kind:     by_value
      - .offset:         104
        .size:           8
        .value_kind:     by_value
      - .address_space:  global
        .offset:         112
        .size:           8
        .value_kind:     global_buffer
      - .offset:         120
        .size:           8
        .value_kind:     by_value
      - .offset:         128
        .size:           8
        .value_kind:     by_value
      - .offset:         136
        .size:           4
        .value_kind:     by_value
    .group_segment_fixed_size: 2048
    .kernarg_segment_align: 8
    .kernarg_segment_size: 140
    .language:       OpenCL C
    .language_version:
      - 2
      - 0
    .max_flat_workgroup_size: 256
    .name:           _ZN12_GLOBAL__N_127rocblas_gemm_batched_kernelIfLi16ELi16ELi32ELi32ELi8ELi32ELi8ELi8ELi32ELc84ELc84EKfS1_fEEvlllT_PT11_llS4_llS2_PT12_llPT13_lli
    .private_segment_fixed_size: 0
    .sgpr_count:     30
    .sgpr_spill_count: 0
    .symbol:         _ZN12_GLOBAL__N_127rocblas_gemm_batched_kernelIfLi16ELi16ELi32ELi32ELi8ELi32ELi8ELi8ELi32ELc84ELc84EKfS1_fEEvlllT_PT11_llS4_llS2_PT12_llPT13_lli.kd
    .uniform_work_group_size: 1
    .uses_dynamic_stack: false
    .vgpr_count:     52
    .vgpr_spill_count: 0
    .wavefront_size: 64
  - .agpr_count:     0
    .args:
      - .offset:         0
        .size:           8
        .value_kind:     by_value
      - .offset:         8
        .size:           8
        .value_kind:     by_value
      - .offset:         16
        .size:           8
        .value_kind:     by_value
      - .offset:         24
        .size:           4
        .value_kind:     by_value
      - .address_space:  global
        .offset:         32
        .size:           8
        .value_kind:     global_buffer
      - .offset:         40
        .size:           8
        .value_kind:     by_value
      - .offset:         48
        .size:           8
        .value_kind:     by_value
      - .address_space:  global
        .offset:         56
        .size:           8
        .value_kind:     global_buffer
      - .offset:         64
        .size:           8
        .value_kind:     by_value
      - .offset:         72
        .size:           8
        .value_kind:     by_value
      - .offset:         80
        .size:           4
        .value_kind:     by_value
      - .address_space:  global
        .offset:         88
        .size:           8
        .value_kind:     global_buffer
      - .offset:         96
        .size:           8
        .value_kind:     by_value
      - .offset:         104
        .size:           8
        .value_kind:     by_value
      - .address_space:  global
        .offset:         112
        .size:           8
        .value_kind:     global_buffer
      - .offset:         120
        .size:           8
        .value_kind:     by_value
      - .offset:         128
        .size:           8
        .value_kind:     by_value
      - .offset:         136
        .size:           4
        .value_kind:     by_value
    .group_segment_fixed_size: 2048
    .kernarg_segment_align: 8
    .kernarg_segment_size: 140
    .language:       OpenCL C
    .language_version:
      - 2
      - 0
    .max_flat_workgroup_size: 256
    .name:           _ZN12_GLOBAL__N_127rocblas_gemm_batched_kernelIfLi16ELi16ELi32ELi32ELi8ELi32ELi8ELi8ELi32ELc67ELc67EKfS1_fEEvlllT_PT11_llS4_llS2_PT12_llPT13_lli
    .private_segment_fixed_size: 0
    .sgpr_count:     30
    .sgpr_spill_count: 0
    .symbol:         _ZN12_GLOBAL__N_127rocblas_gemm_batched_kernelIfLi16ELi16ELi32ELi32ELi8ELi32ELi8ELi8ELi32ELc67ELc67EKfS1_fEEvlllT_PT11_llS4_llS2_PT12_llPT13_lli.kd
    .uniform_work_group_size: 1
    .uses_dynamic_stack: false
    .vgpr_count:     52
    .vgpr_spill_count: 0
    .wavefront_size: 64
  - .agpr_count:     0
    .args:
      - .offset:         0
        .size:           8
        .value_kind:     by_value
      - .offset:         8
        .size:           8
        .value_kind:     by_value
      - .offset:         16
        .size:           8
        .value_kind:     by_value
      - .offset:         24
        .size:           4
        .value_kind:     by_value
      - .address_space:  global
        .offset:         32
        .size:           8
        .value_kind:     global_buffer
      - .offset:         40
        .size:           8
        .value_kind:     by_value
      - .offset:         48
        .size:           8
        .value_kind:     by_value
      - .address_space:  global
        .offset:         56
        .size:           8
        .value_kind:     global_buffer
      - .offset:         64
        .size:           8
        .value_kind:     by_value
      - .offset:         72
        .size:           8
        .value_kind:     by_value
      - .offset:         80
        .size:           4
        .value_kind:     by_value
      - .address_space:  global
        .offset:         88
        .size:           8
        .value_kind:     global_buffer
      - .offset:         96
        .size:           8
        .value_kind:     by_value
      - .offset:         104
        .size:           8
        .value_kind:     by_value
      - .address_space:  global
        .offset:         112
        .size:           8
        .value_kind:     global_buffer
      - .offset:         120
        .size:           8
        .value_kind:     by_value
      - .offset:         128
        .size:           8
        .value_kind:     by_value
      - .offset:         136
        .size:           4
        .value_kind:     by_value
    .group_segment_fixed_size: 2048
    .kernarg_segment_align: 8
    .kernarg_segment_size: 140
    .language:       OpenCL C
    .language_version:
      - 2
      - 0
    .max_flat_workgroup_size: 256
    .name:           _ZN12_GLOBAL__N_127rocblas_gemm_batched_kernelIfLi16ELi16ELi32ELi32ELi8ELi32ELi8ELi8ELi32ELc67ELc78EKfS1_fEEvlllT_PT11_llS4_llS2_PT12_llPT13_lli
    .private_segment_fixed_size: 0
    .sgpr_count:     30
    .sgpr_spill_count: 0
    .symbol:         _ZN12_GLOBAL__N_127rocblas_gemm_batched_kernelIfLi16ELi16ELi32ELi32ELi8ELi32ELi8ELi8ELi32ELc67ELc78EKfS1_fEEvlllT_PT11_llS4_llS2_PT12_llPT13_lli.kd
    .uniform_work_group_size: 1
    .uses_dynamic_stack: false
    .vgpr_count:     52
    .vgpr_spill_count: 0
    .wavefront_size: 64
  - .agpr_count:     0
    .args:
      - .offset:         0
        .size:           8
        .value_kind:     by_value
      - .offset:         8
        .size:           8
        .value_kind:     by_value
      - .offset:         16
        .size:           8
        .value_kind:     by_value
      - .offset:         24
        .size:           4
        .value_kind:     by_value
      - .address_space:  global
        .offset:         32
        .size:           8
        .value_kind:     global_buffer
      - .offset:         40
        .size:           8
        .value_kind:     by_value
      - .offset:         48
        .size:           8
        .value_kind:     by_value
      - .address_space:  global
        .offset:         56
        .size:           8
        .value_kind:     global_buffer
      - .offset:         64
        .size:           8
        .value_kind:     by_value
      - .offset:         72
        .size:           8
        .value_kind:     by_value
      - .offset:         80
        .size:           4
        .value_kind:     by_value
      - .address_space:  global
        .offset:         88
        .size:           8
        .value_kind:     global_buffer
      - .offset:         96
        .size:           8
        .value_kind:     by_value
      - .offset:         104
        .size:           8
        .value_kind:     by_value
      - .address_space:  global
        .offset:         112
        .size:           8
        .value_kind:     global_buffer
      - .offset:         120
        .size:           8
        .value_kind:     by_value
      - .offset:         128
        .size:           8
        .value_kind:     by_value
      - .offset:         136
        .size:           4
        .value_kind:     by_value
    .group_segment_fixed_size: 2048
    .kernarg_segment_align: 8
    .kernarg_segment_size: 140
    .language:       OpenCL C
    .language_version:
      - 2
      - 0
    .max_flat_workgroup_size: 256
    .name:           _ZN12_GLOBAL__N_127rocblas_gemm_batched_kernelIfLi16ELi16ELi32ELi32ELi8ELi32ELi8ELi8ELi32ELc67ELc84EKfS1_fEEvlllT_PT11_llS4_llS2_PT12_llPT13_lli
    .private_segment_fixed_size: 0
    .sgpr_count:     30
    .sgpr_spill_count: 0
    .symbol:         _ZN12_GLOBAL__N_127rocblas_gemm_batched_kernelIfLi16ELi16ELi32ELi32ELi8ELi32ELi8ELi8ELi32ELc67ELc84EKfS1_fEEvlllT_PT11_llS4_llS2_PT12_llPT13_lli.kd
    .uniform_work_group_size: 1
    .uses_dynamic_stack: false
    .vgpr_count:     52
    .vgpr_spill_count: 0
    .wavefront_size: 64
  - .agpr_count:     0
    .args:
      - .offset:         0
        .size:           8
        .value_kind:     by_value
      - .offset:         8
        .size:           8
        .value_kind:     by_value
      - .offset:         16
        .size:           8
        .value_kind:     by_value
      - .offset:         24
        .size:           4
        .value_kind:     by_value
      - .address_space:  global
        .offset:         32
        .size:           8
        .value_kind:     global_buffer
      - .offset:         40
        .size:           8
        .value_kind:     by_value
      - .offset:         48
        .size:           8
        .value_kind:     by_value
      - .address_space:  global
        .offset:         56
        .size:           8
        .value_kind:     global_buffer
      - .offset:         64
        .size:           8
        .value_kind:     by_value
      - .offset:         72
        .size:           8
        .value_kind:     by_value
      - .offset:         80
        .size:           4
        .value_kind:     by_value
      - .address_space:  global
        .offset:         88
        .size:           8
        .value_kind:     global_buffer
      - .offset:         96
        .size:           8
        .value_kind:     by_value
      - .offset:         104
        .size:           8
        .value_kind:     by_value
      - .address_space:  global
        .offset:         112
        .size:           8
        .value_kind:     global_buffer
      - .offset:         120
        .size:           8
        .value_kind:     by_value
      - .offset:         128
        .size:           8
        .value_kind:     by_value
      - .offset:         136
        .size:           4
        .value_kind:     by_value
    .group_segment_fixed_size: 2048
    .kernarg_segment_align: 8
    .kernarg_segment_size: 140
    .language:       OpenCL C
    .language_version:
      - 2
      - 0
    .max_flat_workgroup_size: 256
    .name:           _ZN12_GLOBAL__N_127rocblas_gemm_batched_kernelIfLi16ELi16ELi32ELi32ELi8ELi32ELi8ELi8ELi32ELc78ELc67EKfS1_fEEvlllT_PT11_llS4_llS2_PT12_llPT13_lli
    .private_segment_fixed_size: 0
    .sgpr_count:     30
    .sgpr_spill_count: 0
    .symbol:         _ZN12_GLOBAL__N_127rocblas_gemm_batched_kernelIfLi16ELi16ELi32ELi32ELi8ELi32ELi8ELi8ELi32ELc78ELc67EKfS1_fEEvlllT_PT11_llS4_llS2_PT12_llPT13_lli.kd
    .uniform_work_group_size: 1
    .uses_dynamic_stack: false
    .vgpr_count:     52
    .vgpr_spill_count: 0
    .wavefront_size: 64
  - .agpr_count:     0
    .args:
      - .offset:         0
        .size:           8
        .value_kind:     by_value
      - .offset:         8
        .size:           8
        .value_kind:     by_value
      - .offset:         16
        .size:           8
        .value_kind:     by_value
      - .offset:         24
        .size:           4
        .value_kind:     by_value
      - .address_space:  global
        .offset:         32
        .size:           8
        .value_kind:     global_buffer
      - .offset:         40
        .size:           8
        .value_kind:     by_value
      - .offset:         48
        .size:           8
        .value_kind:     by_value
      - .address_space:  global
        .offset:         56
        .size:           8
        .value_kind:     global_buffer
      - .offset:         64
        .size:           8
        .value_kind:     by_value
      - .offset:         72
        .size:           8
        .value_kind:     by_value
      - .offset:         80
        .size:           4
        .value_kind:     by_value
      - .address_space:  global
        .offset:         88
        .size:           8
        .value_kind:     global_buffer
      - .offset:         96
        .size:           8
        .value_kind:     by_value
      - .offset:         104
        .size:           8
        .value_kind:     by_value
      - .address_space:  global
        .offset:         112
        .size:           8
        .value_kind:     global_buffer
      - .offset:         120
        .size:           8
        .value_kind:     by_value
      - .offset:         128
        .size:           8
        .value_kind:     by_value
      - .offset:         136
        .size:           4
        .value_kind:     by_value
    .group_segment_fixed_size: 2048
    .kernarg_segment_align: 8
    .kernarg_segment_size: 140
    .language:       OpenCL C
    .language_version:
      - 2
      - 0
    .max_flat_workgroup_size: 256
    .name:           _ZN12_GLOBAL__N_127rocblas_gemm_batched_kernelIfLi16ELi16ELi32ELi32ELi8ELi32ELi8ELi8ELi32ELc84ELc67EKfS1_fEEvlllT_PT11_llS4_llS2_PT12_llPT13_lli
    .private_segment_fixed_size: 0
    .sgpr_count:     30
    .sgpr_spill_count: 0
    .symbol:         _ZN12_GLOBAL__N_127rocblas_gemm_batched_kernelIfLi16ELi16ELi32ELi32ELi8ELi32ELi8ELi8ELi32ELc84ELc67EKfS1_fEEvlllT_PT11_llS4_llS2_PT12_llPT13_lli.kd
    .uniform_work_group_size: 1
    .uses_dynamic_stack: false
    .vgpr_count:     52
    .vgpr_spill_count: 0
    .wavefront_size: 64
  - .agpr_count:     0
    .args:
      - .offset:         0
        .size:           8
        .value_kind:     by_value
      - .offset:         8
        .size:           8
        .value_kind:     by_value
      - .offset:         16
        .size:           8
        .value_kind:     by_value
      - .offset:         24
        .size:           4
        .value_kind:     by_value
      - .address_space:  global
        .offset:         32
        .size:           8
        .value_kind:     global_buffer
      - .offset:         40
        .size:           8
        .value_kind:     by_value
      - .offset:         48
        .size:           8
        .value_kind:     by_value
      - .address_space:  global
        .offset:         56
        .size:           8
        .value_kind:     global_buffer
      - .offset:         64
        .size:           8
        .value_kind:     by_value
      - .offset:         72
        .size:           8
        .value_kind:     by_value
      - .offset:         80
        .size:           4
        .value_kind:     by_value
      - .address_space:  global
        .offset:         88
        .size:           8
        .value_kind:     global_buffer
      - .offset:         96
        .size:           8
        .value_kind:     by_value
      - .offset:         104
        .size:           8
        .value_kind:     by_value
      - .address_space:  global
        .offset:         112
        .size:           8
        .value_kind:     global_buffer
      - .offset:         120
        .size:           8
        .value_kind:     by_value
      - .offset:         128
        .size:           8
        .value_kind:     by_value
      - .offset:         136
        .size:           4
        .value_kind:     by_value
    .group_segment_fixed_size: 2048
    .kernarg_segment_align: 8
    .kernarg_segment_size: 140
    .language:       OpenCL C
    .language_version:
      - 2
      - 0
    .max_flat_workgroup_size: 256
    .name:           _ZN12_GLOBAL__N_135rocblas_gemm_batched_general_kernelIfLi16ELi16ELi32ELi32ELi8ELi32ELi8ELi8ELi32ELc78ELc78EKfS1_fEEvlllT_PT11_llS4_llS2_PT12_llPT13_lli
    .private_segment_fixed_size: 0
    .sgpr_count:     38
    .sgpr_spill_count: 0
    .symbol:         _ZN12_GLOBAL__N_135rocblas_gemm_batched_general_kernelIfLi16ELi16ELi32ELi32ELi8ELi32ELi8ELi8ELi32ELc78ELc78EKfS1_fEEvlllT_PT11_llS4_llS2_PT12_llPT13_lli.kd
    .uniform_work_group_size: 1
    .uses_dynamic_stack: false
    .vgpr_count:     54
    .vgpr_spill_count: 0
    .wavefront_size: 64
  - .agpr_count:     0
    .args:
      - .offset:         0
        .size:           8
        .value_kind:     by_value
      - .offset:         8
        .size:           8
        .value_kind:     by_value
      - .offset:         16
        .size:           8
        .value_kind:     by_value
      - .offset:         24
        .size:           4
        .value_kind:     by_value
      - .address_space:  global
        .offset:         32
        .size:           8
        .value_kind:     global_buffer
      - .offset:         40
        .size:           8
        .value_kind:     by_value
      - .offset:         48
        .size:           8
        .value_kind:     by_value
      - .address_space:  global
        .offset:         56
        .size:           8
        .value_kind:     global_buffer
      - .offset:         64
        .size:           8
        .value_kind:     by_value
      - .offset:         72
        .size:           8
        .value_kind:     by_value
      - .offset:         80
        .size:           4
        .value_kind:     by_value
      - .address_space:  global
        .offset:         88
        .size:           8
        .value_kind:     global_buffer
      - .offset:         96
        .size:           8
        .value_kind:     by_value
      - .offset:         104
        .size:           8
        .value_kind:     by_value
      - .address_space:  global
        .offset:         112
        .size:           8
        .value_kind:     global_buffer
      - .offset:         120
        .size:           8
        .value_kind:     by_value
      - .offset:         128
        .size:           8
        .value_kind:     by_value
      - .offset:         136
        .size:           4
        .value_kind:     by_value
    .group_segment_fixed_size: 2048
    .kernarg_segment_align: 8
    .kernarg_segment_size: 140
    .language:       OpenCL C
    .language_version:
      - 2
      - 0
    .max_flat_workgroup_size: 256
    .name:           _ZN12_GLOBAL__N_135rocblas_gemm_batched_general_kernelIfLi16ELi16ELi32ELi32ELi8ELi32ELi8ELi8ELi32ELc84ELc78EKfS1_fEEvlllT_PT11_llS4_llS2_PT12_llPT13_lli
    .private_segment_fixed_size: 0
    .sgpr_count:     38
    .sgpr_spill_count: 0
    .symbol:         _ZN12_GLOBAL__N_135rocblas_gemm_batched_general_kernelIfLi16ELi16ELi32ELi32ELi8ELi32ELi8ELi8ELi32ELc84ELc78EKfS1_fEEvlllT_PT11_llS4_llS2_PT12_llPT13_lli.kd
    .uniform_work_group_size: 1
    .uses_dynamic_stack: false
    .vgpr_count:     54
    .vgpr_spill_count: 0
    .wavefront_size: 64
  - .agpr_count:     0
    .args:
      - .offset:         0
        .size:           8
        .value_kind:     by_value
      - .offset:         8
        .size:           8
        .value_kind:     by_value
      - .offset:         16
        .size:           8
        .value_kind:     by_value
      - .offset:         24
        .size:           4
        .value_kind:     by_value
      - .address_space:  global
        .offset:         32
        .size:           8
        .value_kind:     global_buffer
      - .offset:         40
        .size:           8
        .value_kind:     by_value
      - .offset:         48
        .size:           8
        .value_kind:     by_value
      - .address_space:  global
        .offset:         56
        .size:           8
        .value_kind:     global_buffer
      - .offset:         64
        .size:           8
        .value_kind:     by_value
      - .offset:         72
        .size:           8
        .value_kind:     by_value
      - .offset:         80
        .size:           4
        .value_kind:     by_value
      - .address_space:  global
        .offset:         88
        .size:           8
        .value_kind:     global_buffer
      - .offset:         96
        .size:           8
        .value_kind:     by_value
      - .offset:         104
        .size:           8
        .value_kind:     by_value
      - .address_space:  global
        .offset:         112
        .size:           8
        .value_kind:     global_buffer
      - .offset:         120
        .size:           8
        .value_kind:     by_value
      - .offset:         128
        .size:           8
        .value_kind:     by_value
      - .offset:         136
        .size:           4
        .value_kind:     by_value
    .group_segment_fixed_size: 2048
    .kernarg_segment_align: 8
    .kernarg_segment_size: 140
    .language:       OpenCL C
    .language_version:
      - 2
      - 0
    .max_flat_workgroup_size: 256
    .name:           _ZN12_GLOBAL__N_135rocblas_gemm_batched_general_kernelIfLi16ELi16ELi32ELi32ELi8ELi32ELi8ELi8ELi32ELc78ELc84EKfS1_fEEvlllT_PT11_llS4_llS2_PT12_llPT13_lli
    .private_segment_fixed_size: 0
    .sgpr_count:     44
    .sgpr_spill_count: 0
    .symbol:         _ZN12_GLOBAL__N_135rocblas_gemm_batched_general_kernelIfLi16ELi16ELi32ELi32ELi8ELi32ELi8ELi8ELi32ELc78ELc84EKfS1_fEEvlllT_PT11_llS4_llS2_PT12_llPT13_lli.kd
    .uniform_work_group_size: 1
    .uses_dynamic_stack: false
    .vgpr_count:     54
    .vgpr_spill_count: 0
    .wavefront_size: 64
  - .agpr_count:     0
    .args:
      - .offset:         0
        .size:           8
        .value_kind:     by_value
      - .offset:         8
        .size:           8
        .value_kind:     by_value
      - .offset:         16
        .size:           8
        .value_kind:     by_value
      - .offset:         24
        .size:           4
        .value_kind:     by_value
      - .address_space:  global
        .offset:         32
        .size:           8
        .value_kind:     global_buffer
      - .offset:         40
        .size:           8
        .value_kind:     by_value
      - .offset:         48
        .size:           8
        .value_kind:     by_value
      - .address_space:  global
        .offset:         56
        .size:           8
        .value_kind:     global_buffer
      - .offset:         64
        .size:           8
        .value_kind:     by_value
      - .offset:         72
        .size:           8
        .value_kind:     by_value
      - .offset:         80
        .size:           4
        .value_kind:     by_value
      - .address_space:  global
        .offset:         88
        .size:           8
        .value_kind:     global_buffer
      - .offset:         96
        .size:           8
        .value_kind:     by_value
      - .offset:         104
        .size:           8
        .value_kind:     by_value
      - .address_space:  global
        .offset:         112
        .size:           8
        .value_kind:     global_buffer
      - .offset:         120
        .size:           8
        .value_kind:     by_value
      - .offset:         128
        .size:           8
        .value_kind:     by_value
      - .offset:         136
        .size:           4
        .value_kind:     by_value
    .group_segment_fixed_size: 2048
    .kernarg_segment_align: 8
    .kernarg_segment_size: 140
    .language:       OpenCL C
    .language_version:
      - 2
      - 0
    .max_flat_workgroup_size: 256
    .name:           _ZN12_GLOBAL__N_135rocblas_gemm_batched_general_kernelIfLi16ELi16ELi32ELi32ELi8ELi32ELi8ELi8ELi32ELc84ELc84EKfS1_fEEvlllT_PT11_llS4_llS2_PT12_llPT13_lli
    .private_segment_fixed_size: 0
    .sgpr_count:     42
    .sgpr_spill_count: 0
    .symbol:         _ZN12_GLOBAL__N_135rocblas_gemm_batched_general_kernelIfLi16ELi16ELi32ELi32ELi8ELi32ELi8ELi8ELi32ELc84ELc84EKfS1_fEEvlllT_PT11_llS4_llS2_PT12_llPT13_lli.kd
    .uniform_work_group_size: 1
    .uses_dynamic_stack: false
    .vgpr_count:     54
    .vgpr_spill_count: 0
    .wavefront_size: 64
  - .agpr_count:     0
    .args:
      - .offset:         0
        .size:           8
        .value_kind:     by_value
      - .offset:         8
        .size:           8
        .value_kind:     by_value
      - .offset:         16
        .size:           8
        .value_kind:     by_value
      - .offset:         24
        .size:           4
        .value_kind:     by_value
      - .address_space:  global
        .offset:         32
        .size:           8
        .value_kind:     global_buffer
      - .offset:         40
        .size:           8
        .value_kind:     by_value
      - .offset:         48
        .size:           8
        .value_kind:     by_value
      - .address_space:  global
        .offset:         56
        .size:           8
        .value_kind:     global_buffer
      - .offset:         64
        .size:           8
        .value_kind:     by_value
      - .offset:         72
        .size:           8
        .value_kind:     by_value
      - .offset:         80
        .size:           4
        .value_kind:     by_value
      - .address_space:  global
        .offset:         88
        .size:           8
        .value_kind:     global_buffer
      - .offset:         96
        .size:           8
        .value_kind:     by_value
      - .offset:         104
        .size:           8
        .value_kind:     by_value
      - .address_space:  global
        .offset:         112
        .size:           8
        .value_kind:     global_buffer
      - .offset:         120
        .size:           8
        .value_kind:     by_value
      - .offset:         128
        .size:           8
        .value_kind:     by_value
      - .offset:         136
        .size:           4
        .value_kind:     by_value
    .group_segment_fixed_size: 2048
    .kernarg_segment_align: 8
    .kernarg_segment_size: 140
    .language:       OpenCL C
    .language_version:
      - 2
      - 0
    .max_flat_workgroup_size: 256
    .name:           _ZN12_GLOBAL__N_135rocblas_gemm_batched_general_kernelIfLi16ELi16ELi32ELi32ELi8ELi32ELi8ELi8ELi32ELc67ELc67EKfS1_fEEvlllT_PT11_llS4_llS2_PT12_llPT13_lli
    .private_segment_fixed_size: 0
    .sgpr_count:     42
    .sgpr_spill_count: 0
    .symbol:         _ZN12_GLOBAL__N_135rocblas_gemm_batched_general_kernelIfLi16ELi16ELi32ELi32ELi8ELi32ELi8ELi8ELi32ELc67ELc67EKfS1_fEEvlllT_PT11_llS4_llS2_PT12_llPT13_lli.kd
    .uniform_work_group_size: 1
    .uses_dynamic_stack: false
    .vgpr_count:     54
    .vgpr_spill_count: 0
    .wavefront_size: 64
  - .agpr_count:     0
    .args:
      - .offset:         0
        .size:           8
        .value_kind:     by_value
      - .offset:         8
        .size:           8
        .value_kind:     by_value
      - .offset:         16
        .size:           8
        .value_kind:     by_value
      - .offset:         24
        .size:           4
        .value_kind:     by_value
      - .address_space:  global
        .offset:         32
        .size:           8
        .value_kind:     global_buffer
      - .offset:         40
        .size:           8
        .value_kind:     by_value
      - .offset:         48
        .size:           8
        .value_kind:     by_value
      - .address_space:  global
        .offset:         56
        .size:           8
        .value_kind:     global_buffer
      - .offset:         64
        .size:           8
        .value_kind:     by_value
      - .offset:         72
        .size:           8
        .value_kind:     by_value
      - .offset:         80
        .size:           4
        .value_kind:     by_value
      - .address_space:  global
        .offset:         88
        .size:           8
        .value_kind:     global_buffer
      - .offset:         96
        .size:           8
        .value_kind:     by_value
      - .offset:         104
        .size:           8
        .value_kind:     by_value
      - .address_space:  global
        .offset:         112
        .size:           8
        .value_kind:     global_buffer
      - .offset:         120
        .size:           8
        .value_kind:     by_value
      - .offset:         128
        .size:           8
        .value_kind:     by_value
      - .offset:         136
        .size:           4
        .value_kind:     by_value
    .group_segment_fixed_size: 2048
    .kernarg_segment_align: 8
    .kernarg_segment_size: 140
    .language:       OpenCL C
    .language_version:
      - 2
      - 0
    .max_flat_workgroup_size: 256
    .name:           _ZN12_GLOBAL__N_135rocblas_gemm_batched_general_kernelIfLi16ELi16ELi32ELi32ELi8ELi32ELi8ELi8ELi32ELc67ELc78EKfS1_fEEvlllT_PT11_llS4_llS2_PT12_llPT13_lli
    .private_segment_fixed_size: 0
    .sgpr_count:     38
    .sgpr_spill_count: 0
    .symbol:         _ZN12_GLOBAL__N_135rocblas_gemm_batched_general_kernelIfLi16ELi16ELi32ELi32ELi8ELi32ELi8ELi8ELi32ELc67ELc78EKfS1_fEEvlllT_PT11_llS4_llS2_PT12_llPT13_lli.kd
    .uniform_work_group_size: 1
    .uses_dynamic_stack: false
    .vgpr_count:     54
    .vgpr_spill_count: 0
    .wavefront_size: 64
  - .agpr_count:     0
    .args:
      - .offset:         0
        .size:           8
        .value_kind:     by_value
      - .offset:         8
        .size:           8
        .value_kind:     by_value
      - .offset:         16
        .size:           8
        .value_kind:     by_value
      - .offset:         24
        .size:           4
        .value_kind:     by_value
      - .address_space:  global
        .offset:         32
        .size:           8
        .value_kind:     global_buffer
      - .offset:         40
        .size:           8
        .value_kind:     by_value
      - .offset:         48
        .size:           8
        .value_kind:     by_value
      - .address_space:  global
        .offset:         56
        .size:           8
        .value_kind:     global_buffer
      - .offset:         64
        .size:           8
        .value_kind:     by_value
      - .offset:         72
        .size:           8
        .value_kind:     by_value
      - .offset:         80
        .size:           4
        .value_kind:     by_value
      - .address_space:  global
        .offset:         88
        .size:           8
        .value_kind:     global_buffer
      - .offset:         96
        .size:           8
        .value_kind:     by_value
      - .offset:         104
        .size:           8
        .value_kind:     by_value
      - .address_space:  global
        .offset:         112
        .size:           8
        .value_kind:     global_buffer
      - .offset:         120
        .size:           8
        .value_kind:     by_value
      - .offset:         128
        .size:           8
        .value_kind:     by_value
      - .offset:         136
        .size:           4
        .value_kind:     by_value
    .group_segment_fixed_size: 2048
    .kernarg_segment_align: 8
    .kernarg_segment_size: 140
    .language:       OpenCL C
    .language_version:
      - 2
      - 0
    .max_flat_workgroup_size: 256
    .name:           _ZN12_GLOBAL__N_135rocblas_gemm_batched_general_kernelIfLi16ELi16ELi32ELi32ELi8ELi32ELi8ELi8ELi32ELc67ELc84EKfS1_fEEvlllT_PT11_llS4_llS2_PT12_llPT13_lli
    .private_segment_fixed_size: 0
    .sgpr_count:     42
    .sgpr_spill_count: 0
    .symbol:         _ZN12_GLOBAL__N_135rocblas_gemm_batched_general_kernelIfLi16ELi16ELi32ELi32ELi8ELi32ELi8ELi8ELi32ELc67ELc84EKfS1_fEEvlllT_PT11_llS4_llS2_PT12_llPT13_lli.kd
    .uniform_work_group_size: 1
    .uses_dynamic_stack: false
    .vgpr_count:     54
    .vgpr_spill_count: 0
    .wavefront_size: 64
  - .agpr_count:     0
    .args:
      - .offset:         0
        .size:           8
        .value_kind:     by_value
      - .offset:         8
        .size:           8
        .value_kind:     by_value
      - .offset:         16
        .size:           8
        .value_kind:     by_value
      - .offset:         24
        .size:           4
        .value_kind:     by_value
      - .address_space:  global
        .offset:         32
        .size:           8
        .value_kind:     global_buffer
      - .offset:         40
        .size:           8
        .value_kind:     by_value
      - .offset:         48
        .size:           8
        .value_kind:     by_value
      - .address_space:  global
        .offset:         56
        .size:           8
        .value_kind:     global_buffer
      - .offset:         64
        .size:           8
        .value_kind:     by_value
      - .offset:         72
        .size:           8
        .value_kind:     by_value
      - .offset:         80
        .size:           4
        .value_kind:     by_value
      - .address_space:  global
        .offset:         88
        .size:           8
        .value_kind:     global_buffer
      - .offset:         96
        .size:           8
        .value_kind:     by_value
      - .offset:         104
        .size:           8
        .value_kind:     by_value
      - .address_space:  global
        .offset:         112
        .size:           8
        .value_kind:     global_buffer
      - .offset:         120
        .size:           8
        .value_kind:     by_value
      - .offset:         128
        .size:           8
        .value_kind:     by_value
      - .offset:         136
        .size:           4
        .value_kind:     by_value
    .group_segment_fixed_size: 2048
    .kernarg_segment_align: 8
    .kernarg_segment_size: 140
    .language:       OpenCL C
    .language_version:
      - 2
      - 0
    .max_flat_workgroup_size: 256
    .name:           _ZN12_GLOBAL__N_135rocblas_gemm_batched_general_kernelIfLi16ELi16ELi32ELi32ELi8ELi32ELi8ELi8ELi32ELc78ELc67EKfS1_fEEvlllT_PT11_llS4_llS2_PT12_llPT13_lli
    .private_segment_fixed_size: 0
    .sgpr_count:     44
    .sgpr_spill_count: 0
    .symbol:         _ZN12_GLOBAL__N_135rocblas_gemm_batched_general_kernelIfLi16ELi16ELi32ELi32ELi8ELi32ELi8ELi8ELi32ELc78ELc67EKfS1_fEEvlllT_PT11_llS4_llS2_PT12_llPT13_lli.kd
    .uniform_work_group_size: 1
    .uses_dynamic_stack: false
    .vgpr_count:     54
    .vgpr_spill_count: 0
    .wavefront_size: 64
  - .agpr_count:     0
    .args:
      - .offset:         0
        .size:           8
        .value_kind:     by_value
      - .offset:         8
        .size:           8
        .value_kind:     by_value
      - .offset:         16
        .size:           8
        .value_kind:     by_value
      - .offset:         24
        .size:           4
        .value_kind:     by_value
      - .address_space:  global
        .offset:         32
        .size:           8
        .value_kind:     global_buffer
      - .offset:         40
        .size:           8
        .value_kind:     by_value
      - .offset:         48
        .size:           8
        .value_kind:     by_value
      - .address_space:  global
        .offset:         56
        .size:           8
        .value_kind:     global_buffer
      - .offset:         64
        .size:           8
        .value_kind:     by_value
      - .offset:         72
        .size:           8
        .value_kind:     by_value
      - .offset:         80
        .size:           4
        .value_kind:     by_value
      - .address_space:  global
        .offset:         88
        .size:           8
        .value_kind:     global_buffer
      - .offset:         96
        .size:           8
        .value_kind:     by_value
      - .offset:         104
        .size:           8
        .value_kind:     by_value
      - .address_space:  global
        .offset:         112
        .size:           8
        .value_kind:     global_buffer
      - .offset:         120
        .size:           8
        .value_kind:     by_value
      - .offset:         128
        .size:           8
        .value_kind:     by_value
      - .offset:         136
        .size:           4
        .value_kind:     by_value
    .group_segment_fixed_size: 2048
    .kernarg_segment_align: 8
    .kernarg_segment_size: 140
    .language:       OpenCL C
    .language_version:
      - 2
      - 0
    .max_flat_workgroup_size: 256
    .name:           _ZN12_GLOBAL__N_135rocblas_gemm_batched_general_kernelIfLi16ELi16ELi32ELi32ELi8ELi32ELi8ELi8ELi32ELc84ELc67EKfS1_fEEvlllT_PT11_llS4_llS2_PT12_llPT13_lli
    .private_segment_fixed_size: 0
    .sgpr_count:     42
    .sgpr_spill_count: 0
    .symbol:         _ZN12_GLOBAL__N_135rocblas_gemm_batched_general_kernelIfLi16ELi16ELi32ELi32ELi8ELi32ELi8ELi8ELi32ELc84ELc67EKfS1_fEEvlllT_PT11_llS4_llS2_PT12_llPT13_lli.kd
    .uniform_work_group_size: 1
    .uses_dynamic_stack: false
    .vgpr_count:     54
    .vgpr_spill_count: 0
    .wavefront_size: 64
  - .agpr_count:     0
    .args:
      - .offset:         0
        .size:           4
        .value_kind:     by_value
      - .offset:         4
        .size:           4
        .value_kind:     by_value
      - .offset:         8
        .size:           8
        .value_kind:     by_value
      - .address_space:  global
        .offset:         16
        .size:           8
        .value_kind:     global_buffer
      - .offset:         24
        .size:           8
        .value_kind:     by_value
      - .offset:         32
        .size:           8
        .value_kind:     by_value
      - .offset:         40
        .size:           8
        .value_kind:     by_value
      - .offset:         48
        .size:           4
        .value_kind:     by_value
    .group_segment_fixed_size: 0
    .kernarg_segment_align: 8
    .kernarg_segment_size: 52
    .language:       OpenCL C
    .language_version:
      - 2
      - 0
    .max_flat_workgroup_size: 1024
    .name:           _ZN12_GLOBAL__N_125rocblas_gemm_scale_kernelILi32ELi32EdPdEEviiT1_T2_llli
    .private_segment_fixed_size: 0
    .sgpr_count:     22
    .sgpr_spill_count: 0
    .symbol:         _ZN12_GLOBAL__N_125rocblas_gemm_scale_kernelILi32ELi32EdPdEEviiT1_T2_llli.kd
    .uniform_work_group_size: 1
    .uses_dynamic_stack: false
    .vgpr_count:     8
    .vgpr_spill_count: 0
    .wavefront_size: 64
  - .agpr_count:     0
    .args:
      - .offset:         0
        .size:           4
        .value_kind:     by_value
      - .offset:         4
        .size:           4
        .value_kind:     by_value
      - .offset:         8
        .size:           8
        .value_kind:     by_value
      - .address_space:  global
        .offset:         16
        .size:           8
        .value_kind:     global_buffer
      - .offset:         24
        .size:           8
        .value_kind:     by_value
      - .offset:         32
        .size:           8
        .value_kind:     by_value
      - .offset:         40
        .size:           8
        .value_kind:     by_value
      - .address_space:  global
        .offset:         48
        .size:           8
        .value_kind:     global_buffer
      - .offset:         56
        .size:           8
        .value_kind:     by_value
      - .offset:         64
        .size:           8
        .value_kind:     by_value
      - .offset:         72
        .size:           8
        .value_kind:     by_value
      - .offset:         80
        .size:           4
        .value_kind:     by_value
    .group_segment_fixed_size: 0
    .kernarg_segment_align: 8
    .kernarg_segment_size: 84
    .language:       OpenCL C
    .language_version:
      - 2
      - 0
    .max_flat_workgroup_size: 1024
    .name:           _ZN12_GLOBAL__N_120gemm_ex_scale_kernelILi32ELi32EdPKdPdEEviiT1_T2_lllT3_llli
    .private_segment_fixed_size: 0
    .sgpr_count:     30
    .sgpr_spill_count: 0
    .symbol:         _ZN12_GLOBAL__N_120gemm_ex_scale_kernelILi32ELi32EdPKdPdEEviiT1_T2_lllT3_llli.kd
    .uniform_work_group_size: 1
    .uses_dynamic_stack: false
    .vgpr_count:     10
    .vgpr_spill_count: 0
    .wavefront_size: 64
  - .agpr_count:     0
    .args:
      - .offset:         0
        .size:           8
        .value_kind:     by_value
      - .offset:         8
        .size:           8
        .value_kind:     by_value
      - .offset:         16
        .size:           8
        .value_kind:     by_value
      - .offset:         24
        .size:           8
        .value_kind:     by_value
      - .address_space:  global
        .offset:         32
        .size:           8
        .value_kind:     global_buffer
      - .offset:         40
        .size:           8
        .value_kind:     by_value
      - .offset:         48
        .size:           8
        .value_kind:     by_value
      - .address_space:  global
        .offset:         56
        .size:           8
        .value_kind:     global_buffer
      - .offset:         64
        .size:           8
        .value_kind:     by_value
      - .offset:         72
        .size:           8
        .value_kind:     by_value
      - .offset:         80
        .size:           8
        .value_kind:     by_value
      - .address_space:  global
        .offset:         88
        .size:           8
        .value_kind:     global_buffer
      - .offset:         96
        .size:           8
        .value_kind:     by_value
      - .offset:         104
        .size:           8
        .value_kind:     by_value
      - .address_space:  global
        .offset:         112
        .size:           8
        .value_kind:     global_buffer
      - .offset:         120
        .size:           8
        .value_kind:     by_value
      - .offset:         128
        .size:           8
        .value_kind:     by_value
      - .offset:         136
        .size:           4
        .value_kind:     by_value
    .group_segment_fixed_size: 4096
    .kernarg_segment_align: 8
    .kernarg_segment_size: 140
    .language:       OpenCL C
    .language_version:
      - 2
      - 0
    .max_flat_workgroup_size: 256
    .name:           _ZN12_GLOBAL__N_127rocblas_gemm_batched_kernelIdLi16ELi16ELi64ELi64ELi4ELi64ELi4ELi4ELi64ELc78ELc78EKdS1_dEEvlllT_PT11_llS4_llS2_PT12_llPT13_lli
    .private_segment_fixed_size: 0
    .sgpr_count:     34
    .sgpr_spill_count: 0
    .symbol:         _ZN12_GLOBAL__N_127rocblas_gemm_batched_kernelIdLi16ELi16ELi64ELi64ELi4ELi64ELi4ELi4ELi64ELc78ELc78EKdS1_dEEvlllT_PT11_llS4_llS2_PT12_llPT13_lli.kd
    .uniform_work_group_size: 1
    .uses_dynamic_stack: false
    .vgpr_count:     86
    .vgpr_spill_count: 0
    .wavefront_size: 64
  - .agpr_count:     0
    .args:
      - .offset:         0
        .size:           8
        .value_kind:     by_value
      - .offset:         8
        .size:           8
        .value_kind:     by_value
      - .offset:         16
        .size:           8
        .value_kind:     by_value
      - .offset:         24
        .size:           8
        .value_kind:     by_value
      - .address_space:  global
        .offset:         32
        .size:           8
        .value_kind:     global_buffer
      - .offset:         40
        .size:           8
        .value_kind:     by_value
      - .offset:         48
        .size:           8
        .value_kind:     by_value
      - .address_space:  global
        .offset:         56
        .size:           8
        .value_kind:     global_buffer
      - .offset:         64
        .size:           8
        .value_kind:     by_value
      - .offset:         72
        .size:           8
        .value_kind:     by_value
      - .offset:         80
        .size:           8
        .value_kind:     by_value
      - .address_space:  global
        .offset:         88
        .size:           8
        .value_kind:     global_buffer
      - .offset:         96
        .size:           8
        .value_kind:     by_value
      - .offset:         104
        .size:           8
        .value_kind:     by_value
      - .address_space:  global
        .offset:         112
        .size:           8
        .value_kind:     global_buffer
      - .offset:         120
        .size:           8
        .value_kind:     by_value
      - .offset:         128
        .size:           8
        .value_kind:     by_value
      - .offset:         136
        .size:           4
        .value_kind:     by_value
    .group_segment_fixed_size: 4096
    .kernarg_segment_align: 8
    .kernarg_segment_size: 140
    .language:       OpenCL C
    .language_version:
      - 2
      - 0
    .max_flat_workgroup_size: 256
    .name:           _ZN12_GLOBAL__N_127rocblas_gemm_batched_kernelIdLi16ELi16ELi64ELi64ELi4ELi64ELi4ELi4ELi64ELc84ELc78EKdS1_dEEvlllT_PT11_llS4_llS2_PT12_llPT13_lli
    .private_segment_fixed_size: 0
    .sgpr_count:     34
    .sgpr_spill_count: 0
    .symbol:         _ZN12_GLOBAL__N_127rocblas_gemm_batched_kernelIdLi16ELi16ELi64ELi64ELi4ELi64ELi4ELi4ELi64ELc84ELc78EKdS1_dEEvlllT_PT11_llS4_llS2_PT12_llPT13_lli.kd
    .uniform_work_group_size: 1
    .uses_dynamic_stack: false
    .vgpr_count:     86
    .vgpr_spill_count: 0
    .wavefront_size: 64
  - .agpr_count:     0
    .args:
      - .offset:         0
        .size:           8
        .value_kind:     by_value
      - .offset:         8
        .size:           8
        .value_kind:     by_value
      - .offset:         16
        .size:           8
        .value_kind:     by_value
      - .offset:         24
        .size:           8
        .value_kind:     by_value
      - .address_space:  global
        .offset:         32
        .size:           8
        .value_kind:     global_buffer
      - .offset:         40
        .size:           8
        .value_kind:     by_value
      - .offset:         48
        .size:           8
        .value_kind:     by_value
      - .address_space:  global
        .offset:         56
        .size:           8
        .value_kind:     global_buffer
      - .offset:         64
        .size:           8
        .value_kind:     by_value
      - .offset:         72
        .size:           8
        .value_kind:     by_value
      - .offset:         80
        .size:           8
        .value_kind:     by_value
      - .address_space:  global
        .offset:         88
        .size:           8
        .value_kind:     global_buffer
      - .offset:         96
        .size:           8
        .value_kind:     by_value
      - .offset:         104
        .size:           8
        .value_kind:     by_value
      - .address_space:  global
        .offset:         112
        .size:           8
        .value_kind:     global_buffer
      - .offset:         120
        .size:           8
        .value_kind:     by_value
      - .offset:         128
        .size:           8
        .value_kind:     by_value
      - .offset:         136
        .size:           4
        .value_kind:     by_value
    .group_segment_fixed_size: 4096
    .kernarg_segment_align: 8
    .kernarg_segment_size: 140
    .language:       OpenCL C
    .language_version:
      - 2
      - 0
    .max_flat_workgroup_size: 256
    .name:           _ZN12_GLOBAL__N_127rocblas_gemm_batched_kernelIdLi16ELi16ELi64ELi64ELi4ELi64ELi4ELi4ELi64ELc78ELc84EKdS1_dEEvlllT_PT11_llS4_llS2_PT12_llPT13_lli
    .private_segment_fixed_size: 0
    .sgpr_count:     34
    .sgpr_spill_count: 0
    .symbol:         _ZN12_GLOBAL__N_127rocblas_gemm_batched_kernelIdLi16ELi16ELi64ELi64ELi4ELi64ELi4ELi4ELi64ELc78ELc84EKdS1_dEEvlllT_PT11_llS4_llS2_PT12_llPT13_lli.kd
    .uniform_work_group_size: 1
    .uses_dynamic_stack: false
    .vgpr_count:     86
    .vgpr_spill_count: 0
    .wavefront_size: 64
  - .agpr_count:     0
    .args:
      - .offset:         0
        .size:           8
        .value_kind:     by_value
      - .offset:         8
        .size:           8
        .value_kind:     by_value
      - .offset:         16
        .size:           8
        .value_kind:     by_value
      - .offset:         24
        .size:           8
        .value_kind:     by_value
      - .address_space:  global
        .offset:         32
        .size:           8
        .value_kind:     global_buffer
      - .offset:         40
        .size:           8
        .value_kind:     by_value
      - .offset:         48
        .size:           8
        .value_kind:     by_value
      - .address_space:  global
        .offset:         56
        .size:           8
        .value_kind:     global_buffer
      - .offset:         64
        .size:           8
        .value_kind:     by_value
      - .offset:         72
        .size:           8
        .value_kind:     by_value
      - .offset:         80
        .size:           8
        .value_kind:     by_value
      - .address_space:  global
        .offset:         88
        .size:           8
        .value_kind:     global_buffer
      - .offset:         96
        .size:           8
        .value_kind:     by_value
      - .offset:         104
        .size:           8
        .value_kind:     by_value
      - .address_space:  global
        .offset:         112
        .size:           8
        .value_kind:     global_buffer
      - .offset:         120
        .size:           8
        .value_kind:     by_value
      - .offset:         128
        .size:           8
        .value_kind:     by_value
      - .offset:         136
        .size:           4
        .value_kind:     by_value
    .group_segment_fixed_size: 4096
    .kernarg_segment_align: 8
    .kernarg_segment_size: 140
    .language:       OpenCL C
    .language_version:
      - 2
      - 0
    .max_flat_workgroup_size: 256
    .name:           _ZN12_GLOBAL__N_127rocblas_gemm_batched_kernelIdLi16ELi16ELi64ELi64ELi4ELi64ELi4ELi4ELi64ELc84ELc84EKdS1_dEEvlllT_PT11_llS4_llS2_PT12_llPT13_lli
    .private_segment_fixed_size: 0
    .sgpr_count:     34
    .sgpr_spill_count: 0
    .symbol:         _ZN12_GLOBAL__N_127rocblas_gemm_batched_kernelIdLi16ELi16ELi64ELi64ELi4ELi64ELi4ELi4ELi64ELc84ELc84EKdS1_dEEvlllT_PT11_llS4_llS2_PT12_llPT13_lli.kd
    .uniform_work_group_size: 1
    .uses_dynamic_stack: false
    .vgpr_count:     86
    .vgpr_spill_count: 0
    .wavefront_size: 64
  - .agpr_count:     0
    .args:
      - .offset:         0
        .size:           8
        .value_kind:     by_value
      - .offset:         8
        .size:           8
        .value_kind:     by_value
      - .offset:         16
        .size:           8
        .value_kind:     by_value
      - .offset:         24
        .size:           8
        .value_kind:     by_value
      - .address_space:  global
        .offset:         32
        .size:           8
        .value_kind:     global_buffer
      - .offset:         40
        .size:           8
        .value_kind:     by_value
      - .offset:         48
        .size:           8
        .value_kind:     by_value
      - .address_space:  global
        .offset:         56
        .size:           8
        .value_kind:     global_buffer
      - .offset:         64
        .size:           8
        .value_kind:     by_value
      - .offset:         72
        .size:           8
        .value_kind:     by_value
      - .offset:         80
        .size:           8
        .value_kind:     by_value
      - .address_space:  global
        .offset:         88
        .size:           8
        .value_kind:     global_buffer
      - .offset:         96
        .size:           8
        .value_kind:     by_value
      - .offset:         104
        .size:           8
        .value_kind:     by_value
      - .address_space:  global
        .offset:         112
        .size:           8
        .value_kind:     global_buffer
      - .offset:         120
        .size:           8
        .value_kind:     by_value
      - .offset:         128
        .size:           8
        .value_kind:     by_value
      - .offset:         136
        .size:           4
        .value_kind:     by_value
    .group_segment_fixed_size: 4096
    .kernarg_segment_align: 8
    .kernarg_segment_size: 140
    .language:       OpenCL C
    .language_version:
      - 2
      - 0
    .max_flat_workgroup_size: 256
    .name:           _ZN12_GLOBAL__N_127rocblas_gemm_batched_kernelIdLi16ELi16ELi64ELi64ELi4ELi64ELi4ELi4ELi64ELc67ELc67EKdS1_dEEvlllT_PT11_llS4_llS2_PT12_llPT13_lli
    .private_segment_fixed_size: 0
    .sgpr_count:     34
    .sgpr_spill_count: 0
    .symbol:         _ZN12_GLOBAL__N_127rocblas_gemm_batched_kernelIdLi16ELi16ELi64ELi64ELi4ELi64ELi4ELi4ELi64ELc67ELc67EKdS1_dEEvlllT_PT11_llS4_llS2_PT12_llPT13_lli.kd
    .uniform_work_group_size: 1
    .uses_dynamic_stack: false
    .vgpr_count:     86
    .vgpr_spill_count: 0
    .wavefront_size: 64
  - .agpr_count:     0
    .args:
      - .offset:         0
        .size:           8
        .value_kind:     by_value
      - .offset:         8
        .size:           8
        .value_kind:     by_value
      - .offset:         16
        .size:           8
        .value_kind:     by_value
      - .offset:         24
        .size:           8
        .value_kind:     by_value
      - .address_space:  global
        .offset:         32
        .size:           8
        .value_kind:     global_buffer
      - .offset:         40
        .size:           8
        .value_kind:     by_value
      - .offset:         48
        .size:           8
        .value_kind:     by_value
      - .address_space:  global
        .offset:         56
        .size:           8
        .value_kind:     global_buffer
      - .offset:         64
        .size:           8
        .value_kind:     by_value
      - .offset:         72
        .size:           8
        .value_kind:     by_value
      - .offset:         80
        .size:           8
        .value_kind:     by_value
      - .address_space:  global
        .offset:         88
        .size:           8
        .value_kind:     global_buffer
      - .offset:         96
        .size:           8
        .value_kind:     by_value
      - .offset:         104
        .size:           8
        .value_kind:     by_value
      - .address_space:  global
        .offset:         112
        .size:           8
        .value_kind:     global_buffer
      - .offset:         120
        .size:           8
        .value_kind:     by_value
      - .offset:         128
        .size:           8
        .value_kind:     by_value
      - .offset:         136
        .size:           4
        .value_kind:     by_value
    .group_segment_fixed_size: 4096
    .kernarg_segment_align: 8
    .kernarg_segment_size: 140
    .language:       OpenCL C
    .language_version:
      - 2
      - 0
    .max_flat_workgroup_size: 256
    .name:           _ZN12_GLOBAL__N_127rocblas_gemm_batched_kernelIdLi16ELi16ELi64ELi64ELi4ELi64ELi4ELi4ELi64ELc67ELc78EKdS1_dEEvlllT_PT11_llS4_llS2_PT12_llPT13_lli
    .private_segment_fixed_size: 0
    .sgpr_count:     34
    .sgpr_spill_count: 0
    .symbol:         _ZN12_GLOBAL__N_127rocblas_gemm_batched_kernelIdLi16ELi16ELi64ELi64ELi4ELi64ELi4ELi4ELi64ELc67ELc78EKdS1_dEEvlllT_PT11_llS4_llS2_PT12_llPT13_lli.kd
    .uniform_work_group_size: 1
    .uses_dynamic_stack: false
    .vgpr_count:     86
    .vgpr_spill_count: 0
    .wavefront_size: 64
  - .agpr_count:     0
    .args:
      - .offset:         0
        .size:           8
        .value_kind:     by_value
      - .offset:         8
        .size:           8
        .value_kind:     by_value
      - .offset:         16
        .size:           8
        .value_kind:     by_value
      - .offset:         24
        .size:           8
        .value_kind:     by_value
      - .address_space:  global
        .offset:         32
        .size:           8
        .value_kind:     global_buffer
      - .offset:         40
        .size:           8
        .value_kind:     by_value
      - .offset:         48
        .size:           8
        .value_kind:     by_value
      - .address_space:  global
        .offset:         56
        .size:           8
        .value_kind:     global_buffer
      - .offset:         64
        .size:           8
        .value_kind:     by_value
      - .offset:         72
        .size:           8
        .value_kind:     by_value
      - .offset:         80
        .size:           8
        .value_kind:     by_value
      - .address_space:  global
        .offset:         88
        .size:           8
        .value_kind:     global_buffer
      - .offset:         96
        .size:           8
        .value_kind:     by_value
      - .offset:         104
        .size:           8
        .value_kind:     by_value
      - .address_space:  global
        .offset:         112
        .size:           8
        .value_kind:     global_buffer
      - .offset:         120
        .size:           8
        .value_kind:     by_value
      - .offset:         128
        .size:           8
        .value_kind:     by_value
      - .offset:         136
        .size:           4
        .value_kind:     by_value
    .group_segment_fixed_size: 4096
    .kernarg_segment_align: 8
    .kernarg_segment_size: 140
    .language:       OpenCL C
    .language_version:
      - 2
      - 0
    .max_flat_workgroup_size: 256
    .name:           _ZN12_GLOBAL__N_127rocblas_gemm_batched_kernelIdLi16ELi16ELi64ELi64ELi4ELi64ELi4ELi4ELi64ELc67ELc84EKdS1_dEEvlllT_PT11_llS4_llS2_PT12_llPT13_lli
    .private_segment_fixed_size: 0
    .sgpr_count:     34
    .sgpr_spill_count: 0
    .symbol:         _ZN12_GLOBAL__N_127rocblas_gemm_batched_kernelIdLi16ELi16ELi64ELi64ELi4ELi64ELi4ELi4ELi64ELc67ELc84EKdS1_dEEvlllT_PT11_llS4_llS2_PT12_llPT13_lli.kd
    .uniform_work_group_size: 1
    .uses_dynamic_stack: false
    .vgpr_count:     86
    .vgpr_spill_count: 0
    .wavefront_size: 64
  - .agpr_count:     0
    .args:
      - .offset:         0
        .size:           8
        .value_kind:     by_value
      - .offset:         8
        .size:           8
        .value_kind:     by_value
      - .offset:         16
        .size:           8
        .value_kind:     by_value
      - .offset:         24
        .size:           8
        .value_kind:     by_value
      - .address_space:  global
        .offset:         32
        .size:           8
        .value_kind:     global_buffer
      - .offset:         40
        .size:           8
        .value_kind:     by_value
      - .offset:         48
        .size:           8
        .value_kind:     by_value
      - .address_space:  global
        .offset:         56
        .size:           8
        .value_kind:     global_buffer
      - .offset:         64
        .size:           8
        .value_kind:     by_value
      - .offset:         72
        .size:           8
        .value_kind:     by_value
      - .offset:         80
        .size:           8
        .value_kind:     by_value
      - .address_space:  global
        .offset:         88
        .size:           8
        .value_kind:     global_buffer
      - .offset:         96
        .size:           8
        .value_kind:     by_value
      - .offset:         104
        .size:           8
        .value_kind:     by_value
      - .address_space:  global
        .offset:         112
        .size:           8
        .value_kind:     global_buffer
      - .offset:         120
        .size:           8
        .value_kind:     by_value
      - .offset:         128
        .size:           8
        .value_kind:     by_value
      - .offset:         136
        .size:           4
        .value_kind:     by_value
    .group_segment_fixed_size: 4096
    .kernarg_segment_align: 8
    .kernarg_segment_size: 140
    .language:       OpenCL C
    .language_version:
      - 2
      - 0
    .max_flat_workgroup_size: 256
    .name:           _ZN12_GLOBAL__N_127rocblas_gemm_batched_kernelIdLi16ELi16ELi64ELi64ELi4ELi64ELi4ELi4ELi64ELc78ELc67EKdS1_dEEvlllT_PT11_llS4_llS2_PT12_llPT13_lli
    .private_segment_fixed_size: 0
    .sgpr_count:     34
    .sgpr_spill_count: 0
    .symbol:         _ZN12_GLOBAL__N_127rocblas_gemm_batched_kernelIdLi16ELi16ELi64ELi64ELi4ELi64ELi4ELi4ELi64ELc78ELc67EKdS1_dEEvlllT_PT11_llS4_llS2_PT12_llPT13_lli.kd
    .uniform_work_group_size: 1
    .uses_dynamic_stack: false
    .vgpr_count:     86
    .vgpr_spill_count: 0
    .wavefront_size: 64
  - .agpr_count:     0
    .args:
      - .offset:         0
        .size:           8
        .value_kind:     by_value
      - .offset:         8
        .size:           8
        .value_kind:     by_value
      - .offset:         16
        .size:           8
        .value_kind:     by_value
      - .offset:         24
        .size:           8
        .value_kind:     by_value
      - .address_space:  global
        .offset:         32
        .size:           8
        .value_kind:     global_buffer
      - .offset:         40
        .size:           8
        .value_kind:     by_value
      - .offset:         48
        .size:           8
        .value_kind:     by_value
      - .address_space:  global
        .offset:         56
        .size:           8
        .value_kind:     global_buffer
      - .offset:         64
        .size:           8
        .value_kind:     by_value
      - .offset:         72
        .size:           8
        .value_kind:     by_value
      - .offset:         80
        .size:           8
        .value_kind:     by_value
      - .address_space:  global
        .offset:         88
        .size:           8
        .value_kind:     global_buffer
      - .offset:         96
        .size:           8
        .value_kind:     by_value
      - .offset:         104
        .size:           8
        .value_kind:     by_value
      - .address_space:  global
        .offset:         112
        .size:           8
        .value_kind:     global_buffer
      - .offset:         120
        .size:           8
        .value_kind:     by_value
      - .offset:         128
        .size:           8
        .value_kind:     by_value
      - .offset:         136
        .size:           4
        .value_kind:     by_value
    .group_segment_fixed_size: 4096
    .kernarg_segment_align: 8
    .kernarg_segment_size: 140
    .language:       OpenCL C
    .language_version:
      - 2
      - 0
    .max_flat_workgroup_size: 256
    .name:           _ZN12_GLOBAL__N_127rocblas_gemm_batched_kernelIdLi16ELi16ELi64ELi64ELi4ELi64ELi4ELi4ELi64ELc84ELc67EKdS1_dEEvlllT_PT11_llS4_llS2_PT12_llPT13_lli
    .private_segment_fixed_size: 0
    .sgpr_count:     34
    .sgpr_spill_count: 0
    .symbol:         _ZN12_GLOBAL__N_127rocblas_gemm_batched_kernelIdLi16ELi16ELi64ELi64ELi4ELi64ELi4ELi4ELi64ELc84ELc67EKdS1_dEEvlllT_PT11_llS4_llS2_PT12_llPT13_lli.kd
    .uniform_work_group_size: 1
    .uses_dynamic_stack: false
    .vgpr_count:     86
    .vgpr_spill_count: 0
    .wavefront_size: 64
  - .agpr_count:     0
    .args:
      - .offset:         0
        .size:           8
        .value_kind:     by_value
      - .offset:         8
        .size:           8
        .value_kind:     by_value
      - .offset:         16
        .size:           8
        .value_kind:     by_value
      - .offset:         24
        .size:           8
        .value_kind:     by_value
      - .address_space:  global
        .offset:         32
        .size:           8
        .value_kind:     global_buffer
      - .offset:         40
        .size:           8
        .value_kind:     by_value
      - .offset:         48
        .size:           8
        .value_kind:     by_value
      - .address_space:  global
        .offset:         56
        .size:           8
        .value_kind:     global_buffer
      - .offset:         64
        .size:           8
        .value_kind:     by_value
      - .offset:         72
        .size:           8
        .value_kind:     by_value
      - .offset:         80
        .size:           8
        .value_kind:     by_value
      - .address_space:  global
        .offset:         88
        .size:           8
        .value_kind:     global_buffer
      - .offset:         96
        .size:           8
        .value_kind:     by_value
      - .offset:         104
        .size:           8
        .value_kind:     by_value
      - .address_space:  global
        .offset:         112
        .size:           8
        .value_kind:     global_buffer
      - .offset:         120
        .size:           8
        .value_kind:     by_value
      - .offset:         128
        .size:           8
        .value_kind:     by_value
      - .offset:         136
        .size:           4
        .value_kind:     by_value
    .group_segment_fixed_size: 4096
    .kernarg_segment_align: 8
    .kernarg_segment_size: 140
    .language:       OpenCL C
    .language_version:
      - 2
      - 0
    .max_flat_workgroup_size: 256
    .name:           _ZN12_GLOBAL__N_127rocblas_gemm_batched_kernelIdLi16ELi16ELi32ELi32ELi8ELi32ELi8ELi8ELi32ELc78ELc78EKdS1_dEEvlllT_PT11_llS4_llS2_PT12_llPT13_lli
    .private_segment_fixed_size: 0
    .sgpr_count:     34
    .sgpr_spill_count: 0
    .symbol:         _ZN12_GLOBAL__N_127rocblas_gemm_batched_kernelIdLi16ELi16ELi32ELi32ELi8ELi32ELi8ELi8ELi32ELc78ELc78EKdS1_dEEvlllT_PT11_llS4_llS2_PT12_llPT13_lli.kd
    .uniform_work_group_size: 1
    .uses_dynamic_stack: false
    .vgpr_count:     62
    .vgpr_spill_count: 0
    .wavefront_size: 64
  - .agpr_count:     0
    .args:
      - .offset:         0
        .size:           8
        .value_kind:     by_value
      - .offset:         8
        .size:           8
        .value_kind:     by_value
      - .offset:         16
        .size:           8
        .value_kind:     by_value
      - .offset:         24
        .size:           8
        .value_kind:     by_value
      - .address_space:  global
        .offset:         32
        .size:           8
        .value_kind:     global_buffer
      - .offset:         40
        .size:           8
        .value_kind:     by_value
      - .offset:         48
        .size:           8
        .value_kind:     by_value
      - .address_space:  global
        .offset:         56
        .size:           8
        .value_kind:     global_buffer
      - .offset:         64
        .size:           8
        .value_kind:     by_value
      - .offset:         72
        .size:           8
        .value_kind:     by_value
      - .offset:         80
        .size:           8
        .value_kind:     by_value
      - .address_space:  global
        .offset:         88
        .size:           8
        .value_kind:     global_buffer
      - .offset:         96
        .size:           8
        .value_kind:     by_value
      - .offset:         104
        .size:           8
        .value_kind:     by_value
      - .address_space:  global
        .offset:         112
        .size:           8
        .value_kind:     global_buffer
      - .offset:         120
        .size:           8
        .value_kind:     by_value
      - .offset:         128
        .size:           8
        .value_kind:     by_value
      - .offset:         136
        .size:           4
        .value_kind:     by_value
    .group_segment_fixed_size: 4096
    .kernarg_segment_align: 8
    .kernarg_segment_size: 140
    .language:       OpenCL C
    .language_version:
      - 2
      - 0
    .max_flat_workgroup_size: 256
    .name:           _ZN12_GLOBAL__N_127rocblas_gemm_batched_kernelIdLi16ELi16ELi32ELi32ELi8ELi32ELi8ELi8ELi32ELc84ELc78EKdS1_dEEvlllT_PT11_llS4_llS2_PT12_llPT13_lli
    .private_segment_fixed_size: 0
    .sgpr_count:     34
    .sgpr_spill_count: 0
    .symbol:         _ZN12_GLOBAL__N_127rocblas_gemm_batched_kernelIdLi16ELi16ELi32ELi32ELi8ELi32ELi8ELi8ELi32ELc84ELc78EKdS1_dEEvlllT_PT11_llS4_llS2_PT12_llPT13_lli.kd
    .uniform_work_group_size: 1
    .uses_dynamic_stack: false
    .vgpr_count:     62
    .vgpr_spill_count: 0
    .wavefront_size: 64
  - .agpr_count:     0
    .args:
      - .offset:         0
        .size:           8
        .value_kind:     by_value
      - .offset:         8
        .size:           8
        .value_kind:     by_value
      - .offset:         16
        .size:           8
        .value_kind:     by_value
      - .offset:         24
        .size:           8
        .value_kind:     by_value
      - .address_space:  global
        .offset:         32
        .size:           8
        .value_kind:     global_buffer
      - .offset:         40
        .size:           8
        .value_kind:     by_value
      - .offset:         48
        .size:           8
        .value_kind:     by_value
      - .address_space:  global
        .offset:         56
        .size:           8
        .value_kind:     global_buffer
      - .offset:         64
        .size:           8
        .value_kind:     by_value
      - .offset:         72
        .size:           8
        .value_kind:     by_value
      - .offset:         80
        .size:           8
        .value_kind:     by_value
      - .address_space:  global
        .offset:         88
        .size:           8
        .value_kind:     global_buffer
      - .offset:         96
        .size:           8
        .value_kind:     by_value
      - .offset:         104
        .size:           8
        .value_kind:     by_value
      - .address_space:  global
        .offset:         112
        .size:           8
        .value_kind:     global_buffer
      - .offset:         120
        .size:           8
        .value_kind:     by_value
      - .offset:         128
        .size:           8
        .value_kind:     by_value
      - .offset:         136
        .size:           4
        .value_kind:     by_value
    .group_segment_fixed_size: 4096
    .kernarg_segment_align: 8
    .kernarg_segment_size: 140
    .language:       OpenCL C
    .language_version:
      - 2
      - 0
    .max_flat_workgroup_size: 256
    .name:           _ZN12_GLOBAL__N_127rocblas_gemm_batched_kernelIdLi16ELi16ELi32ELi32ELi8ELi32ELi8ELi8ELi32ELc78ELc84EKdS1_dEEvlllT_PT11_llS4_llS2_PT12_llPT13_lli
    .private_segment_fixed_size: 0
    .sgpr_count:     34
    .sgpr_spill_count: 0
    .symbol:         _ZN12_GLOBAL__N_127rocblas_gemm_batched_kernelIdLi16ELi16ELi32ELi32ELi8ELi32ELi8ELi8ELi32ELc78ELc84EKdS1_dEEvlllT_PT11_llS4_llS2_PT12_llPT13_lli.kd
    .uniform_work_group_size: 1
    .uses_dynamic_stack: false
    .vgpr_count:     62
    .vgpr_spill_count: 0
    .wavefront_size: 64
  - .agpr_count:     0
    .args:
      - .offset:         0
        .size:           8
        .value_kind:     by_value
      - .offset:         8
        .size:           8
        .value_kind:     by_value
      - .offset:         16
        .size:           8
        .value_kind:     by_value
      - .offset:         24
        .size:           8
        .value_kind:     by_value
      - .address_space:  global
        .offset:         32
        .size:           8
        .value_kind:     global_buffer
      - .offset:         40
        .size:           8
        .value_kind:     by_value
      - .offset:         48
        .size:           8
        .value_kind:     by_value
      - .address_space:  global
        .offset:         56
        .size:           8
        .value_kind:     global_buffer
      - .offset:         64
        .size:           8
        .value_kind:     by_value
      - .offset:         72
        .size:           8
        .value_kind:     by_value
      - .offset:         80
        .size:           8
        .value_kind:     by_value
      - .address_space:  global
        .offset:         88
        .size:           8
        .value_kind:     global_buffer
      - .offset:         96
        .size:           8
        .value_kind:     by_value
      - .offset:         104
        .size:           8
        .value_kind:     by_value
      - .address_space:  global
        .offset:         112
        .size:           8
        .value_kind:     global_buffer
      - .offset:         120
        .size:           8
        .value_kind:     by_value
      - .offset:         128
        .size:           8
        .value_kind:     by_value
      - .offset:         136
        .size:           4
        .value_kind:     by_value
    .group_segment_fixed_size: 4096
    .kernarg_segment_align: 8
    .kernarg_segment_size: 140
    .language:       OpenCL C
    .language_version:
      - 2
      - 0
    .max_flat_workgroup_size: 256
    .name:           _ZN12_GLOBAL__N_127rocblas_gemm_batched_kernelIdLi16ELi16ELi32ELi32ELi8ELi32ELi8ELi8ELi32ELc84ELc84EKdS1_dEEvlllT_PT11_llS4_llS2_PT12_llPT13_lli
    .private_segment_fixed_size: 0
    .sgpr_count:     34
    .sgpr_spill_count: 0
    .symbol:         _ZN12_GLOBAL__N_127rocblas_gemm_batched_kernelIdLi16ELi16ELi32ELi32ELi8ELi32ELi8ELi8ELi32ELc84ELc84EKdS1_dEEvlllT_PT11_llS4_llS2_PT12_llPT13_lli.kd
    .uniform_work_group_size: 1
    .uses_dynamic_stack: false
    .vgpr_count:     62
    .vgpr_spill_count: 0
    .wavefront_size: 64
  - .agpr_count:     0
    .args:
      - .offset:         0
        .size:           8
        .value_kind:     by_value
      - .offset:         8
        .size:           8
        .value_kind:     by_value
      - .offset:         16
        .size:           8
        .value_kind:     by_value
      - .offset:         24
        .size:           8
        .value_kind:     by_value
      - .address_space:  global
        .offset:         32
        .size:           8
        .value_kind:     global_buffer
      - .offset:         40
        .size:           8
        .value_kind:     by_value
      - .offset:         48
        .size:           8
        .value_kind:     by_value
      - .address_space:  global
        .offset:         56
        .size:           8
        .value_kind:     global_buffer
      - .offset:         64
        .size:           8
        .value_kind:     by_value
      - .offset:         72
        .size:           8
        .value_kind:     by_value
      - .offset:         80
        .size:           8
        .value_kind:     by_value
      - .address_space:  global
        .offset:         88
        .size:           8
        .value_kind:     global_buffer
      - .offset:         96
        .size:           8
        .value_kind:     by_value
      - .offset:         104
        .size:           8
        .value_kind:     by_value
      - .address_space:  global
        .offset:         112
        .size:           8
        .value_kind:     global_buffer
      - .offset:         120
        .size:           8
        .value_kind:     by_value
      - .offset:         128
        .size:           8
        .value_kind:     by_value
      - .offset:         136
        .size:           4
        .value_kind:     by_value
    .group_segment_fixed_size: 4096
    .kernarg_segment_align: 8
    .kernarg_segment_size: 140
    .language:       OpenCL C
    .language_version:
      - 2
      - 0
    .max_flat_workgroup_size: 256
    .name:           _ZN12_GLOBAL__N_127rocblas_gemm_batched_kernelIdLi16ELi16ELi32ELi32ELi8ELi32ELi8ELi8ELi32ELc67ELc67EKdS1_dEEvlllT_PT11_llS4_llS2_PT12_llPT13_lli
    .private_segment_fixed_size: 0
    .sgpr_count:     34
    .sgpr_spill_count: 0
    .symbol:         _ZN12_GLOBAL__N_127rocblas_gemm_batched_kernelIdLi16ELi16ELi32ELi32ELi8ELi32ELi8ELi8ELi32ELc67ELc67EKdS1_dEEvlllT_PT11_llS4_llS2_PT12_llPT13_lli.kd
    .uniform_work_group_size: 1
    .uses_dynamic_stack: false
    .vgpr_count:     62
    .vgpr_spill_count: 0
    .wavefront_size: 64
  - .agpr_count:     0
    .args:
      - .offset:         0
        .size:           8
        .value_kind:     by_value
      - .offset:         8
        .size:           8
        .value_kind:     by_value
      - .offset:         16
        .size:           8
        .value_kind:     by_value
      - .offset:         24
        .size:           8
        .value_kind:     by_value
      - .address_space:  global
        .offset:         32
        .size:           8
        .value_kind:     global_buffer
      - .offset:         40
        .size:           8
        .value_kind:     by_value
      - .offset:         48
        .size:           8
        .value_kind:     by_value
      - .address_space:  global
        .offset:         56
        .size:           8
        .value_kind:     global_buffer
      - .offset:         64
        .size:           8
        .value_kind:     by_value
      - .offset:         72
        .size:           8
        .value_kind:     by_value
      - .offset:         80
        .size:           8
        .value_kind:     by_value
      - .address_space:  global
        .offset:         88
        .size:           8
        .value_kind:     global_buffer
      - .offset:         96
        .size:           8
        .value_kind:     by_value
      - .offset:         104
        .size:           8
        .value_kind:     by_value
      - .address_space:  global
        .offset:         112
        .size:           8
        .value_kind:     global_buffer
      - .offset:         120
        .size:           8
        .value_kind:     by_value
      - .offset:         128
        .size:           8
        .value_kind:     by_value
      - .offset:         136
        .size:           4
        .value_kind:     by_value
    .group_segment_fixed_size: 4096
    .kernarg_segment_align: 8
    .kernarg_segment_size: 140
    .language:       OpenCL C
    .language_version:
      - 2
      - 0
    .max_flat_workgroup_size: 256
    .name:           _ZN12_GLOBAL__N_127rocblas_gemm_batched_kernelIdLi16ELi16ELi32ELi32ELi8ELi32ELi8ELi8ELi32ELc67ELc78EKdS1_dEEvlllT_PT11_llS4_llS2_PT12_llPT13_lli
    .private_segment_fixed_size: 0
    .sgpr_count:     34
    .sgpr_spill_count: 0
    .symbol:         _ZN12_GLOBAL__N_127rocblas_gemm_batched_kernelIdLi16ELi16ELi32ELi32ELi8ELi32ELi8ELi8ELi32ELc67ELc78EKdS1_dEEvlllT_PT11_llS4_llS2_PT12_llPT13_lli.kd
    .uniform_work_group_size: 1
    .uses_dynamic_stack: false
    .vgpr_count:     62
    .vgpr_spill_count: 0
    .wavefront_size: 64
  - .agpr_count:     0
    .args:
      - .offset:         0
        .size:           8
        .value_kind:     by_value
      - .offset:         8
        .size:           8
        .value_kind:     by_value
      - .offset:         16
        .size:           8
        .value_kind:     by_value
      - .offset:         24
        .size:           8
        .value_kind:     by_value
      - .address_space:  global
        .offset:         32
        .size:           8
        .value_kind:     global_buffer
      - .offset:         40
        .size:           8
        .value_kind:     by_value
      - .offset:         48
        .size:           8
        .value_kind:     by_value
      - .address_space:  global
        .offset:         56
        .size:           8
        .value_kind:     global_buffer
      - .offset:         64
        .size:           8
        .value_kind:     by_value
      - .offset:         72
        .size:           8
        .value_kind:     by_value
      - .offset:         80
        .size:           8
        .value_kind:     by_value
      - .address_space:  global
        .offset:         88
        .size:           8
        .value_kind:     global_buffer
      - .offset:         96
        .size:           8
        .value_kind:     by_value
      - .offset:         104
        .size:           8
        .value_kind:     by_value
      - .address_space:  global
        .offset:         112
        .size:           8
        .value_kind:     global_buffer
      - .offset:         120
        .size:           8
        .value_kind:     by_value
      - .offset:         128
        .size:           8
        .value_kind:     by_value
      - .offset:         136
        .size:           4
        .value_kind:     by_value
    .group_segment_fixed_size: 4096
    .kernarg_segment_align: 8
    .kernarg_segment_size: 140
    .language:       OpenCL C
    .language_version:
      - 2
      - 0
    .max_flat_workgroup_size: 256
    .name:           _ZN12_GLOBAL__N_127rocblas_gemm_batched_kernelIdLi16ELi16ELi32ELi32ELi8ELi32ELi8ELi8ELi32ELc67ELc84EKdS1_dEEvlllT_PT11_llS4_llS2_PT12_llPT13_lli
    .private_segment_fixed_size: 0
    .sgpr_count:     34
    .sgpr_spill_count: 0
    .symbol:         _ZN12_GLOBAL__N_127rocblas_gemm_batched_kernelIdLi16ELi16ELi32ELi32ELi8ELi32ELi8ELi8ELi32ELc67ELc84EKdS1_dEEvlllT_PT11_llS4_llS2_PT12_llPT13_lli.kd
    .uniform_work_group_size: 1
    .uses_dynamic_stack: false
    .vgpr_count:     62
    .vgpr_spill_count: 0
    .wavefront_size: 64
  - .agpr_count:     0
    .args:
      - .offset:         0
        .size:           8
        .value_kind:     by_value
      - .offset:         8
        .size:           8
        .value_kind:     by_value
      - .offset:         16
        .size:           8
        .value_kind:     by_value
      - .offset:         24
        .size:           8
        .value_kind:     by_value
      - .address_space:  global
        .offset:         32
        .size:           8
        .value_kind:     global_buffer
      - .offset:         40
        .size:           8
        .value_kind:     by_value
      - .offset:         48
        .size:           8
        .value_kind:     by_value
      - .address_space:  global
        .offset:         56
        .size:           8
        .value_kind:     global_buffer
      - .offset:         64
        .size:           8
        .value_kind:     by_value
      - .offset:         72
        .size:           8
        .value_kind:     by_value
      - .offset:         80
        .size:           8
        .value_kind:     by_value
      - .address_space:  global
        .offset:         88
        .size:           8
        .value_kind:     global_buffer
      - .offset:         96
        .size:           8
        .value_kind:     by_value
      - .offset:         104
        .size:           8
        .value_kind:     by_value
      - .address_space:  global
        .offset:         112
        .size:           8
        .value_kind:     global_buffer
      - .offset:         120
        .size:           8
        .value_kind:     by_value
      - .offset:         128
        .size:           8
        .value_kind:     by_value
      - .offset:         136
        .size:           4
        .value_kind:     by_value
    .group_segment_fixed_size: 4096
    .kernarg_segment_align: 8
    .kernarg_segment_size: 140
    .language:       OpenCL C
    .language_version:
      - 2
      - 0
    .max_flat_workgroup_size: 256
    .name:           _ZN12_GLOBAL__N_127rocblas_gemm_batched_kernelIdLi16ELi16ELi32ELi32ELi8ELi32ELi8ELi8ELi32ELc78ELc67EKdS1_dEEvlllT_PT11_llS4_llS2_PT12_llPT13_lli
    .private_segment_fixed_size: 0
    .sgpr_count:     34
    .sgpr_spill_count: 0
    .symbol:         _ZN12_GLOBAL__N_127rocblas_gemm_batched_kernelIdLi16ELi16ELi32ELi32ELi8ELi32ELi8ELi8ELi32ELc78ELc67EKdS1_dEEvlllT_PT11_llS4_llS2_PT12_llPT13_lli.kd
    .uniform_work_group_size: 1
    .uses_dynamic_stack: false
    .vgpr_count:     62
    .vgpr_spill_count: 0
    .wavefront_size: 64
  - .agpr_count:     0
    .args:
      - .offset:         0
        .size:           8
        .value_kind:     by_value
      - .offset:         8
        .size:           8
        .value_kind:     by_value
      - .offset:         16
        .size:           8
        .value_kind:     by_value
      - .offset:         24
        .size:           8
        .value_kind:     by_value
      - .address_space:  global
        .offset:         32
        .size:           8
        .value_kind:     global_buffer
      - .offset:         40
        .size:           8
        .value_kind:     by_value
      - .offset:         48
        .size:           8
        .value_kind:     by_value
      - .address_space:  global
        .offset:         56
        .size:           8
        .value_kind:     global_buffer
      - .offset:         64
        .size:           8
        .value_kind:     by_value
      - .offset:         72
        .size:           8
        .value_kind:     by_value
      - .offset:         80
        .size:           8
        .value_kind:     by_value
      - .address_space:  global
        .offset:         88
        .size:           8
        .value_kind:     global_buffer
      - .offset:         96
        .size:           8
        .value_kind:     by_value
      - .offset:         104
        .size:           8
        .value_kind:     by_value
      - .address_space:  global
        .offset:         112
        .size:           8
        .value_kind:     global_buffer
      - .offset:         120
        .size:           8
        .value_kind:     by_value
      - .offset:         128
        .size:           8
        .value_kind:     by_value
      - .offset:         136
        .size:           4
        .value_kind:     by_value
    .group_segment_fixed_size: 4096
    .kernarg_segment_align: 8
    .kernarg_segment_size: 140
    .language:       OpenCL C
    .language_version:
      - 2
      - 0
    .max_flat_workgroup_size: 256
    .name:           _ZN12_GLOBAL__N_127rocblas_gemm_batched_kernelIdLi16ELi16ELi32ELi32ELi8ELi32ELi8ELi8ELi32ELc84ELc67EKdS1_dEEvlllT_PT11_llS4_llS2_PT12_llPT13_lli
    .private_segment_fixed_size: 0
    .sgpr_count:     34
    .sgpr_spill_count: 0
    .symbol:         _ZN12_GLOBAL__N_127rocblas_gemm_batched_kernelIdLi16ELi16ELi32ELi32ELi8ELi32ELi8ELi8ELi32ELc84ELc67EKdS1_dEEvlllT_PT11_llS4_llS2_PT12_llPT13_lli.kd
    .uniform_work_group_size: 1
    .uses_dynamic_stack: false
    .vgpr_count:     62
    .vgpr_spill_count: 0
    .wavefront_size: 64
  - .agpr_count:     0
    .args:
      - .offset:         0
        .size:           8
        .value_kind:     by_value
      - .offset:         8
        .size:           8
        .value_kind:     by_value
      - .offset:         16
        .size:           8
        .value_kind:     by_value
      - .offset:         24
        .size:           8
        .value_kind:     by_value
      - .address_space:  global
        .offset:         32
        .size:           8
        .value_kind:     global_buffer
      - .offset:         40
        .size:           8
        .value_kind:     by_value
      - .offset:         48
        .size:           8
        .value_kind:     by_value
      - .address_space:  global
        .offset:         56
        .size:           8
        .value_kind:     global_buffer
      - .offset:         64
        .size:           8
        .value_kind:     by_value
      - .offset:         72
        .size:           8
        .value_kind:     by_value
      - .offset:         80
        .size:           8
        .value_kind:     by_value
      - .address_space:  global
        .offset:         88
        .size:           8
        .value_kind:     global_buffer
      - .offset:         96
        .size:           8
        .value_kind:     by_value
      - .offset:         104
        .size:           8
        .value_kind:     by_value
      - .address_space:  global
        .offset:         112
        .size:           8
        .value_kind:     global_buffer
      - .offset:         120
        .size:           8
        .value_kind:     by_value
      - .offset:         128
        .size:           8
        .value_kind:     by_value
      - .offset:         136
        .size:           4
        .value_kind:     by_value
    .group_segment_fixed_size: 4096
    .kernarg_segment_align: 8
    .kernarg_segment_size: 140
    .language:       OpenCL C
    .language_version:
      - 2
      - 0
    .max_flat_workgroup_size: 256
    .name:           _ZN12_GLOBAL__N_135rocblas_gemm_batched_general_kernelIdLi16ELi16ELi32ELi32ELi8ELi32ELi8ELi8ELi32ELc78ELc78EKdS1_dEEvlllT_PT11_llS4_llS2_PT12_llPT13_lli
    .private_segment_fixed_size: 0
    .sgpr_count:     58
    .sgpr_spill_count: 0
    .symbol:         _ZN12_GLOBAL__N_135rocblas_gemm_batched_general_kernelIdLi16ELi16ELi32ELi32ELi8ELi32ELi8ELi8ELi32ELc78ELc78EKdS1_dEEvlllT_PT11_llS4_llS2_PT12_llPT13_lli.kd
    .uniform_work_group_size: 1
    .uses_dynamic_stack: false
    .vgpr_count:     58
    .vgpr_spill_count: 0
    .wavefront_size: 64
  - .agpr_count:     0
    .args:
      - .offset:         0
        .size:           8
        .value_kind:     by_value
      - .offset:         8
        .size:           8
        .value_kind:     by_value
      - .offset:         16
        .size:           8
        .value_kind:     by_value
      - .offset:         24
        .size:           8
        .value_kind:     by_value
      - .address_space:  global
        .offset:         32
        .size:           8
        .value_kind:     global_buffer
      - .offset:         40
        .size:           8
        .value_kind:     by_value
      - .offset:         48
        .size:           8
        .value_kind:     by_value
      - .address_space:  global
        .offset:         56
        .size:           8
        .value_kind:     global_buffer
      - .offset:         64
        .size:           8
        .value_kind:     by_value
      - .offset:         72
        .size:           8
        .value_kind:     by_value
      - .offset:         80
        .size:           8
        .value_kind:     by_value
      - .address_space:  global
        .offset:         88
        .size:           8
        .value_kind:     global_buffer
      - .offset:         96
        .size:           8
        .value_kind:     by_value
      - .offset:         104
        .size:           8
        .value_kind:     by_value
      - .address_space:  global
        .offset:         112
        .size:           8
        .value_kind:     global_buffer
      - .offset:         120
        .size:           8
        .value_kind:     by_value
      - .offset:         128
        .size:           8
        .value_kind:     by_value
      - .offset:         136
        .size:           4
        .value_kind:     by_value
    .group_segment_fixed_size: 4096
    .kernarg_segment_align: 8
    .kernarg_segment_size: 140
    .language:       OpenCL C
    .language_version:
      - 2
      - 0
    .max_flat_workgroup_size: 256
    .name:           _ZN12_GLOBAL__N_135rocblas_gemm_batched_general_kernelIdLi16ELi16ELi32ELi32ELi8ELi32ELi8ELi8ELi32ELc84ELc78EKdS1_dEEvlllT_PT11_llS4_llS2_PT12_llPT13_lli
    .private_segment_fixed_size: 0
    .sgpr_count:     58
    .sgpr_spill_count: 0
    .symbol:         _ZN12_GLOBAL__N_135rocblas_gemm_batched_general_kernelIdLi16ELi16ELi32ELi32ELi8ELi32ELi8ELi8ELi32ELc84ELc78EKdS1_dEEvlllT_PT11_llS4_llS2_PT12_llPT13_lli.kd
    .uniform_work_group_size: 1
    .uses_dynamic_stack: false
    .vgpr_count:     58
    .vgpr_spill_count: 0
    .wavefront_size: 64
  - .agpr_count:     0
    .args:
      - .offset:         0
        .size:           8
        .value_kind:     by_value
      - .offset:         8
        .size:           8
        .value_kind:     by_value
      - .offset:         16
        .size:           8
        .value_kind:     by_value
      - .offset:         24
        .size:           8
        .value_kind:     by_value
      - .address_space:  global
        .offset:         32
        .size:           8
        .value_kind:     global_buffer
      - .offset:         40
        .size:           8
        .value_kind:     by_value
      - .offset:         48
        .size:           8
        .value_kind:     by_value
      - .address_space:  global
        .offset:         56
        .size:           8
        .value_kind:     global_buffer
      - .offset:         64
        .size:           8
        .value_kind:     by_value
      - .offset:         72
        .size:           8
        .value_kind:     by_value
      - .offset:         80
        .size:           8
        .value_kind:     by_value
      - .address_space:  global
        .offset:         88
        .size:           8
        .value_kind:     global_buffer
      - .offset:         96
        .size:           8
        .value_kind:     by_value
      - .offset:         104
        .size:           8
        .value_kind:     by_value
      - .address_space:  global
        .offset:         112
        .size:           8
        .value_kind:     global_buffer
      - .offset:         120
        .size:           8
        .value_kind:     by_value
      - .offset:         128
        .size:           8
        .value_kind:     by_value
      - .offset:         136
        .size:           4
        .value_kind:     by_value
    .group_segment_fixed_size: 4096
    .kernarg_segment_align: 8
    .kernarg_segment_size: 140
    .language:       OpenCL C
    .language_version:
      - 2
      - 0
    .max_flat_workgroup_size: 256
    .name:           _ZN12_GLOBAL__N_135rocblas_gemm_batched_general_kernelIdLi16ELi16ELi32ELi32ELi8ELi32ELi8ELi8ELi32ELc78ELc84EKdS1_dEEvlllT_PT11_llS4_llS2_PT12_llPT13_lli
    .private_segment_fixed_size: 0
    .sgpr_count:     58
    .sgpr_spill_count: 0
    .symbol:         _ZN12_GLOBAL__N_135rocblas_gemm_batched_general_kernelIdLi16ELi16ELi32ELi32ELi8ELi32ELi8ELi8ELi32ELc78ELc84EKdS1_dEEvlllT_PT11_llS4_llS2_PT12_llPT13_lli.kd
    .uniform_work_group_size: 1
    .uses_dynamic_stack: false
    .vgpr_count:     58
    .vgpr_spill_count: 0
    .wavefront_size: 64
  - .agpr_count:     0
    .args:
      - .offset:         0
        .size:           8
        .value_kind:     by_value
      - .offset:         8
        .size:           8
        .value_kind:     by_value
      - .offset:         16
        .size:           8
        .value_kind:     by_value
      - .offset:         24
        .size:           8
        .value_kind:     by_value
      - .address_space:  global
        .offset:         32
        .size:           8
        .value_kind:     global_buffer
      - .offset:         40
        .size:           8
        .value_kind:     by_value
      - .offset:         48
        .size:           8
        .value_kind:     by_value
      - .address_space:  global
        .offset:         56
        .size:           8
        .value_kind:     global_buffer
      - .offset:         64
        .size:           8
        .value_kind:     by_value
      - .offset:         72
        .size:           8
        .value_kind:     by_value
      - .offset:         80
        .size:           8
        .value_kind:     by_value
      - .address_space:  global
        .offset:         88
        .size:           8
        .value_kind:     global_buffer
      - .offset:         96
        .size:           8
        .value_kind:     by_value
      - .offset:         104
        .size:           8
        .value_kind:     by_value
      - .address_space:  global
        .offset:         112
        .size:           8
        .value_kind:     global_buffer
      - .offset:         120
        .size:           8
        .value_kind:     by_value
      - .offset:         128
        .size:           8
        .value_kind:     by_value
      - .offset:         136
        .size:           4
        .value_kind:     by_value
    .group_segment_fixed_size: 4096
    .kernarg_segment_align: 8
    .kernarg_segment_size: 140
    .language:       OpenCL C
    .language_version:
      - 2
      - 0
    .max_flat_workgroup_size: 256
    .name:           _ZN12_GLOBAL__N_135rocblas_gemm_batched_general_kernelIdLi16ELi16ELi32ELi32ELi8ELi32ELi8ELi8ELi32ELc84ELc84EKdS1_dEEvlllT_PT11_llS4_llS2_PT12_llPT13_lli
    .private_segment_fixed_size: 0
    .sgpr_count:     58
    .sgpr_spill_count: 0
    .symbol:         _ZN12_GLOBAL__N_135rocblas_gemm_batched_general_kernelIdLi16ELi16ELi32ELi32ELi8ELi32ELi8ELi8ELi32ELc84ELc84EKdS1_dEEvlllT_PT11_llS4_llS2_PT12_llPT13_lli.kd
    .uniform_work_group_size: 1
    .uses_dynamic_stack: false
    .vgpr_count:     58
    .vgpr_spill_count: 0
    .wavefront_size: 64
  - .agpr_count:     0
    .args:
      - .offset:         0
        .size:           8
        .value_kind:     by_value
      - .offset:         8
        .size:           8
        .value_kind:     by_value
      - .offset:         16
        .size:           8
        .value_kind:     by_value
      - .offset:         24
        .size:           8
        .value_kind:     by_value
      - .address_space:  global
        .offset:         32
        .size:           8
        .value_kind:     global_buffer
      - .offset:         40
        .size:           8
        .value_kind:     by_value
      - .offset:         48
        .size:           8
        .value_kind:     by_value
      - .address_space:  global
        .offset:         56
        .size:           8
        .value_kind:     global_buffer
      - .offset:         64
        .size:           8
        .value_kind:     by_value
      - .offset:         72
        .size:           8
        .value_kind:     by_value
      - .offset:         80
        .size:           8
        .value_kind:     by_value
      - .address_space:  global
        .offset:         88
        .size:           8
        .value_kind:     global_buffer
      - .offset:         96
        .size:           8
        .value_kind:     by_value
      - .offset:         104
        .size:           8
        .value_kind:     by_value
      - .address_space:  global
        .offset:         112
        .size:           8
        .value_kind:     global_buffer
      - .offset:         120
        .size:           8
        .value_kind:     by_value
      - .offset:         128
        .size:           8
        .value_kind:     by_value
      - .offset:         136
        .size:           4
        .value_kind:     by_value
    .group_segment_fixed_size: 4096
    .kernarg_segment_align: 8
    .kernarg_segment_size: 140
    .language:       OpenCL C
    .language_version:
      - 2
      - 0
    .max_flat_workgroup_size: 256
    .name:           _ZN12_GLOBAL__N_135rocblas_gemm_batched_general_kernelIdLi16ELi16ELi32ELi32ELi8ELi32ELi8ELi8ELi32ELc67ELc67EKdS1_dEEvlllT_PT11_llS4_llS2_PT12_llPT13_lli
    .private_segment_fixed_size: 0
    .sgpr_count:     58
    .sgpr_spill_count: 0
    .symbol:         _ZN12_GLOBAL__N_135rocblas_gemm_batched_general_kernelIdLi16ELi16ELi32ELi32ELi8ELi32ELi8ELi8ELi32ELc67ELc67EKdS1_dEEvlllT_PT11_llS4_llS2_PT12_llPT13_lli.kd
    .uniform_work_group_size: 1
    .uses_dynamic_stack: false
    .vgpr_count:     58
    .vgpr_spill_count: 0
    .wavefront_size: 64
  - .agpr_count:     0
    .args:
      - .offset:         0
        .size:           8
        .value_kind:     by_value
      - .offset:         8
        .size:           8
        .value_kind:     by_value
      - .offset:         16
        .size:           8
        .value_kind:     by_value
      - .offset:         24
        .size:           8
        .value_kind:     by_value
      - .address_space:  global
        .offset:         32
        .size:           8
        .value_kind:     global_buffer
      - .offset:         40
        .size:           8
        .value_kind:     by_value
      - .offset:         48
        .size:           8
        .value_kind:     by_value
      - .address_space:  global
        .offset:         56
        .size:           8
        .value_kind:     global_buffer
      - .offset:         64
        .size:           8
        .value_kind:     by_value
      - .offset:         72
        .size:           8
        .value_kind:     by_value
      - .offset:         80
        .size:           8
        .value_kind:     by_value
      - .address_space:  global
        .offset:         88
        .size:           8
        .value_kind:     global_buffer
      - .offset:         96
        .size:           8
        .value_kind:     by_value
      - .offset:         104
        .size:           8
        .value_kind:     by_value
      - .address_space:  global
        .offset:         112
        .size:           8
        .value_kind:     global_buffer
      - .offset:         120
        .size:           8
        .value_kind:     by_value
      - .offset:         128
        .size:           8
        .value_kind:     by_value
      - .offset:         136
        .size:           4
        .value_kind:     by_value
    .group_segment_fixed_size: 4096
    .kernarg_segment_align: 8
    .kernarg_segment_size: 140
    .language:       OpenCL C
    .language_version:
      - 2
      - 0
    .max_flat_workgroup_size: 256
    .name:           _ZN12_GLOBAL__N_135rocblas_gemm_batched_general_kernelIdLi16ELi16ELi32ELi32ELi8ELi32ELi8ELi8ELi32ELc67ELc78EKdS1_dEEvlllT_PT11_llS4_llS2_PT12_llPT13_lli
    .private_segment_fixed_size: 0
    .sgpr_count:     58
    .sgpr_spill_count: 0
    .symbol:         _ZN12_GLOBAL__N_135rocblas_gemm_batched_general_kernelIdLi16ELi16ELi32ELi32ELi8ELi32ELi8ELi8ELi32ELc67ELc78EKdS1_dEEvlllT_PT11_llS4_llS2_PT12_llPT13_lli.kd
    .uniform_work_group_size: 1
    .uses_dynamic_stack: false
    .vgpr_count:     58
    .vgpr_spill_count: 0
    .wavefront_size: 64
  - .agpr_count:     0
    .args:
      - .offset:         0
        .size:           8
        .value_kind:     by_value
      - .offset:         8
        .size:           8
        .value_kind:     by_value
      - .offset:         16
        .size:           8
        .value_kind:     by_value
      - .offset:         24
        .size:           8
        .value_kind:     by_value
      - .address_space:  global
        .offset:         32
        .size:           8
        .value_kind:     global_buffer
      - .offset:         40
        .size:           8
        .value_kind:     by_value
      - .offset:         48
        .size:           8
        .value_kind:     by_value
      - .address_space:  global
        .offset:         56
        .size:           8
        .value_kind:     global_buffer
      - .offset:         64
        .size:           8
        .value_kind:     by_value
      - .offset:         72
        .size:           8
        .value_kind:     by_value
      - .offset:         80
        .size:           8
        .value_kind:     by_value
      - .address_space:  global
        .offset:         88
        .size:           8
        .value_kind:     global_buffer
      - .offset:         96
        .size:           8
        .value_kind:     by_value
      - .offset:         104
        .size:           8
        .value_kind:     by_value
      - .address_space:  global
        .offset:         112
        .size:           8
        .value_kind:     global_buffer
      - .offset:         120
        .size:           8
        .value_kind:     by_value
      - .offset:         128
        .size:           8
        .value_kind:     by_value
      - .offset:         136
        .size:           4
        .value_kind:     by_value
    .group_segment_fixed_size: 4096
    .kernarg_segment_align: 8
    .kernarg_segment_size: 140
    .language:       OpenCL C
    .language_version:
      - 2
      - 0
    .max_flat_workgroup_size: 256
    .name:           _ZN12_GLOBAL__N_135rocblas_gemm_batched_general_kernelIdLi16ELi16ELi32ELi32ELi8ELi32ELi8ELi8ELi32ELc67ELc84EKdS1_dEEvlllT_PT11_llS4_llS2_PT12_llPT13_lli
    .private_segment_fixed_size: 0
    .sgpr_count:     58
    .sgpr_spill_count: 0
    .symbol:         _ZN12_GLOBAL__N_135rocblas_gemm_batched_general_kernelIdLi16ELi16ELi32ELi32ELi8ELi32ELi8ELi8ELi32ELc67ELc84EKdS1_dEEvlllT_PT11_llS4_llS2_PT12_llPT13_lli.kd
    .uniform_work_group_size: 1
    .uses_dynamic_stack: false
    .vgpr_count:     58
    .vgpr_spill_count: 0
    .wavefront_size: 64
  - .agpr_count:     0
    .args:
      - .offset:         0
        .size:           8
        .value_kind:     by_value
      - .offset:         8
        .size:           8
        .value_kind:     by_value
      - .offset:         16
        .size:           8
        .value_kind:     by_value
      - .offset:         24
        .size:           8
        .value_kind:     by_value
      - .address_space:  global
        .offset:         32
        .size:           8
        .value_kind:     global_buffer
      - .offset:         40
        .size:           8
        .value_kind:     by_value
      - .offset:         48
        .size:           8
        .value_kind:     by_value
      - .address_space:  global
        .offset:         56
        .size:           8
        .value_kind:     global_buffer
      - .offset:         64
        .size:           8
        .value_kind:     by_value
      - .offset:         72
        .size:           8
        .value_kind:     by_value
      - .offset:         80
        .size:           8
        .value_kind:     by_value
      - .address_space:  global
        .offset:         88
        .size:           8
        .value_kind:     global_buffer
      - .offset:         96
        .size:           8
        .value_kind:     by_value
      - .offset:         104
        .size:           8
        .value_kind:     by_value
      - .address_space:  global
        .offset:         112
        .size:           8
        .value_kind:     global_buffer
      - .offset:         120
        .size:           8
        .value_kind:     by_value
      - .offset:         128
        .size:           8
        .value_kind:     by_value
      - .offset:         136
        .size:           4
        .value_kind:     by_value
    .group_segment_fixed_size: 4096
    .kernarg_segment_align: 8
    .kernarg_segment_size: 140
    .language:       OpenCL C
    .language_version:
      - 2
      - 0
    .max_flat_workgroup_size: 256
    .name:           _ZN12_GLOBAL__N_135rocblas_gemm_batched_general_kernelIdLi16ELi16ELi32ELi32ELi8ELi32ELi8ELi8ELi32ELc78ELc67EKdS1_dEEvlllT_PT11_llS4_llS2_PT12_llPT13_lli
    .private_segment_fixed_size: 0
    .sgpr_count:     58
    .sgpr_spill_count: 0
    .symbol:         _ZN12_GLOBAL__N_135rocblas_gemm_batched_general_kernelIdLi16ELi16ELi32ELi32ELi8ELi32ELi8ELi8ELi32ELc78ELc67EKdS1_dEEvlllT_PT11_llS4_llS2_PT12_llPT13_lli.kd
    .uniform_work_group_size: 1
    .uses_dynamic_stack: false
    .vgpr_count:     58
    .vgpr_spill_count: 0
    .wavefront_size: 64
  - .agpr_count:     0
    .args:
      - .offset:         0
        .size:           8
        .value_kind:     by_value
      - .offset:         8
        .size:           8
        .value_kind:     by_value
      - .offset:         16
        .size:           8
        .value_kind:     by_value
      - .offset:         24
        .size:           8
        .value_kind:     by_value
      - .address_space:  global
        .offset:         32
        .size:           8
        .value_kind:     global_buffer
      - .offset:         40
        .size:           8
        .value_kind:     by_value
      - .offset:         48
        .size:           8
        .value_kind:     by_value
      - .address_space:  global
        .offset:         56
        .size:           8
        .value_kind:     global_buffer
      - .offset:         64
        .size:           8
        .value_kind:     by_value
      - .offset:         72
        .size:           8
        .value_kind:     by_value
      - .offset:         80
        .size:           8
        .value_kind:     by_value
      - .address_space:  global
        .offset:         88
        .size:           8
        .value_kind:     global_buffer
      - .offset:         96
        .size:           8
        .value_kind:     by_value
      - .offset:         104
        .size:           8
        .value_kind:     by_value
      - .address_space:  global
        .offset:         112
        .size:           8
        .value_kind:     global_buffer
      - .offset:         120
        .size:           8
        .value_kind:     by_value
      - .offset:         128
        .size:           8
        .value_kind:     by_value
      - .offset:         136
        .size:           4
        .value_kind:     by_value
    .group_segment_fixed_size: 4096
    .kernarg_segment_align: 8
    .kernarg_segment_size: 140
    .language:       OpenCL C
    .language_version:
      - 2
      - 0
    .max_flat_workgroup_size: 256
    .name:           _ZN12_GLOBAL__N_135rocblas_gemm_batched_general_kernelIdLi16ELi16ELi32ELi32ELi8ELi32ELi8ELi8ELi32ELc84ELc67EKdS1_dEEvlllT_PT11_llS4_llS2_PT12_llPT13_lli
    .private_segment_fixed_size: 0
    .sgpr_count:     58
    .sgpr_spill_count: 0
    .symbol:         _ZN12_GLOBAL__N_135rocblas_gemm_batched_general_kernelIdLi16ELi16ELi32ELi32ELi8ELi32ELi8ELi8ELi32ELc84ELc67EKdS1_dEEvlllT_PT11_llS4_llS2_PT12_llPT13_lli.kd
    .uniform_work_group_size: 1
    .uses_dynamic_stack: false
    .vgpr_count:     58
    .vgpr_spill_count: 0
    .wavefront_size: 64
  - .agpr_count:     0
    .args:
      - .offset:         0
        .size:           4
        .value_kind:     by_value
      - .offset:         4
        .size:           4
        .value_kind:     by_value
      - .offset:         8
        .size:           8
        .value_kind:     by_value
      - .address_space:  global
        .offset:         16
        .size:           8
        .value_kind:     global_buffer
      - .offset:         24
        .size:           8
        .value_kind:     by_value
      - .offset:         32
        .size:           8
        .value_kind:     by_value
      - .offset:         40
        .size:           8
        .value_kind:     by_value
      - .offset:         48
        .size:           4
        .value_kind:     by_value
    .group_segment_fixed_size: 0
    .kernarg_segment_align: 8
    .kernarg_segment_size: 52
    .language:       OpenCL C
    .language_version:
      - 2
      - 0
    .max_flat_workgroup_size: 1024
    .name:           _ZN12_GLOBAL__N_125rocblas_gemm_scale_kernelILi32ELi32E19rocblas_complex_numIfEPS2_EEviiT1_T2_llli
    .private_segment_fixed_size: 0
    .sgpr_count:     26
    .sgpr_spill_count: 0
    .symbol:         _ZN12_GLOBAL__N_125rocblas_gemm_scale_kernelILi32ELi32E19rocblas_complex_numIfEPS2_EEviiT1_T2_llli.kd
    .uniform_work_group_size: 1
    .uses_dynamic_stack: false
    .vgpr_count:     10
    .vgpr_spill_count: 0
    .wavefront_size: 64
  - .agpr_count:     0
    .args:
      - .offset:         0
        .size:           4
        .value_kind:     by_value
      - .offset:         4
        .size:           4
        .value_kind:     by_value
      - .offset:         8
        .size:           8
        .value_kind:     by_value
      - .address_space:  global
        .offset:         16
        .size:           8
        .value_kind:     global_buffer
      - .offset:         24
        .size:           8
        .value_kind:     by_value
      - .offset:         32
        .size:           8
        .value_kind:     by_value
      - .offset:         40
        .size:           8
        .value_kind:     by_value
      - .address_space:  global
        .offset:         48
        .size:           8
        .value_kind:     global_buffer
      - .offset:         56
        .size:           8
        .value_kind:     by_value
      - .offset:         64
        .size:           8
        .value_kind:     by_value
      - .offset:         72
        .size:           8
        .value_kind:     by_value
      - .offset:         80
        .size:           4
        .value_kind:     by_value
    .group_segment_fixed_size: 0
    .kernarg_segment_align: 8
    .kernarg_segment_size: 84
    .language:       OpenCL C
    .language_version:
      - 2
      - 0
    .max_flat_workgroup_size: 1024
    .name:           _ZN12_GLOBAL__N_120gemm_ex_scale_kernelILi32ELi32E19rocblas_complex_numIfEPKS2_PS2_EEviiT1_T2_lllT3_llli
    .private_segment_fixed_size: 0
    .sgpr_count:     34
    .sgpr_spill_count: 0
    .symbol:         _ZN12_GLOBAL__N_120gemm_ex_scale_kernelILi32ELi32E19rocblas_complex_numIfEPKS2_PS2_EEviiT1_T2_lllT3_llli.kd
    .uniform_work_group_size: 1
    .uses_dynamic_stack: false
    .vgpr_count:     10
    .vgpr_spill_count: 0
    .wavefront_size: 64
  - .agpr_count:     0
    .args:
      - .offset:         0
        .size:           8
        .value_kind:     by_value
      - .offset:         8
        .size:           8
        .value_kind:     by_value
      - .offset:         16
        .size:           8
        .value_kind:     by_value
      - .offset:         24
        .size:           8
        .value_kind:     by_value
      - .address_space:  global
        .offset:         32
        .size:           8
        .value_kind:     global_buffer
      - .offset:         40
        .size:           8
        .value_kind:     by_value
      - .offset:         48
        .size:           8
        .value_kind:     by_value
      - .address_space:  global
        .offset:         56
        .size:           8
        .value_kind:     global_buffer
      - .offset:         64
        .size:           8
        .value_kind:     by_value
      - .offset:         72
        .size:           8
        .value_kind:     by_value
      - .offset:         80
        .size:           8
        .value_kind:     by_value
      - .address_space:  global
        .offset:         88
        .size:           8
        .value_kind:     global_buffer
      - .offset:         96
        .size:           8
        .value_kind:     by_value
      - .offset:         104
        .size:           8
        .value_kind:     by_value
      - .address_space:  global
        .offset:         112
        .size:           8
        .value_kind:     global_buffer
      - .offset:         120
        .size:           8
        .value_kind:     by_value
      - .offset:         128
        .size:           8
        .value_kind:     by_value
      - .offset:         136
        .size:           4
        .value_kind:     by_value
    .group_segment_fixed_size: 4096
    .kernarg_segment_align: 8
    .kernarg_segment_size: 140
    .language:       OpenCL C
    .language_version:
      - 2
      - 0
    .max_flat_workgroup_size: 256
    .name:           _ZN12_GLOBAL__N_127rocblas_gemm_batched_kernelI19rocblas_complex_numIfELi16ELi16ELi64ELi64ELi4ELi64ELi4ELi4ELi64ELc78ELc78EKS2_S3_S2_EEvlllT_PT11_llS6_llS4_PT12_llPT13_lli
    .private_segment_fixed_size: 0
    .sgpr_count:     34
    .sgpr_spill_count: 0
    .symbol:         _ZN12_GLOBAL__N_127rocblas_gemm_batched_kernelI19rocblas_complex_numIfELi16ELi16ELi64ELi64ELi4ELi64ELi4ELi4ELi64ELc78ELc78EKS2_S3_S2_EEvlllT_PT11_llS6_llS4_PT12_llPT13_lli.kd
    .uniform_work_group_size: 1
    .uses_dynamic_stack: false
    .vgpr_count:     108
    .vgpr_spill_count: 0
    .wavefront_size: 64
  - .agpr_count:     0
    .args:
      - .offset:         0
        .size:           8
        .value_kind:     by_value
      - .offset:         8
        .size:           8
        .value_kind:     by_value
      - .offset:         16
        .size:           8
        .value_kind:     by_value
      - .offset:         24
        .size:           8
        .value_kind:     by_value
      - .address_space:  global
        .offset:         32
        .size:           8
        .value_kind:     global_buffer
      - .offset:         40
        .size:           8
        .value_kind:     by_value
      - .offset:         48
        .size:           8
        .value_kind:     by_value
      - .address_space:  global
        .offset:         56
        .size:           8
        .value_kind:     global_buffer
      - .offset:         64
        .size:           8
        .value_kind:     by_value
      - .offset:         72
        .size:           8
        .value_kind:     by_value
      - .offset:         80
        .size:           8
        .value_kind:     by_value
      - .address_space:  global
        .offset:         88
        .size:           8
        .value_kind:     global_buffer
      - .offset:         96
        .size:           8
        .value_kind:     by_value
      - .offset:         104
        .size:           8
        .value_kind:     by_value
      - .address_space:  global
        .offset:         112
        .size:           8
        .value_kind:     global_buffer
      - .offset:         120
        .size:           8
        .value_kind:     by_value
      - .offset:         128
        .size:           8
        .value_kind:     by_value
      - .offset:         136
        .size:           4
        .value_kind:     by_value
    .group_segment_fixed_size: 4096
    .kernarg_segment_align: 8
    .kernarg_segment_size: 140
    .language:       OpenCL C
    .language_version:
      - 2
      - 0
    .max_flat_workgroup_size: 256
    .name:           _ZN12_GLOBAL__N_127rocblas_gemm_batched_kernelI19rocblas_complex_numIfELi16ELi16ELi64ELi64ELi4ELi64ELi4ELi4ELi64ELc84ELc78EKS2_S3_S2_EEvlllT_PT11_llS6_llS4_PT12_llPT13_lli
    .private_segment_fixed_size: 0
    .sgpr_count:     34
    .sgpr_spill_count: 0
    .symbol:         _ZN12_GLOBAL__N_127rocblas_gemm_batched_kernelI19rocblas_complex_numIfELi16ELi16ELi64ELi64ELi4ELi64ELi4ELi4ELi64ELc84ELc78EKS2_S3_S2_EEvlllT_PT11_llS6_llS4_PT12_llPT13_lli.kd
    .uniform_work_group_size: 1
    .uses_dynamic_stack: false
    .vgpr_count:     108
    .vgpr_spill_count: 0
    .wavefront_size: 64
  - .agpr_count:     0
    .args:
      - .offset:         0
        .size:           8
        .value_kind:     by_value
      - .offset:         8
        .size:           8
        .value_kind:     by_value
      - .offset:         16
        .size:           8
        .value_kind:     by_value
      - .offset:         24
        .size:           8
        .value_kind:     by_value
      - .address_space:  global
        .offset:         32
        .size:           8
        .value_kind:     global_buffer
      - .offset:         40
        .size:           8
        .value_kind:     by_value
      - .offset:         48
        .size:           8
        .value_kind:     by_value
      - .address_space:  global
        .offset:         56
        .size:           8
        .value_kind:     global_buffer
      - .offset:         64
        .size:           8
        .value_kind:     by_value
      - .offset:         72
        .size:           8
        .value_kind:     by_value
      - .offset:         80
        .size:           8
        .value_kind:     by_value
      - .address_space:  global
        .offset:         88
        .size:           8
        .value_kind:     global_buffer
      - .offset:         96
        .size:           8
        .value_kind:     by_value
      - .offset:         104
        .size:           8
        .value_kind:     by_value
      - .address_space:  global
        .offset:         112
        .size:           8
        .value_kind:     global_buffer
      - .offset:         120
        .size:           8
        .value_kind:     by_value
      - .offset:         128
        .size:           8
        .value_kind:     by_value
      - .offset:         136
        .size:           4
        .value_kind:     by_value
    .group_segment_fixed_size: 4096
    .kernarg_segment_align: 8
    .kernarg_segment_size: 140
    .language:       OpenCL C
    .language_version:
      - 2
      - 0
    .max_flat_workgroup_size: 256
    .name:           _ZN12_GLOBAL__N_127rocblas_gemm_batched_kernelI19rocblas_complex_numIfELi16ELi16ELi64ELi64ELi4ELi64ELi4ELi4ELi64ELc78ELc84EKS2_S3_S2_EEvlllT_PT11_llS6_llS4_PT12_llPT13_lli
    .private_segment_fixed_size: 0
    .sgpr_count:     34
    .sgpr_spill_count: 0
    .symbol:         _ZN12_GLOBAL__N_127rocblas_gemm_batched_kernelI19rocblas_complex_numIfELi16ELi16ELi64ELi64ELi4ELi64ELi4ELi4ELi64ELc78ELc84EKS2_S3_S2_EEvlllT_PT11_llS6_llS4_PT12_llPT13_lli.kd
    .uniform_work_group_size: 1
    .uses_dynamic_stack: false
    .vgpr_count:     108
    .vgpr_spill_count: 0
    .wavefront_size: 64
  - .agpr_count:     0
    .args:
      - .offset:         0
        .size:           8
        .value_kind:     by_value
      - .offset:         8
        .size:           8
        .value_kind:     by_value
      - .offset:         16
        .size:           8
        .value_kind:     by_value
      - .offset:         24
        .size:           8
        .value_kind:     by_value
      - .address_space:  global
        .offset:         32
        .size:           8
        .value_kind:     global_buffer
      - .offset:         40
        .size:           8
        .value_kind:     by_value
      - .offset:         48
        .size:           8
        .value_kind:     by_value
      - .address_space:  global
        .offset:         56
        .size:           8
        .value_kind:     global_buffer
      - .offset:         64
        .size:           8
        .value_kind:     by_value
      - .offset:         72
        .size:           8
        .value_kind:     by_value
      - .offset:         80
        .size:           8
        .value_kind:     by_value
      - .address_space:  global
        .offset:         88
        .size:           8
        .value_kind:     global_buffer
      - .offset:         96
        .size:           8
        .value_kind:     by_value
      - .offset:         104
        .size:           8
        .value_kind:     by_value
      - .address_space:  global
        .offset:         112
        .size:           8
        .value_kind:     global_buffer
      - .offset:         120
        .size:           8
        .value_kind:     by_value
      - .offset:         128
        .size:           8
        .value_kind:     by_value
      - .offset:         136
        .size:           4
        .value_kind:     by_value
    .group_segment_fixed_size: 4096
    .kernarg_segment_align: 8
    .kernarg_segment_size: 140
    .language:       OpenCL C
    .language_version:
      - 2
      - 0
    .max_flat_workgroup_size: 256
    .name:           _ZN12_GLOBAL__N_127rocblas_gemm_batched_kernelI19rocblas_complex_numIfELi16ELi16ELi64ELi64ELi4ELi64ELi4ELi4ELi64ELc84ELc84EKS2_S3_S2_EEvlllT_PT11_llS6_llS4_PT12_llPT13_lli
    .private_segment_fixed_size: 0
    .sgpr_count:     34
    .sgpr_spill_count: 0
    .symbol:         _ZN12_GLOBAL__N_127rocblas_gemm_batched_kernelI19rocblas_complex_numIfELi16ELi16ELi64ELi64ELi4ELi64ELi4ELi4ELi64ELc84ELc84EKS2_S3_S2_EEvlllT_PT11_llS6_llS4_PT12_llPT13_lli.kd
    .uniform_work_group_size: 1
    .uses_dynamic_stack: false
    .vgpr_count:     108
    .vgpr_spill_count: 0
    .wavefront_size: 64
  - .agpr_count:     0
    .args:
      - .offset:         0
        .size:           8
        .value_kind:     by_value
      - .offset:         8
        .size:           8
        .value_kind:     by_value
      - .offset:         16
        .size:           8
        .value_kind:     by_value
      - .offset:         24
        .size:           8
        .value_kind:     by_value
      - .address_space:  global
        .offset:         32
        .size:           8
        .value_kind:     global_buffer
      - .offset:         40
        .size:           8
        .value_kind:     by_value
      - .offset:         48
        .size:           8
        .value_kind:     by_value
      - .address_space:  global
        .offset:         56
        .size:           8
        .value_kind:     global_buffer
      - .offset:         64
        .size:           8
        .value_kind:     by_value
      - .offset:         72
        .size:           8
        .value_kind:     by_value
      - .offset:         80
        .size:           8
        .value_kind:     by_value
      - .address_space:  global
        .offset:         88
        .size:           8
        .value_kind:     global_buffer
      - .offset:         96
        .size:           8
        .value_kind:     by_value
      - .offset:         104
        .size:           8
        .value_kind:     by_value
      - .address_space:  global
        .offset:         112
        .size:           8
        .value_kind:     global_buffer
      - .offset:         120
        .size:           8
        .value_kind:     by_value
      - .offset:         128
        .size:           8
        .value_kind:     by_value
      - .offset:         136
        .size:           4
        .value_kind:     by_value
    .group_segment_fixed_size: 4096
    .kernarg_segment_align: 8
    .kernarg_segment_size: 140
    .language:       OpenCL C
    .language_version:
      - 2
      - 0
    .max_flat_workgroup_size: 256
    .name:           _ZN12_GLOBAL__N_127rocblas_gemm_batched_kernelI19rocblas_complex_numIfELi16ELi16ELi64ELi64ELi4ELi64ELi4ELi4ELi64ELc67ELc67EKS2_S3_S2_EEvlllT_PT11_llS6_llS4_PT12_llPT13_lli
    .private_segment_fixed_size: 0
    .sgpr_count:     34
    .sgpr_spill_count: 0
    .symbol:         _ZN12_GLOBAL__N_127rocblas_gemm_batched_kernelI19rocblas_complex_numIfELi16ELi16ELi64ELi64ELi4ELi64ELi4ELi4ELi64ELc67ELc67EKS2_S3_S2_EEvlllT_PT11_llS6_llS4_PT12_llPT13_lli.kd
    .uniform_work_group_size: 1
    .uses_dynamic_stack: false
    .vgpr_count:     108
    .vgpr_spill_count: 0
    .wavefront_size: 64
  - .agpr_count:     0
    .args:
      - .offset:         0
        .size:           8
        .value_kind:     by_value
      - .offset:         8
        .size:           8
        .value_kind:     by_value
      - .offset:         16
        .size:           8
        .value_kind:     by_value
      - .offset:         24
        .size:           8
        .value_kind:     by_value
      - .address_space:  global
        .offset:         32
        .size:           8
        .value_kind:     global_buffer
      - .offset:         40
        .size:           8
        .value_kind:     by_value
      - .offset:         48
        .size:           8
        .value_kind:     by_value
      - .address_space:  global
        .offset:         56
        .size:           8
        .value_kind:     global_buffer
      - .offset:         64
        .size:           8
        .value_kind:     by_value
      - .offset:         72
        .size:           8
        .value_kind:     by_value
      - .offset:         80
        .size:           8
        .value_kind:     by_value
      - .address_space:  global
        .offset:         88
        .size:           8
        .value_kind:     global_buffer
      - .offset:         96
        .size:           8
        .value_kind:     by_value
      - .offset:         104
        .size:           8
        .value_kind:     by_value
      - .address_space:  global
        .offset:         112
        .size:           8
        .value_kind:     global_buffer
      - .offset:         120
        .size:           8
        .value_kind:     by_value
      - .offset:         128
        .size:           8
        .value_kind:     by_value
      - .offset:         136
        .size:           4
        .value_kind:     by_value
    .group_segment_fixed_size: 4096
    .kernarg_segment_align: 8
    .kernarg_segment_size: 140
    .language:       OpenCL C
    .language_version:
      - 2
      - 0
    .max_flat_workgroup_size: 256
    .name:           _ZN12_GLOBAL__N_127rocblas_gemm_batched_kernelI19rocblas_complex_numIfELi16ELi16ELi64ELi64ELi4ELi64ELi4ELi4ELi64ELc67ELc78EKS2_S3_S2_EEvlllT_PT11_llS6_llS4_PT12_llPT13_lli
    .private_segment_fixed_size: 0
    .sgpr_count:     34
    .sgpr_spill_count: 0
    .symbol:         _ZN12_GLOBAL__N_127rocblas_gemm_batched_kernelI19rocblas_complex_numIfELi16ELi16ELi64ELi64ELi4ELi64ELi4ELi4ELi64ELc67ELc78EKS2_S3_S2_EEvlllT_PT11_llS6_llS4_PT12_llPT13_lli.kd
    .uniform_work_group_size: 1
    .uses_dynamic_stack: false
    .vgpr_count:     108
    .vgpr_spill_count: 0
    .wavefront_size: 64
  - .agpr_count:     0
    .args:
      - .offset:         0
        .size:           8
        .value_kind:     by_value
      - .offset:         8
        .size:           8
        .value_kind:     by_value
      - .offset:         16
        .size:           8
        .value_kind:     by_value
      - .offset:         24
        .size:           8
        .value_kind:     by_value
      - .address_space:  global
        .offset:         32
        .size:           8
        .value_kind:     global_buffer
      - .offset:         40
        .size:           8
        .value_kind:     by_value
      - .offset:         48
        .size:           8
        .value_kind:     by_value
      - .address_space:  global
        .offset:         56
        .size:           8
        .value_kind:     global_buffer
      - .offset:         64
        .size:           8
        .value_kind:     by_value
      - .offset:         72
        .size:           8
        .value_kind:     by_value
      - .offset:         80
        .size:           8
        .value_kind:     by_value
      - .address_space:  global
        .offset:         88
        .size:           8
        .value_kind:     global_buffer
      - .offset:         96
        .size:           8
        .value_kind:     by_value
      - .offset:         104
        .size:           8
        .value_kind:     by_value
      - .address_space:  global
        .offset:         112
        .size:           8
        .value_kind:     global_buffer
      - .offset:         120
        .size:           8
        .value_kind:     by_value
      - .offset:         128
        .size:           8
        .value_kind:     by_value
      - .offset:         136
        .size:           4
        .value_kind:     by_value
    .group_segment_fixed_size: 4096
    .kernarg_segment_align: 8
    .kernarg_segment_size: 140
    .language:       OpenCL C
    .language_version:
      - 2
      - 0
    .max_flat_workgroup_size: 256
    .name:           _ZN12_GLOBAL__N_127rocblas_gemm_batched_kernelI19rocblas_complex_numIfELi16ELi16ELi64ELi64ELi4ELi64ELi4ELi4ELi64ELc67ELc84EKS2_S3_S2_EEvlllT_PT11_llS6_llS4_PT12_llPT13_lli
    .private_segment_fixed_size: 0
    .sgpr_count:     34
    .sgpr_spill_count: 0
    .symbol:         _ZN12_GLOBAL__N_127rocblas_gemm_batched_kernelI19rocblas_complex_numIfELi16ELi16ELi64ELi64ELi4ELi64ELi4ELi4ELi64ELc67ELc84EKS2_S3_S2_EEvlllT_PT11_llS6_llS4_PT12_llPT13_lli.kd
    .uniform_work_group_size: 1
    .uses_dynamic_stack: false
    .vgpr_count:     108
    .vgpr_spill_count: 0
    .wavefront_size: 64
  - .agpr_count:     0
    .args:
      - .offset:         0
        .size:           8
        .value_kind:     by_value
      - .offset:         8
        .size:           8
        .value_kind:     by_value
      - .offset:         16
        .size:           8
        .value_kind:     by_value
      - .offset:         24
        .size:           8
        .value_kind:     by_value
      - .address_space:  global
        .offset:         32
        .size:           8
        .value_kind:     global_buffer
      - .offset:         40
        .size:           8
        .value_kind:     by_value
      - .offset:         48
        .size:           8
        .value_kind:     by_value
      - .address_space:  global
        .offset:         56
        .size:           8
        .value_kind:     global_buffer
      - .offset:         64
        .size:           8
        .value_kind:     by_value
      - .offset:         72
        .size:           8
        .value_kind:     by_value
      - .offset:         80
        .size:           8
        .value_kind:     by_value
      - .address_space:  global
        .offset:         88
        .size:           8
        .value_kind:     global_buffer
      - .offset:         96
        .size:           8
        .value_kind:     by_value
      - .offset:         104
        .size:           8
        .value_kind:     by_value
      - .address_space:  global
        .offset:         112
        .size:           8
        .value_kind:     global_buffer
      - .offset:         120
        .size:           8
        .value_kind:     by_value
      - .offset:         128
        .size:           8
        .value_kind:     by_value
      - .offset:         136
        .size:           4
        .value_kind:     by_value
    .group_segment_fixed_size: 4096
    .kernarg_segment_align: 8
    .kernarg_segment_size: 140
    .language:       OpenCL C
    .language_version:
      - 2
      - 0
    .max_flat_workgroup_size: 256
    .name:           _ZN12_GLOBAL__N_127rocblas_gemm_batched_kernelI19rocblas_complex_numIfELi16ELi16ELi64ELi64ELi4ELi64ELi4ELi4ELi64ELc78ELc67EKS2_S3_S2_EEvlllT_PT11_llS6_llS4_PT12_llPT13_lli
    .private_segment_fixed_size: 0
    .sgpr_count:     34
    .sgpr_spill_count: 0
    .symbol:         _ZN12_GLOBAL__N_127rocblas_gemm_batched_kernelI19rocblas_complex_numIfELi16ELi16ELi64ELi64ELi4ELi64ELi4ELi4ELi64ELc78ELc67EKS2_S3_S2_EEvlllT_PT11_llS6_llS4_PT12_llPT13_lli.kd
    .uniform_work_group_size: 1
    .uses_dynamic_stack: false
    .vgpr_count:     108
    .vgpr_spill_count: 0
    .wavefront_size: 64
  - .agpr_count:     0
    .args:
      - .offset:         0
        .size:           8
        .value_kind:     by_value
      - .offset:         8
        .size:           8
        .value_kind:     by_value
      - .offset:         16
        .size:           8
        .value_kind:     by_value
      - .offset:         24
        .size:           8
        .value_kind:     by_value
      - .address_space:  global
        .offset:         32
        .size:           8
        .value_kind:     global_buffer
      - .offset:         40
        .size:           8
        .value_kind:     by_value
      - .offset:         48
        .size:           8
        .value_kind:     by_value
      - .address_space:  global
        .offset:         56
        .size:           8
        .value_kind:     global_buffer
      - .offset:         64
        .size:           8
        .value_kind:     by_value
      - .offset:         72
        .size:           8
        .value_kind:     by_value
      - .offset:         80
        .size:           8
        .value_kind:     by_value
      - .address_space:  global
        .offset:         88
        .size:           8
        .value_kind:     global_buffer
      - .offset:         96
        .size:           8
        .value_kind:     by_value
      - .offset:         104
        .size:           8
        .value_kind:     by_value
      - .address_space:  global
        .offset:         112
        .size:           8
        .value_kind:     global_buffer
      - .offset:         120
        .size:           8
        .value_kind:     by_value
      - .offset:         128
        .size:           8
        .value_kind:     by_value
      - .offset:         136
        .size:           4
        .value_kind:     by_value
    .group_segment_fixed_size: 4096
    .kernarg_segment_align: 8
    .kernarg_segment_size: 140
    .language:       OpenCL C
    .language_version:
      - 2
      - 0
    .max_flat_workgroup_size: 256
    .name:           _ZN12_GLOBAL__N_127rocblas_gemm_batched_kernelI19rocblas_complex_numIfELi16ELi16ELi64ELi64ELi4ELi64ELi4ELi4ELi64ELc84ELc67EKS2_S3_S2_EEvlllT_PT11_llS6_llS4_PT12_llPT13_lli
    .private_segment_fixed_size: 0
    .sgpr_count:     34
    .sgpr_spill_count: 0
    .symbol:         _ZN12_GLOBAL__N_127rocblas_gemm_batched_kernelI19rocblas_complex_numIfELi16ELi16ELi64ELi64ELi4ELi64ELi4ELi4ELi64ELc84ELc67EKS2_S3_S2_EEvlllT_PT11_llS6_llS4_PT12_llPT13_lli.kd
    .uniform_work_group_size: 1
    .uses_dynamic_stack: false
    .vgpr_count:     108
    .vgpr_spill_count: 0
    .wavefront_size: 64
  - .agpr_count:     0
    .args:
      - .offset:         0
        .size:           8
        .value_kind:     by_value
      - .offset:         8
        .size:           8
        .value_kind:     by_value
      - .offset:         16
        .size:           8
        .value_kind:     by_value
      - .offset:         24
        .size:           8
        .value_kind:     by_value
      - .address_space:  global
        .offset:         32
        .size:           8
        .value_kind:     global_buffer
      - .offset:         40
        .size:           8
        .value_kind:     by_value
      - .offset:         48
        .size:           8
        .value_kind:     by_value
      - .address_space:  global
        .offset:         56
        .size:           8
        .value_kind:     global_buffer
      - .offset:         64
        .size:           8
        .value_kind:     by_value
      - .offset:         72
        .size:           8
        .value_kind:     by_value
      - .offset:         80
        .size:           8
        .value_kind:     by_value
      - .address_space:  global
        .offset:         88
        .size:           8
        .value_kind:     global_buffer
      - .offset:         96
        .size:           8
        .value_kind:     by_value
      - .offset:         104
        .size:           8
        .value_kind:     by_value
      - .address_space:  global
        .offset:         112
        .size:           8
        .value_kind:     global_buffer
      - .offset:         120
        .size:           8
        .value_kind:     by_value
      - .offset:         128
        .size:           8
        .value_kind:     by_value
      - .offset:         136
        .size:           4
        .value_kind:     by_value
    .group_segment_fixed_size: 4096
    .kernarg_segment_align: 8
    .kernarg_segment_size: 140
    .language:       OpenCL C
    .language_version:
      - 2
      - 0
    .max_flat_workgroup_size: 256
    .name:           _ZN12_GLOBAL__N_127rocblas_gemm_batched_kernelI19rocblas_complex_numIfELi16ELi16ELi32ELi32ELi8ELi32ELi8ELi8ELi32ELc78ELc78EKS2_S3_S2_EEvlllT_PT11_llS6_llS4_PT12_llPT13_lli
    .private_segment_fixed_size: 0
    .sgpr_count:     34
    .sgpr_spill_count: 0
    .symbol:         _ZN12_GLOBAL__N_127rocblas_gemm_batched_kernelI19rocblas_complex_numIfELi16ELi16ELi32ELi32ELi8ELi32ELi8ELi8ELi32ELc78ELc78EKS2_S3_S2_EEvlllT_PT11_llS6_llS4_PT12_llPT13_lli.kd
    .uniform_work_group_size: 1
    .uses_dynamic_stack: false
    .vgpr_count:     102
    .vgpr_spill_count: 0
    .wavefront_size: 64
  - .agpr_count:     0
    .args:
      - .offset:         0
        .size:           8
        .value_kind:     by_value
      - .offset:         8
        .size:           8
        .value_kind:     by_value
      - .offset:         16
        .size:           8
        .value_kind:     by_value
      - .offset:         24
        .size:           8
        .value_kind:     by_value
      - .address_space:  global
        .offset:         32
        .size:           8
        .value_kind:     global_buffer
      - .offset:         40
        .size:           8
        .value_kind:     by_value
      - .offset:         48
        .size:           8
        .value_kind:     by_value
      - .address_space:  global
        .offset:         56
        .size:           8
        .value_kind:     global_buffer
      - .offset:         64
        .size:           8
        .value_kind:     by_value
      - .offset:         72
        .size:           8
        .value_kind:     by_value
      - .offset:         80
        .size:           8
        .value_kind:     by_value
      - .address_space:  global
        .offset:         88
        .size:           8
        .value_kind:     global_buffer
      - .offset:         96
        .size:           8
        .value_kind:     by_value
      - .offset:         104
        .size:           8
        .value_kind:     by_value
      - .address_space:  global
        .offset:         112
        .size:           8
        .value_kind:     global_buffer
      - .offset:         120
        .size:           8
        .value_kind:     by_value
      - .offset:         128
        .size:           8
        .value_kind:     by_value
      - .offset:         136
        .size:           4
        .value_kind:     by_value
    .group_segment_fixed_size: 4096
    .kernarg_segment_align: 8
    .kernarg_segment_size: 140
    .language:       OpenCL C
    .language_version:
      - 2
      - 0
    .max_flat_workgroup_size: 256
    .name:           _ZN12_GLOBAL__N_127rocblas_gemm_batched_kernelI19rocblas_complex_numIfELi16ELi16ELi32ELi32ELi8ELi32ELi8ELi8ELi32ELc84ELc78EKS2_S3_S2_EEvlllT_PT11_llS6_llS4_PT12_llPT13_lli
    .private_segment_fixed_size: 0
    .sgpr_count:     34
    .sgpr_spill_count: 0
    .symbol:         _ZN12_GLOBAL__N_127rocblas_gemm_batched_kernelI19rocblas_complex_numIfELi16ELi16ELi32ELi32ELi8ELi32ELi8ELi8ELi32ELc84ELc78EKS2_S3_S2_EEvlllT_PT11_llS6_llS4_PT12_llPT13_lli.kd
    .uniform_work_group_size: 1
    .uses_dynamic_stack: false
    .vgpr_count:     102
    .vgpr_spill_count: 0
    .wavefront_size: 64
  - .agpr_count:     0
    .args:
      - .offset:         0
        .size:           8
        .value_kind:     by_value
      - .offset:         8
        .size:           8
        .value_kind:     by_value
      - .offset:         16
        .size:           8
        .value_kind:     by_value
      - .offset:         24
        .size:           8
        .value_kind:     by_value
      - .address_space:  global
        .offset:         32
        .size:           8
        .value_kind:     global_buffer
      - .offset:         40
        .size:           8
        .value_kind:     by_value
      - .offset:         48
        .size:           8
        .value_kind:     by_value
      - .address_space:  global
        .offset:         56
        .size:           8
        .value_kind:     global_buffer
      - .offset:         64
        .size:           8
        .value_kind:     by_value
      - .offset:         72
        .size:           8
        .value_kind:     by_value
      - .offset:         80
        .size:           8
        .value_kind:     by_value
      - .address_space:  global
        .offset:         88
        .size:           8
        .value_kind:     global_buffer
      - .offset:         96
        .size:           8
        .value_kind:     by_value
      - .offset:         104
        .size:           8
        .value_kind:     by_value
      - .address_space:  global
        .offset:         112
        .size:           8
        .value_kind:     global_buffer
      - .offset:         120
        .size:           8
        .value_kind:     by_value
      - .offset:         128
        .size:           8
        .value_kind:     by_value
      - .offset:         136
        .size:           4
        .value_kind:     by_value
    .group_segment_fixed_size: 4096
    .kernarg_segment_align: 8
    .kernarg_segment_size: 140
    .language:       OpenCL C
    .language_version:
      - 2
      - 0
    .max_flat_workgroup_size: 256
    .name:           _ZN12_GLOBAL__N_127rocblas_gemm_batched_kernelI19rocblas_complex_numIfELi16ELi16ELi32ELi32ELi8ELi32ELi8ELi8ELi32ELc78ELc84EKS2_S3_S2_EEvlllT_PT11_llS6_llS4_PT12_llPT13_lli
    .private_segment_fixed_size: 0
    .sgpr_count:     34
    .sgpr_spill_count: 0
    .symbol:         _ZN12_GLOBAL__N_127rocblas_gemm_batched_kernelI19rocblas_complex_numIfELi16ELi16ELi32ELi32ELi8ELi32ELi8ELi8ELi32ELc78ELc84EKS2_S3_S2_EEvlllT_PT11_llS6_llS4_PT12_llPT13_lli.kd
    .uniform_work_group_size: 1
    .uses_dynamic_stack: false
    .vgpr_count:     102
    .vgpr_spill_count: 0
    .wavefront_size: 64
  - .agpr_count:     0
    .args:
      - .offset:         0
        .size:           8
        .value_kind:     by_value
      - .offset:         8
        .size:           8
        .value_kind:     by_value
      - .offset:         16
        .size:           8
        .value_kind:     by_value
      - .offset:         24
        .size:           8
        .value_kind:     by_value
      - .address_space:  global
        .offset:         32
        .size:           8
        .value_kind:     global_buffer
      - .offset:         40
        .size:           8
        .value_kind:     by_value
      - .offset:         48
        .size:           8
        .value_kind:     by_value
      - .address_space:  global
        .offset:         56
        .size:           8
        .value_kind:     global_buffer
      - .offset:         64
        .size:           8
        .value_kind:     by_value
      - .offset:         72
        .size:           8
        .value_kind:     by_value
      - .offset:         80
        .size:           8
        .value_kind:     by_value
      - .address_space:  global
        .offset:         88
        .size:           8
        .value_kind:     global_buffer
      - .offset:         96
        .size:           8
        .value_kind:     by_value
      - .offset:         104
        .size:           8
        .value_kind:     by_value
      - .address_space:  global
        .offset:         112
        .size:           8
        .value_kind:     global_buffer
      - .offset:         120
        .size:           8
        .value_kind:     by_value
      - .offset:         128
        .size:           8
        .value_kind:     by_value
      - .offset:         136
        .size:           4
        .value_kind:     by_value
    .group_segment_fixed_size: 4096
    .kernarg_segment_align: 8
    .kernarg_segment_size: 140
    .language:       OpenCL C
    .language_version:
      - 2
      - 0
    .max_flat_workgroup_size: 256
    .name:           _ZN12_GLOBAL__N_127rocblas_gemm_batched_kernelI19rocblas_complex_numIfELi16ELi16ELi32ELi32ELi8ELi32ELi8ELi8ELi32ELc84ELc84EKS2_S3_S2_EEvlllT_PT11_llS6_llS4_PT12_llPT13_lli
    .private_segment_fixed_size: 0
    .sgpr_count:     34
    .sgpr_spill_count: 0
    .symbol:         _ZN12_GLOBAL__N_127rocblas_gemm_batched_kernelI19rocblas_complex_numIfELi16ELi16ELi32ELi32ELi8ELi32ELi8ELi8ELi32ELc84ELc84EKS2_S3_S2_EEvlllT_PT11_llS6_llS4_PT12_llPT13_lli.kd
    .uniform_work_group_size: 1
    .uses_dynamic_stack: false
    .vgpr_count:     102
    .vgpr_spill_count: 0
    .wavefront_size: 64
  - .agpr_count:     0
    .args:
      - .offset:         0
        .size:           8
        .value_kind:     by_value
      - .offset:         8
        .size:           8
        .value_kind:     by_value
      - .offset:         16
        .size:           8
        .value_kind:     by_value
      - .offset:         24
        .size:           8
        .value_kind:     by_value
      - .address_space:  global
        .offset:         32
        .size:           8
        .value_kind:     global_buffer
      - .offset:         40
        .size:           8
        .value_kind:     by_value
      - .offset:         48
        .size:           8
        .value_kind:     by_value
      - .address_space:  global
        .offset:         56
        .size:           8
        .value_kind:     global_buffer
      - .offset:         64
        .size:           8
        .value_kind:     by_value
      - .offset:         72
        .size:           8
        .value_kind:     by_value
      - .offset:         80
        .size:           8
        .value_kind:     by_value
      - .address_space:  global
        .offset:         88
        .size:           8
        .value_kind:     global_buffer
      - .offset:         96
        .size:           8
        .value_kind:     by_value
      - .offset:         104
        .size:           8
        .value_kind:     by_value
      - .address_space:  global
        .offset:         112
        .size:           8
        .value_kind:     global_buffer
      - .offset:         120
        .size:           8
        .value_kind:     by_value
      - .offset:         128
        .size:           8
        .value_kind:     by_value
      - .offset:         136
        .size:           4
        .value_kind:     by_value
    .group_segment_fixed_size: 4096
    .kernarg_segment_align: 8
    .kernarg_segment_size: 140
    .language:       OpenCL C
    .language_version:
      - 2
      - 0
    .max_flat_workgroup_size: 256
    .name:           _ZN12_GLOBAL__N_127rocblas_gemm_batched_kernelI19rocblas_complex_numIfELi16ELi16ELi32ELi32ELi8ELi32ELi8ELi8ELi32ELc67ELc67EKS2_S3_S2_EEvlllT_PT11_llS6_llS4_PT12_llPT13_lli
    .private_segment_fixed_size: 0
    .sgpr_count:     34
    .sgpr_spill_count: 0
    .symbol:         _ZN12_GLOBAL__N_127rocblas_gemm_batched_kernelI19rocblas_complex_numIfELi16ELi16ELi32ELi32ELi8ELi32ELi8ELi8ELi32ELc67ELc67EKS2_S3_S2_EEvlllT_PT11_llS6_llS4_PT12_llPT13_lli.kd
    .uniform_work_group_size: 1
    .uses_dynamic_stack: false
    .vgpr_count:     102
    .vgpr_spill_count: 0
    .wavefront_size: 64
  - .agpr_count:     0
    .args:
      - .offset:         0
        .size:           8
        .value_kind:     by_value
      - .offset:         8
        .size:           8
        .value_kind:     by_value
      - .offset:         16
        .size:           8
        .value_kind:     by_value
      - .offset:         24
        .size:           8
        .value_kind:     by_value
      - .address_space:  global
        .offset:         32
        .size:           8
        .value_kind:     global_buffer
      - .offset:         40
        .size:           8
        .value_kind:     by_value
      - .offset:         48
        .size:           8
        .value_kind:     by_value
      - .address_space:  global
        .offset:         56
        .size:           8
        .value_kind:     global_buffer
      - .offset:         64
        .size:           8
        .value_kind:     by_value
      - .offset:         72
        .size:           8
        .value_kind:     by_value
      - .offset:         80
        .size:           8
        .value_kind:     by_value
      - .address_space:  global
        .offset:         88
        .size:           8
        .value_kind:     global_buffer
      - .offset:         96
        .size:           8
        .value_kind:     by_value
      - .offset:         104
        .size:           8
        .value_kind:     by_value
      - .address_space:  global
        .offset:         112
        .size:           8
        .value_kind:     global_buffer
      - .offset:         120
        .size:           8
        .value_kind:     by_value
      - .offset:         128
        .size:           8
        .value_kind:     by_value
      - .offset:         136
        .size:           4
        .value_kind:     by_value
    .group_segment_fixed_size: 4096
    .kernarg_segment_align: 8
    .kernarg_segment_size: 140
    .language:       OpenCL C
    .language_version:
      - 2
      - 0
    .max_flat_workgroup_size: 256
    .name:           _ZN12_GLOBAL__N_127rocblas_gemm_batched_kernelI19rocblas_complex_numIfELi16ELi16ELi32ELi32ELi8ELi32ELi8ELi8ELi32ELc67ELc78EKS2_S3_S2_EEvlllT_PT11_llS6_llS4_PT12_llPT13_lli
    .private_segment_fixed_size: 0
    .sgpr_count:     34
    .sgpr_spill_count: 0
    .symbol:         _ZN12_GLOBAL__N_127rocblas_gemm_batched_kernelI19rocblas_complex_numIfELi16ELi16ELi32ELi32ELi8ELi32ELi8ELi8ELi32ELc67ELc78EKS2_S3_S2_EEvlllT_PT11_llS6_llS4_PT12_llPT13_lli.kd
    .uniform_work_group_size: 1
    .uses_dynamic_stack: false
    .vgpr_count:     102
    .vgpr_spill_count: 0
    .wavefront_size: 64
  - .agpr_count:     0
    .args:
      - .offset:         0
        .size:           8
        .value_kind:     by_value
      - .offset:         8
        .size:           8
        .value_kind:     by_value
      - .offset:         16
        .size:           8
        .value_kind:     by_value
      - .offset:         24
        .size:           8
        .value_kind:     by_value
      - .address_space:  global
        .offset:         32
        .size:           8
        .value_kind:     global_buffer
      - .offset:         40
        .size:           8
        .value_kind:     by_value
      - .offset:         48
        .size:           8
        .value_kind:     by_value
      - .address_space:  global
        .offset:         56
        .size:           8
        .value_kind:     global_buffer
      - .offset:         64
        .size:           8
        .value_kind:     by_value
      - .offset:         72
        .size:           8
        .value_kind:     by_value
      - .offset:         80
        .size:           8
        .value_kind:     by_value
      - .address_space:  global
        .offset:         88
        .size:           8
        .value_kind:     global_buffer
      - .offset:         96
        .size:           8
        .value_kind:     by_value
      - .offset:         104
        .size:           8
        .value_kind:     by_value
      - .address_space:  global
        .offset:         112
        .size:           8
        .value_kind:     global_buffer
      - .offset:         120
        .size:           8
        .value_kind:     by_value
      - .offset:         128
        .size:           8
        .value_kind:     by_value
      - .offset:         136
        .size:           4
        .value_kind:     by_value
    .group_segment_fixed_size: 4096
    .kernarg_segment_align: 8
    .kernarg_segment_size: 140
    .language:       OpenCL C
    .language_version:
      - 2
      - 0
    .max_flat_workgroup_size: 256
    .name:           _ZN12_GLOBAL__N_127rocblas_gemm_batched_kernelI19rocblas_complex_numIfELi16ELi16ELi32ELi32ELi8ELi32ELi8ELi8ELi32ELc67ELc84EKS2_S3_S2_EEvlllT_PT11_llS6_llS4_PT12_llPT13_lli
    .private_segment_fixed_size: 0
    .sgpr_count:     34
    .sgpr_spill_count: 0
    .symbol:         _ZN12_GLOBAL__N_127rocblas_gemm_batched_kernelI19rocblas_complex_numIfELi16ELi16ELi32ELi32ELi8ELi32ELi8ELi8ELi32ELc67ELc84EKS2_S3_S2_EEvlllT_PT11_llS6_llS4_PT12_llPT13_lli.kd
    .uniform_work_group_size: 1
    .uses_dynamic_stack: false
    .vgpr_count:     102
    .vgpr_spill_count: 0
    .wavefront_size: 64
  - .agpr_count:     0
    .args:
      - .offset:         0
        .size:           8
        .value_kind:     by_value
      - .offset:         8
        .size:           8
        .value_kind:     by_value
      - .offset:         16
        .size:           8
        .value_kind:     by_value
      - .offset:         24
        .size:           8
        .value_kind:     by_value
      - .address_space:  global
        .offset:         32
        .size:           8
        .value_kind:     global_buffer
      - .offset:         40
        .size:           8
        .value_kind:     by_value
      - .offset:         48
        .size:           8
        .value_kind:     by_value
      - .address_space:  global
        .offset:         56
        .size:           8
        .value_kind:     global_buffer
      - .offset:         64
        .size:           8
        .value_kind:     by_value
      - .offset:         72
        .size:           8
        .value_kind:     by_value
      - .offset:         80
        .size:           8
        .value_kind:     by_value
      - .address_space:  global
        .offset:         88
        .size:           8
        .value_kind:     global_buffer
      - .offset:         96
        .size:           8
        .value_kind:     by_value
      - .offset:         104
        .size:           8
        .value_kind:     by_value
      - .address_space:  global
        .offset:         112
        .size:           8
        .value_kind:     global_buffer
      - .offset:         120
        .size:           8
        .value_kind:     by_value
      - .offset:         128
        .size:           8
        .value_kind:     by_value
      - .offset:         136
        .size:           4
        .value_kind:     by_value
    .group_segment_fixed_size: 4096
    .kernarg_segment_align: 8
    .kernarg_segment_size: 140
    .language:       OpenCL C
    .language_version:
      - 2
      - 0
    .max_flat_workgroup_size: 256
    .name:           _ZN12_GLOBAL__N_127rocblas_gemm_batched_kernelI19rocblas_complex_numIfELi16ELi16ELi32ELi32ELi8ELi32ELi8ELi8ELi32ELc78ELc67EKS2_S3_S2_EEvlllT_PT11_llS6_llS4_PT12_llPT13_lli
    .private_segment_fixed_size: 0
    .sgpr_count:     34
    .sgpr_spill_count: 0
    .symbol:         _ZN12_GLOBAL__N_127rocblas_gemm_batched_kernelI19rocblas_complex_numIfELi16ELi16ELi32ELi32ELi8ELi32ELi8ELi8ELi32ELc78ELc67EKS2_S3_S2_EEvlllT_PT11_llS6_llS4_PT12_llPT13_lli.kd
    .uniform_work_group_size: 1
    .uses_dynamic_stack: false
    .vgpr_count:     102
    .vgpr_spill_count: 0
    .wavefront_size: 64
  - .agpr_count:     0
    .args:
      - .offset:         0
        .size:           8
        .value_kind:     by_value
      - .offset:         8
        .size:           8
        .value_kind:     by_value
      - .offset:         16
        .size:           8
        .value_kind:     by_value
      - .offset:         24
        .size:           8
        .value_kind:     by_value
      - .address_space:  global
        .offset:         32
        .size:           8
        .value_kind:     global_buffer
      - .offset:         40
        .size:           8
        .value_kind:     by_value
      - .offset:         48
        .size:           8
        .value_kind:     by_value
      - .address_space:  global
        .offset:         56
        .size:           8
        .value_kind:     global_buffer
      - .offset:         64
        .size:           8
        .value_kind:     by_value
      - .offset:         72
        .size:           8
        .value_kind:     by_value
      - .offset:         80
        .size:           8
        .value_kind:     by_value
      - .address_space:  global
        .offset:         88
        .size:           8
        .value_kind:     global_buffer
      - .offset:         96
        .size:           8
        .value_kind:     by_value
      - .offset:         104
        .size:           8
        .value_kind:     by_value
      - .address_space:  global
        .offset:         112
        .size:           8
        .value_kind:     global_buffer
      - .offset:         120
        .size:           8
        .value_kind:     by_value
      - .offset:         128
        .size:           8
        .value_kind:     by_value
      - .offset:         136
        .size:           4
        .value_kind:     by_value
    .group_segment_fixed_size: 4096
    .kernarg_segment_align: 8
    .kernarg_segment_size: 140
    .language:       OpenCL C
    .language_version:
      - 2
      - 0
    .max_flat_workgroup_size: 256
    .name:           _ZN12_GLOBAL__N_127rocblas_gemm_batched_kernelI19rocblas_complex_numIfELi16ELi16ELi32ELi32ELi8ELi32ELi8ELi8ELi32ELc84ELc67EKS2_S3_S2_EEvlllT_PT11_llS6_llS4_PT12_llPT13_lli
    .private_segment_fixed_size: 0
    .sgpr_count:     34
    .sgpr_spill_count: 0
    .symbol:         _ZN12_GLOBAL__N_127rocblas_gemm_batched_kernelI19rocblas_complex_numIfELi16ELi16ELi32ELi32ELi8ELi32ELi8ELi8ELi32ELc84ELc67EKS2_S3_S2_EEvlllT_PT11_llS6_llS4_PT12_llPT13_lli.kd
    .uniform_work_group_size: 1
    .uses_dynamic_stack: false
    .vgpr_count:     102
    .vgpr_spill_count: 0
    .wavefront_size: 64
  - .agpr_count:     0
    .args:
      - .offset:         0
        .size:           8
        .value_kind:     by_value
      - .offset:         8
        .size:           8
        .value_kind:     by_value
      - .offset:         16
        .size:           8
        .value_kind:     by_value
      - .offset:         24
        .size:           8
        .value_kind:     by_value
      - .address_space:  global
        .offset:         32
        .size:           8
        .value_kind:     global_buffer
      - .offset:         40
        .size:           8
        .value_kind:     by_value
      - .offset:         48
        .size:           8
        .value_kind:     by_value
      - .address_space:  global
        .offset:         56
        .size:           8
        .value_kind:     global_buffer
      - .offset:         64
        .size:           8
        .value_kind:     by_value
      - .offset:         72
        .size:           8
        .value_kind:     by_value
      - .offset:         80
        .size:           8
        .value_kind:     by_value
      - .address_space:  global
        .offset:         88
        .size:           8
        .value_kind:     global_buffer
      - .offset:         96
        .size:           8
        .value_kind:     by_value
      - .offset:         104
        .size:           8
        .value_kind:     by_value
      - .address_space:  global
        .offset:         112
        .size:           8
        .value_kind:     global_buffer
      - .offset:         120
        .size:           8
        .value_kind:     by_value
      - .offset:         128
        .size:           8
        .value_kind:     by_value
      - .offset:         136
        .size:           4
        .value_kind:     by_value
    .group_segment_fixed_size: 4096
    .kernarg_segment_align: 8
    .kernarg_segment_size: 140
    .language:       OpenCL C
    .language_version:
      - 2
      - 0
    .max_flat_workgroup_size: 256
    .name:           _ZN12_GLOBAL__N_135rocblas_gemm_batched_general_kernelI19rocblas_complex_numIfELi16ELi16ELi32ELi32ELi8ELi32ELi8ELi8ELi32ELc78ELc78EKS2_S3_S2_EEvlllT_PT11_llS6_llS4_PT12_llPT13_lli
    .private_segment_fixed_size: 0
    .sgpr_count:     46
    .sgpr_spill_count: 0
    .symbol:         _ZN12_GLOBAL__N_135rocblas_gemm_batched_general_kernelI19rocblas_complex_numIfELi16ELi16ELi32ELi32ELi8ELi32ELi8ELi8ELi32ELc78ELc78EKS2_S3_S2_EEvlllT_PT11_llS6_llS4_PT12_llPT13_lli.kd
    .uniform_work_group_size: 1
    .uses_dynamic_stack: false
    .vgpr_count:     136
    .vgpr_spill_count: 0
    .wavefront_size: 64
  - .agpr_count:     0
    .args:
      - .offset:         0
        .size:           8
        .value_kind:     by_value
      - .offset:         8
        .size:           8
        .value_kind:     by_value
      - .offset:         16
        .size:           8
        .value_kind:     by_value
      - .offset:         24
        .size:           8
        .value_kind:     by_value
      - .address_space:  global
        .offset:         32
        .size:           8
        .value_kind:     global_buffer
      - .offset:         40
        .size:           8
        .value_kind:     by_value
      - .offset:         48
        .size:           8
        .value_kind:     by_value
      - .address_space:  global
        .offset:         56
        .size:           8
        .value_kind:     global_buffer
      - .offset:         64
        .size:           8
        .value_kind:     by_value
      - .offset:         72
        .size:           8
        .value_kind:     by_value
      - .offset:         80
        .size:           8
        .value_kind:     by_value
      - .address_space:  global
        .offset:         88
        .size:           8
        .value_kind:     global_buffer
      - .offset:         96
        .size:           8
        .value_kind:     by_value
      - .offset:         104
        .size:           8
        .value_kind:     by_value
      - .address_space:  global
        .offset:         112
        .size:           8
        .value_kind:     global_buffer
      - .offset:         120
        .size:           8
        .value_kind:     by_value
      - .offset:         128
        .size:           8
        .value_kind:     by_value
      - .offset:         136
        .size:           4
        .value_kind:     by_value
    .group_segment_fixed_size: 4096
    .kernarg_segment_align: 8
    .kernarg_segment_size: 140
    .language:       OpenCL C
    .language_version:
      - 2
      - 0
    .max_flat_workgroup_size: 256
    .name:           _ZN12_GLOBAL__N_135rocblas_gemm_batched_general_kernelI19rocblas_complex_numIfELi16ELi16ELi32ELi32ELi8ELi32ELi8ELi8ELi32ELc84ELc78EKS2_S3_S2_EEvlllT_PT11_llS6_llS4_PT12_llPT13_lli
    .private_segment_fixed_size: 0
    .sgpr_count:     42
    .sgpr_spill_count: 0
    .symbol:         _ZN12_GLOBAL__N_135rocblas_gemm_batched_general_kernelI19rocblas_complex_numIfELi16ELi16ELi32ELi32ELi8ELi32ELi8ELi8ELi32ELc84ELc78EKS2_S3_S2_EEvlllT_PT11_llS6_llS4_PT12_llPT13_lli.kd
    .uniform_work_group_size: 1
    .uses_dynamic_stack: false
    .vgpr_count:     136
    .vgpr_spill_count: 0
    .wavefront_size: 64
  - .agpr_count:     0
    .args:
      - .offset:         0
        .size:           8
        .value_kind:     by_value
      - .offset:         8
        .size:           8
        .value_kind:     by_value
      - .offset:         16
        .size:           8
        .value_kind:     by_value
      - .offset:         24
        .size:           8
        .value_kind:     by_value
      - .address_space:  global
        .offset:         32
        .size:           8
        .value_kind:     global_buffer
      - .offset:         40
        .size:           8
        .value_kind:     by_value
      - .offset:         48
        .size:           8
        .value_kind:     by_value
      - .address_space:  global
        .offset:         56
        .size:           8
        .value_kind:     global_buffer
      - .offset:         64
        .size:           8
        .value_kind:     by_value
      - .offset:         72
        .size:           8
        .value_kind:     by_value
      - .offset:         80
        .size:           8
        .value_kind:     by_value
      - .address_space:  global
        .offset:         88
        .size:           8
        .value_kind:     global_buffer
      - .offset:         96
        .size:           8
        .value_kind:     by_value
      - .offset:         104
        .size:           8
        .value_kind:     by_value
      - .address_space:  global
        .offset:         112
        .size:           8
        .value_kind:     global_buffer
      - .offset:         120
        .size:           8
        .value_kind:     by_value
      - .offset:         128
        .size:           8
        .value_kind:     by_value
      - .offset:         136
        .size:           4
        .value_kind:     by_value
    .group_segment_fixed_size: 4096
    .kernarg_segment_align: 8
    .kernarg_segment_size: 140
    .language:       OpenCL C
    .language_version:
      - 2
      - 0
    .max_flat_workgroup_size: 256
    .name:           _ZN12_GLOBAL__N_135rocblas_gemm_batched_general_kernelI19rocblas_complex_numIfELi16ELi16ELi32ELi32ELi8ELi32ELi8ELi8ELi32ELc78ELc84EKS2_S3_S2_EEvlllT_PT11_llS6_llS4_PT12_llPT13_lli
    .private_segment_fixed_size: 0
    .sgpr_count:     48
    .sgpr_spill_count: 0
    .symbol:         _ZN12_GLOBAL__N_135rocblas_gemm_batched_general_kernelI19rocblas_complex_numIfELi16ELi16ELi32ELi32ELi8ELi32ELi8ELi8ELi32ELc78ELc84EKS2_S3_S2_EEvlllT_PT11_llS6_llS4_PT12_llPT13_lli.kd
    .uniform_work_group_size: 1
    .uses_dynamic_stack: false
    .vgpr_count:     136
    .vgpr_spill_count: 0
    .wavefront_size: 64
  - .agpr_count:     0
    .args:
      - .offset:         0
        .size:           8
        .value_kind:     by_value
      - .offset:         8
        .size:           8
        .value_kind:     by_value
      - .offset:         16
        .size:           8
        .value_kind:     by_value
      - .offset:         24
        .size:           8
        .value_kind:     by_value
      - .address_space:  global
        .offset:         32
        .size:           8
        .value_kind:     global_buffer
      - .offset:         40
        .size:           8
        .value_kind:     by_value
      - .offset:         48
        .size:           8
        .value_kind:     by_value
      - .address_space:  global
        .offset:         56
        .size:           8
        .value_kind:     global_buffer
      - .offset:         64
        .size:           8
        .value_kind:     by_value
      - .offset:         72
        .size:           8
        .value_kind:     by_value
      - .offset:         80
        .size:           8
        .value_kind:     by_value
      - .address_space:  global
        .offset:         88
        .size:           8
        .value_kind:     global_buffer
      - .offset:         96
        .size:           8
        .value_kind:     by_value
      - .offset:         104
        .size:           8
        .value_kind:     by_value
      - .address_space:  global
        .offset:         112
        .size:           8
        .value_kind:     global_buffer
      - .offset:         120
        .size:           8
        .value_kind:     by_value
      - .offset:         128
        .size:           8
        .value_kind:     by_value
      - .offset:         136
        .size:           4
        .value_kind:     by_value
    .group_segment_fixed_size: 4096
    .kernarg_segment_align: 8
    .kernarg_segment_size: 140
    .language:       OpenCL C
    .language_version:
      - 2
      - 0
    .max_flat_workgroup_size: 256
    .name:           _ZN12_GLOBAL__N_135rocblas_gemm_batched_general_kernelI19rocblas_complex_numIfELi16ELi16ELi32ELi32ELi8ELi32ELi8ELi8ELi32ELc84ELc84EKS2_S3_S2_EEvlllT_PT11_llS6_llS4_PT12_llPT13_lli
    .private_segment_fixed_size: 0
    .sgpr_count:     46
    .sgpr_spill_count: 0
    .symbol:         _ZN12_GLOBAL__N_135rocblas_gemm_batched_general_kernelI19rocblas_complex_numIfELi16ELi16ELi32ELi32ELi8ELi32ELi8ELi8ELi32ELc84ELc84EKS2_S3_S2_EEvlllT_PT11_llS6_llS4_PT12_llPT13_lli.kd
    .uniform_work_group_size: 1
    .uses_dynamic_stack: false
    .vgpr_count:     136
    .vgpr_spill_count: 0
    .wavefront_size: 64
  - .agpr_count:     0
    .args:
      - .offset:         0
        .size:           8
        .value_kind:     by_value
      - .offset:         8
        .size:           8
        .value_kind:     by_value
      - .offset:         16
        .size:           8
        .value_kind:     by_value
      - .offset:         24
        .size:           8
        .value_kind:     by_value
      - .address_space:  global
        .offset:         32
        .size:           8
        .value_kind:     global_buffer
      - .offset:         40
        .size:           8
        .value_kind:     by_value
      - .offset:         48
        .size:           8
        .value_kind:     by_value
      - .address_space:  global
        .offset:         56
        .size:           8
        .value_kind:     global_buffer
      - .offset:         64
        .size:           8
        .value_kind:     by_value
      - .offset:         72
        .size:           8
        .value_kind:     by_value
      - .offset:         80
        .size:           8
        .value_kind:     by_value
      - .address_space:  global
        .offset:         88
        .size:           8
        .value_kind:     global_buffer
      - .offset:         96
        .size:           8
        .value_kind:     by_value
      - .offset:         104
        .size:           8
        .value_kind:     by_value
      - .address_space:  global
        .offset:         112
        .size:           8
        .value_kind:     global_buffer
      - .offset:         120
        .size:           8
        .value_kind:     by_value
      - .offset:         128
        .size:           8
        .value_kind:     by_value
      - .offset:         136
        .size:           4
        .value_kind:     by_value
    .group_segment_fixed_size: 4096
    .kernarg_segment_align: 8
    .kernarg_segment_size: 140
    .language:       OpenCL C
    .language_version:
      - 2
      - 0
    .max_flat_workgroup_size: 256
    .name:           _ZN12_GLOBAL__N_135rocblas_gemm_batched_general_kernelI19rocblas_complex_numIfELi16ELi16ELi32ELi32ELi8ELi32ELi8ELi8ELi32ELc67ELc67EKS2_S3_S2_EEvlllT_PT11_llS6_llS4_PT12_llPT13_lli
    .private_segment_fixed_size: 0
    .sgpr_count:     44
    .sgpr_spill_count: 0
    .symbol:         _ZN12_GLOBAL__N_135rocblas_gemm_batched_general_kernelI19rocblas_complex_numIfELi16ELi16ELi32ELi32ELi8ELi32ELi8ELi8ELi32ELc67ELc67EKS2_S3_S2_EEvlllT_PT11_llS6_llS4_PT12_llPT13_lli.kd
    .uniform_work_group_size: 1
    .uses_dynamic_stack: false
    .vgpr_count:     136
    .vgpr_spill_count: 0
    .wavefront_size: 64
  - .agpr_count:     0
    .args:
      - .offset:         0
        .size:           8
        .value_kind:     by_value
      - .offset:         8
        .size:           8
        .value_kind:     by_value
      - .offset:         16
        .size:           8
        .value_kind:     by_value
      - .offset:         24
        .size:           8
        .value_kind:     by_value
      - .address_space:  global
        .offset:         32
        .size:           8
        .value_kind:     global_buffer
      - .offset:         40
        .size:           8
        .value_kind:     by_value
      - .offset:         48
        .size:           8
        .value_kind:     by_value
      - .address_space:  global
        .offset:         56
        .size:           8
        .value_kind:     global_buffer
      - .offset:         64
        .size:           8
        .value_kind:     by_value
      - .offset:         72
        .size:           8
        .value_kind:     by_value
      - .offset:         80
        .size:           8
        .value_kind:     by_value
      - .address_space:  global
        .offset:         88
        .size:           8
        .value_kind:     global_buffer
      - .offset:         96
        .size:           8
        .value_kind:     by_value
      - .offset:         104
        .size:           8
        .value_kind:     by_value
      - .address_space:  global
        .offset:         112
        .size:           8
        .value_kind:     global_buffer
      - .offset:         120
        .size:           8
        .value_kind:     by_value
      - .offset:         128
        .size:           8
        .value_kind:     by_value
      - .offset:         136
        .size:           4
        .value_kind:     by_value
    .group_segment_fixed_size: 4096
    .kernarg_segment_align: 8
    .kernarg_segment_size: 140
    .language:       OpenCL C
    .language_version:
      - 2
      - 0
    .max_flat_workgroup_size: 256
    .name:           _ZN12_GLOBAL__N_135rocblas_gemm_batched_general_kernelI19rocblas_complex_numIfELi16ELi16ELi32ELi32ELi8ELi32ELi8ELi8ELi32ELc67ELc78EKS2_S3_S2_EEvlllT_PT11_llS6_llS4_PT12_llPT13_lli
    .private_segment_fixed_size: 0
    .sgpr_count:     42
    .sgpr_spill_count: 0
    .symbol:         _ZN12_GLOBAL__N_135rocblas_gemm_batched_general_kernelI19rocblas_complex_numIfELi16ELi16ELi32ELi32ELi8ELi32ELi8ELi8ELi32ELc67ELc78EKS2_S3_S2_EEvlllT_PT11_llS6_llS4_PT12_llPT13_lli.kd
    .uniform_work_group_size: 1
    .uses_dynamic_stack: false
    .vgpr_count:     136
    .vgpr_spill_count: 0
    .wavefront_size: 64
  - .agpr_count:     0
    .args:
      - .offset:         0
        .size:           8
        .value_kind:     by_value
      - .offset:         8
        .size:           8
        .value_kind:     by_value
      - .offset:         16
        .size:           8
        .value_kind:     by_value
      - .offset:         24
        .size:           8
        .value_kind:     by_value
      - .address_space:  global
        .offset:         32
        .size:           8
        .value_kind:     global_buffer
      - .offset:         40
        .size:           8
        .value_kind:     by_value
      - .offset:         48
        .size:           8
        .value_kind:     by_value
      - .address_space:  global
        .offset:         56
        .size:           8
        .value_kind:     global_buffer
      - .offset:         64
        .size:           8
        .value_kind:     by_value
      - .offset:         72
        .size:           8
        .value_kind:     by_value
      - .offset:         80
        .size:           8
        .value_kind:     by_value
      - .address_space:  global
        .offset:         88
        .size:           8
        .value_kind:     global_buffer
      - .offset:         96
        .size:           8
        .value_kind:     by_value
      - .offset:         104
        .size:           8
        .value_kind:     by_value
      - .address_space:  global
        .offset:         112
        .size:           8
        .value_kind:     global_buffer
      - .offset:         120
        .size:           8
        .value_kind:     by_value
      - .offset:         128
        .size:           8
        .value_kind:     by_value
      - .offset:         136
        .size:           4
        .value_kind:     by_value
    .group_segment_fixed_size: 4096
    .kernarg_segment_align: 8
    .kernarg_segment_size: 140
    .language:       OpenCL C
    .language_version:
      - 2
      - 0
    .max_flat_workgroup_size: 256
    .name:           _ZN12_GLOBAL__N_135rocblas_gemm_batched_general_kernelI19rocblas_complex_numIfELi16ELi16ELi32ELi32ELi8ELi32ELi8ELi8ELi32ELc67ELc84EKS2_S3_S2_EEvlllT_PT11_llS6_llS4_PT12_llPT13_lli
    .private_segment_fixed_size: 0
    .sgpr_count:     44
    .sgpr_spill_count: 0
    .symbol:         _ZN12_GLOBAL__N_135rocblas_gemm_batched_general_kernelI19rocblas_complex_numIfELi16ELi16ELi32ELi32ELi8ELi32ELi8ELi8ELi32ELc67ELc84EKS2_S3_S2_EEvlllT_PT11_llS6_llS4_PT12_llPT13_lli.kd
    .uniform_work_group_size: 1
    .uses_dynamic_stack: false
    .vgpr_count:     136
    .vgpr_spill_count: 0
    .wavefront_size: 64
  - .agpr_count:     0
    .args:
      - .offset:         0
        .size:           8
        .value_kind:     by_value
      - .offset:         8
        .size:           8
        .value_kind:     by_value
      - .offset:         16
        .size:           8
        .value_kind:     by_value
      - .offset:         24
        .size:           8
        .value_kind:     by_value
      - .address_space:  global
        .offset:         32
        .size:           8
        .value_kind:     global_buffer
      - .offset:         40
        .size:           8
        .value_kind:     by_value
      - .offset:         48
        .size:           8
        .value_kind:     by_value
      - .address_space:  global
        .offset:         56
        .size:           8
        .value_kind:     global_buffer
      - .offset:         64
        .size:           8
        .value_kind:     by_value
      - .offset:         72
        .size:           8
        .value_kind:     by_value
      - .offset:         80
        .size:           8
        .value_kind:     by_value
      - .address_space:  global
        .offset:         88
        .size:           8
        .value_kind:     global_buffer
      - .offset:         96
        .size:           8
        .value_kind:     by_value
      - .offset:         104
        .size:           8
        .value_kind:     by_value
      - .address_space:  global
        .offset:         112
        .size:           8
        .value_kind:     global_buffer
      - .offset:         120
        .size:           8
        .value_kind:     by_value
      - .offset:         128
        .size:           8
        .value_kind:     by_value
      - .offset:         136
        .size:           4
        .value_kind:     by_value
    .group_segment_fixed_size: 4096
    .kernarg_segment_align: 8
    .kernarg_segment_size: 140
    .language:       OpenCL C
    .language_version:
      - 2
      - 0
    .max_flat_workgroup_size: 256
    .name:           _ZN12_GLOBAL__N_135rocblas_gemm_batched_general_kernelI19rocblas_complex_numIfELi16ELi16ELi32ELi32ELi8ELi32ELi8ELi8ELi32ELc78ELc67EKS2_S3_S2_EEvlllT_PT11_llS6_llS4_PT12_llPT13_lli
    .private_segment_fixed_size: 0
    .sgpr_count:     46
    .sgpr_spill_count: 0
    .symbol:         _ZN12_GLOBAL__N_135rocblas_gemm_batched_general_kernelI19rocblas_complex_numIfELi16ELi16ELi32ELi32ELi8ELi32ELi8ELi8ELi32ELc78ELc67EKS2_S3_S2_EEvlllT_PT11_llS6_llS4_PT12_llPT13_lli.kd
    .uniform_work_group_size: 1
    .uses_dynamic_stack: false
    .vgpr_count:     136
    .vgpr_spill_count: 0
    .wavefront_size: 64
  - .agpr_count:     0
    .args:
      - .offset:         0
        .size:           8
        .value_kind:     by_value
      - .offset:         8
        .size:           8
        .value_kind:     by_value
      - .offset:         16
        .size:           8
        .value_kind:     by_value
      - .offset:         24
        .size:           8
        .value_kind:     by_value
      - .address_space:  global
        .offset:         32
        .size:           8
        .value_kind:     global_buffer
      - .offset:         40
        .size:           8
        .value_kind:     by_value
      - .offset:         48
        .size:           8
        .value_kind:     by_value
      - .address_space:  global
        .offset:         56
        .size:           8
        .value_kind:     global_buffer
      - .offset:         64
        .size:           8
        .value_kind:     by_value
      - .offset:         72
        .size:           8
        .value_kind:     by_value
      - .offset:         80
        .size:           8
        .value_kind:     by_value
      - .address_space:  global
        .offset:         88
        .size:           8
        .value_kind:     global_buffer
      - .offset:         96
        .size:           8
        .value_kind:     by_value
      - .offset:         104
        .size:           8
        .value_kind:     by_value
      - .address_space:  global
        .offset:         112
        .size:           8
        .value_kind:     global_buffer
      - .offset:         120
        .size:           8
        .value_kind:     by_value
      - .offset:         128
        .size:           8
        .value_kind:     by_value
      - .offset:         136
        .size:           4
        .value_kind:     by_value
    .group_segment_fixed_size: 4096
    .kernarg_segment_align: 8
    .kernarg_segment_size: 140
    .language:       OpenCL C
    .language_version:
      - 2
      - 0
    .max_flat_workgroup_size: 256
    .name:           _ZN12_GLOBAL__N_135rocblas_gemm_batched_general_kernelI19rocblas_complex_numIfELi16ELi16ELi32ELi32ELi8ELi32ELi8ELi8ELi32ELc84ELc67EKS2_S3_S2_EEvlllT_PT11_llS6_llS4_PT12_llPT13_lli
    .private_segment_fixed_size: 0
    .sgpr_count:     44
    .sgpr_spill_count: 0
    .symbol:         _ZN12_GLOBAL__N_135rocblas_gemm_batched_general_kernelI19rocblas_complex_numIfELi16ELi16ELi32ELi32ELi8ELi32ELi8ELi8ELi32ELc84ELc67EKS2_S3_S2_EEvlllT_PT11_llS6_llS4_PT12_llPT13_lli.kd
    .uniform_work_group_size: 1
    .uses_dynamic_stack: false
    .vgpr_count:     136
    .vgpr_spill_count: 0
    .wavefront_size: 64
  - .agpr_count:     0
    .args:
      - .offset:         0
        .size:           4
        .value_kind:     by_value
      - .offset:         4
        .size:           4
        .value_kind:     by_value
      - .offset:         8
        .size:           16
        .value_kind:     by_value
      - .address_space:  global
        .offset:         24
        .size:           8
        .value_kind:     global_buffer
      - .offset:         32
        .size:           8
        .value_kind:     by_value
      - .offset:         40
        .size:           8
        .value_kind:     by_value
      - .offset:         48
        .size:           8
        .value_kind:     by_value
      - .offset:         56
        .size:           4
        .value_kind:     by_value
    .group_segment_fixed_size: 0
    .kernarg_segment_align: 8
    .kernarg_segment_size: 60
    .language:       OpenCL C
    .language_version:
      - 2
      - 0
    .max_flat_workgroup_size: 1024
    .name:           _ZN12_GLOBAL__N_125rocblas_gemm_scale_kernelILi32ELi32E19rocblas_complex_numIdEPS2_EEviiT1_T2_llli
    .private_segment_fixed_size: 0
    .sgpr_count:     26
    .sgpr_spill_count: 0
    .symbol:         _ZN12_GLOBAL__N_125rocblas_gemm_scale_kernelILi32ELi32E19rocblas_complex_numIdEPS2_EEviiT1_T2_llli.kd
    .uniform_work_group_size: 1
    .uses_dynamic_stack: false
    .vgpr_count:     12
    .vgpr_spill_count: 0
    .wavefront_size: 64
  - .agpr_count:     0
    .args:
      - .offset:         0
        .size:           4
        .value_kind:     by_value
      - .offset:         4
        .size:           4
        .value_kind:     by_value
      - .offset:         8
        .size:           16
        .value_kind:     by_value
      - .address_space:  global
        .offset:         24
        .size:           8
        .value_kind:     global_buffer
      - .offset:         32
        .size:           8
        .value_kind:     by_value
      - .offset:         40
        .size:           8
        .value_kind:     by_value
      - .offset:         48
        .size:           8
        .value_kind:     by_value
      - .address_space:  global
        .offset:         56
        .size:           8
        .value_kind:     global_buffer
      - .offset:         64
        .size:           8
        .value_kind:     by_value
      - .offset:         72
        .size:           8
        .value_kind:     by_value
      - .offset:         80
        .size:           8
        .value_kind:     by_value
      - .offset:         88
        .size:           4
        .value_kind:     by_value
    .group_segment_fixed_size: 0
    .kernarg_segment_align: 8
    .kernarg_segment_size: 92
    .language:       OpenCL C
    .language_version:
      - 2
      - 0
    .max_flat_workgroup_size: 1024
    .name:           _ZN12_GLOBAL__N_120gemm_ex_scale_kernelILi32ELi32E19rocblas_complex_numIdEPKS2_PS2_EEviiT1_T2_lllT3_llli
    .private_segment_fixed_size: 0
    .sgpr_count:     32
    .sgpr_spill_count: 0
    .symbol:         _ZN12_GLOBAL__N_120gemm_ex_scale_kernelILi32ELi32E19rocblas_complex_numIdEPKS2_PS2_EEviiT1_T2_lllT3_llli.kd
    .uniform_work_group_size: 1
    .uses_dynamic_stack: false
    .vgpr_count:     12
    .vgpr_spill_count: 0
    .wavefront_size: 64
  - .agpr_count:     0
    .args:
      - .offset:         0
        .size:           8
        .value_kind:     by_value
      - .offset:         8
        .size:           8
        .value_kind:     by_value
      - .offset:         16
        .size:           8
        .value_kind:     by_value
      - .offset:         24
        .size:           16
        .value_kind:     by_value
      - .address_space:  global
        .offset:         40
        .size:           8
        .value_kind:     global_buffer
      - .offset:         48
        .size:           8
        .value_kind:     by_value
      - .offset:         56
        .size:           8
        .value_kind:     by_value
      - .address_space:  global
        .offset:         64
        .size:           8
        .value_kind:     global_buffer
      - .offset:         72
        .size:           8
        .value_kind:     by_value
      - .offset:         80
        .size:           8
        .value_kind:     by_value
      - .offset:         88
        .size:           16
        .value_kind:     by_value
      - .address_space:  global
        .offset:         104
        .size:           8
        .value_kind:     global_buffer
      - .offset:         112
        .size:           8
        .value_kind:     by_value
      - .offset:         120
        .size:           8
        .value_kind:     by_value
      - .address_space:  global
        .offset:         128
        .size:           8
        .value_kind:     global_buffer
      - .offset:         136
        .size:           8
        .value_kind:     by_value
      - .offset:         144
        .size:           8
        .value_kind:     by_value
      - .offset:         152
        .size:           4
        .value_kind:     by_value
    .group_segment_fixed_size: 8192
    .kernarg_segment_align: 8
    .kernarg_segment_size: 156
    .language:       OpenCL C
    .language_version:
      - 2
      - 0
    .max_flat_workgroup_size: 256
    .name:           _ZN12_GLOBAL__N_127rocblas_gemm_batched_kernelI19rocblas_complex_numIdELi16ELi16ELi64ELi64ELi4ELi64ELi4ELi4ELi64ELc78ELc78EKS2_S3_S2_EEvlllT_PT11_llS6_llS4_PT12_llPT13_lli
    .private_segment_fixed_size: 0
    .sgpr_count:     58
    .sgpr_spill_count: 0
    .symbol:         _ZN12_GLOBAL__N_127rocblas_gemm_batched_kernelI19rocblas_complex_numIdELi16ELi16ELi64ELi64ELi4ELi64ELi4ELi4ELi64ELc78ELc78EKS2_S3_S2_EEvlllT_PT11_llS6_llS4_PT12_llPT13_lli.kd
    .uniform_work_group_size: 1
    .uses_dynamic_stack: false
    .vgpr_count:     138
    .vgpr_spill_count: 0
    .wavefront_size: 64
  - .agpr_count:     0
    .args:
      - .offset:         0
        .size:           8
        .value_kind:     by_value
      - .offset:         8
        .size:           8
        .value_kind:     by_value
      - .offset:         16
        .size:           8
        .value_kind:     by_value
      - .offset:         24
        .size:           16
        .value_kind:     by_value
      - .address_space:  global
        .offset:         40
        .size:           8
        .value_kind:     global_buffer
      - .offset:         48
        .size:           8
        .value_kind:     by_value
      - .offset:         56
        .size:           8
        .value_kind:     by_value
      - .address_space:  global
        .offset:         64
        .size:           8
        .value_kind:     global_buffer
      - .offset:         72
        .size:           8
        .value_kind:     by_value
      - .offset:         80
        .size:           8
        .value_kind:     by_value
      - .offset:         88
        .size:           16
        .value_kind:     by_value
      - .address_space:  global
        .offset:         104
        .size:           8
        .value_kind:     global_buffer
      - .offset:         112
        .size:           8
        .value_kind:     by_value
      - .offset:         120
        .size:           8
        .value_kind:     by_value
      - .address_space:  global
        .offset:         128
        .size:           8
        .value_kind:     global_buffer
      - .offset:         136
        .size:           8
        .value_kind:     by_value
      - .offset:         144
        .size:           8
        .value_kind:     by_value
      - .offset:         152
        .size:           4
        .value_kind:     by_value
    .group_segment_fixed_size: 8192
    .kernarg_segment_align: 8
    .kernarg_segment_size: 156
    .language:       OpenCL C
    .language_version:
      - 2
      - 0
    .max_flat_workgroup_size: 256
    .name:           _ZN12_GLOBAL__N_127rocblas_gemm_batched_kernelI19rocblas_complex_numIdELi16ELi16ELi64ELi64ELi4ELi64ELi4ELi4ELi64ELc84ELc78EKS2_S3_S2_EEvlllT_PT11_llS6_llS4_PT12_llPT13_lli
    .private_segment_fixed_size: 0
    .sgpr_count:     58
    .sgpr_spill_count: 0
    .symbol:         _ZN12_GLOBAL__N_127rocblas_gemm_batched_kernelI19rocblas_complex_numIdELi16ELi16ELi64ELi64ELi4ELi64ELi4ELi4ELi64ELc84ELc78EKS2_S3_S2_EEvlllT_PT11_llS6_llS4_PT12_llPT13_lli.kd
    .uniform_work_group_size: 1
    .uses_dynamic_stack: false
    .vgpr_count:     138
    .vgpr_spill_count: 0
    .wavefront_size: 64
  - .agpr_count:     0
    .args:
      - .offset:         0
        .size:           8
        .value_kind:     by_value
      - .offset:         8
        .size:           8
        .value_kind:     by_value
      - .offset:         16
        .size:           8
        .value_kind:     by_value
      - .offset:         24
        .size:           16
        .value_kind:     by_value
      - .address_space:  global
        .offset:         40
        .size:           8
        .value_kind:     global_buffer
      - .offset:         48
        .size:           8
        .value_kind:     by_value
      - .offset:         56
        .size:           8
        .value_kind:     by_value
      - .address_space:  global
        .offset:         64
        .size:           8
        .value_kind:     global_buffer
      - .offset:         72
        .size:           8
        .value_kind:     by_value
      - .offset:         80
        .size:           8
        .value_kind:     by_value
      - .offset:         88
        .size:           16
        .value_kind:     by_value
      - .address_space:  global
        .offset:         104
        .size:           8
        .value_kind:     global_buffer
      - .offset:         112
        .size:           8
        .value_kind:     by_value
      - .offset:         120
        .size:           8
        .value_kind:     by_value
      - .address_space:  global
        .offset:         128
        .size:           8
        .value_kind:     global_buffer
      - .offset:         136
        .size:           8
        .value_kind:     by_value
      - .offset:         144
        .size:           8
        .value_kind:     by_value
      - .offset:         152
        .size:           4
        .value_kind:     by_value
    .group_segment_fixed_size: 8192
    .kernarg_segment_align: 8
    .kernarg_segment_size: 156
    .language:       OpenCL C
    .language_version:
      - 2
      - 0
    .max_flat_workgroup_size: 256
    .name:           _ZN12_GLOBAL__N_127rocblas_gemm_batched_kernelI19rocblas_complex_numIdELi16ELi16ELi64ELi64ELi4ELi64ELi4ELi4ELi64ELc78ELc84EKS2_S3_S2_EEvlllT_PT11_llS6_llS4_PT12_llPT13_lli
    .private_segment_fixed_size: 0
    .sgpr_count:     58
    .sgpr_spill_count: 0
    .symbol:         _ZN12_GLOBAL__N_127rocblas_gemm_batched_kernelI19rocblas_complex_numIdELi16ELi16ELi64ELi64ELi4ELi64ELi4ELi4ELi64ELc78ELc84EKS2_S3_S2_EEvlllT_PT11_llS6_llS4_PT12_llPT13_lli.kd
    .uniform_work_group_size: 1
    .uses_dynamic_stack: false
    .vgpr_count:     138
    .vgpr_spill_count: 0
    .wavefront_size: 64
  - .agpr_count:     0
    .args:
      - .offset:         0
        .size:           8
        .value_kind:     by_value
      - .offset:         8
        .size:           8
        .value_kind:     by_value
      - .offset:         16
        .size:           8
        .value_kind:     by_value
      - .offset:         24
        .size:           16
        .value_kind:     by_value
      - .address_space:  global
        .offset:         40
        .size:           8
        .value_kind:     global_buffer
      - .offset:         48
        .size:           8
        .value_kind:     by_value
      - .offset:         56
        .size:           8
        .value_kind:     by_value
      - .address_space:  global
        .offset:         64
        .size:           8
        .value_kind:     global_buffer
      - .offset:         72
        .size:           8
        .value_kind:     by_value
      - .offset:         80
        .size:           8
        .value_kind:     by_value
      - .offset:         88
        .size:           16
        .value_kind:     by_value
      - .address_space:  global
        .offset:         104
        .size:           8
        .value_kind:     global_buffer
      - .offset:         112
        .size:           8
        .value_kind:     by_value
      - .offset:         120
        .size:           8
        .value_kind:     by_value
      - .address_space:  global
        .offset:         128
        .size:           8
        .value_kind:     global_buffer
      - .offset:         136
        .size:           8
        .value_kind:     by_value
      - .offset:         144
        .size:           8
        .value_kind:     by_value
      - .offset:         152
        .size:           4
        .value_kind:     by_value
    .group_segment_fixed_size: 8192
    .kernarg_segment_align: 8
    .kernarg_segment_size: 156
    .language:       OpenCL C
    .language_version:
      - 2
      - 0
    .max_flat_workgroup_size: 256
    .name:           _ZN12_GLOBAL__N_127rocblas_gemm_batched_kernelI19rocblas_complex_numIdELi16ELi16ELi64ELi64ELi4ELi64ELi4ELi4ELi64ELc84ELc84EKS2_S3_S2_EEvlllT_PT11_llS6_llS4_PT12_llPT13_lli
    .private_segment_fixed_size: 0
    .sgpr_count:     58
    .sgpr_spill_count: 0
    .symbol:         _ZN12_GLOBAL__N_127rocblas_gemm_batched_kernelI19rocblas_complex_numIdELi16ELi16ELi64ELi64ELi4ELi64ELi4ELi4ELi64ELc84ELc84EKS2_S3_S2_EEvlllT_PT11_llS6_llS4_PT12_llPT13_lli.kd
    .uniform_work_group_size: 1
    .uses_dynamic_stack: false
    .vgpr_count:     138
    .vgpr_spill_count: 0
    .wavefront_size: 64
  - .agpr_count:     0
    .args:
      - .offset:         0
        .size:           8
        .value_kind:     by_value
      - .offset:         8
        .size:           8
        .value_kind:     by_value
      - .offset:         16
        .size:           8
        .value_kind:     by_value
      - .offset:         24
        .size:           16
        .value_kind:     by_value
      - .address_space:  global
        .offset:         40
        .size:           8
        .value_kind:     global_buffer
      - .offset:         48
        .size:           8
        .value_kind:     by_value
      - .offset:         56
        .size:           8
        .value_kind:     by_value
      - .address_space:  global
        .offset:         64
        .size:           8
        .value_kind:     global_buffer
      - .offset:         72
        .size:           8
        .value_kind:     by_value
      - .offset:         80
        .size:           8
        .value_kind:     by_value
      - .offset:         88
        .size:           16
        .value_kind:     by_value
      - .address_space:  global
        .offset:         104
        .size:           8
        .value_kind:     global_buffer
      - .offset:         112
        .size:           8
        .value_kind:     by_value
      - .offset:         120
        .size:           8
        .value_kind:     by_value
      - .address_space:  global
        .offset:         128
        .size:           8
        .value_kind:     global_buffer
      - .offset:         136
        .size:           8
        .value_kind:     by_value
      - .offset:         144
        .size:           8
        .value_kind:     by_value
      - .offset:         152
        .size:           4
        .value_kind:     by_value
    .group_segment_fixed_size: 8192
    .kernarg_segment_align: 8
    .kernarg_segment_size: 156
    .language:       OpenCL C
    .language_version:
      - 2
      - 0
    .max_flat_workgroup_size: 256
    .name:           _ZN12_GLOBAL__N_127rocblas_gemm_batched_kernelI19rocblas_complex_numIdELi16ELi16ELi64ELi64ELi4ELi64ELi4ELi4ELi64ELc67ELc67EKS2_S3_S2_EEvlllT_PT11_llS6_llS4_PT12_llPT13_lli
    .private_segment_fixed_size: 0
    .sgpr_count:     58
    .sgpr_spill_count: 0
    .symbol:         _ZN12_GLOBAL__N_127rocblas_gemm_batched_kernelI19rocblas_complex_numIdELi16ELi16ELi64ELi64ELi4ELi64ELi4ELi4ELi64ELc67ELc67EKS2_S3_S2_EEvlllT_PT11_llS6_llS4_PT12_llPT13_lli.kd
    .uniform_work_group_size: 1
    .uses_dynamic_stack: false
    .vgpr_count:     138
    .vgpr_spill_count: 0
    .wavefront_size: 64
  - .agpr_count:     0
    .args:
      - .offset:         0
        .size:           8
        .value_kind:     by_value
      - .offset:         8
        .size:           8
        .value_kind:     by_value
      - .offset:         16
        .size:           8
        .value_kind:     by_value
      - .offset:         24
        .size:           16
        .value_kind:     by_value
      - .address_space:  global
        .offset:         40
        .size:           8
        .value_kind:     global_buffer
      - .offset:         48
        .size:           8
        .value_kind:     by_value
      - .offset:         56
        .size:           8
        .value_kind:     by_value
      - .address_space:  global
        .offset:         64
        .size:           8
        .value_kind:     global_buffer
      - .offset:         72
        .size:           8
        .value_kind:     by_value
      - .offset:         80
        .size:           8
        .value_kind:     by_value
      - .offset:         88
        .size:           16
        .value_kind:     by_value
      - .address_space:  global
        .offset:         104
        .size:           8
        .value_kind:     global_buffer
      - .offset:         112
        .size:           8
        .value_kind:     by_value
      - .offset:         120
        .size:           8
        .value_kind:     by_value
      - .address_space:  global
        .offset:         128
        .size:           8
        .value_kind:     global_buffer
      - .offset:         136
        .size:           8
        .value_kind:     by_value
      - .offset:         144
        .size:           8
        .value_kind:     by_value
      - .offset:         152
        .size:           4
        .value_kind:     by_value
    .group_segment_fixed_size: 8192
    .kernarg_segment_align: 8
    .kernarg_segment_size: 156
    .language:       OpenCL C
    .language_version:
      - 2
      - 0
    .max_flat_workgroup_size: 256
    .name:           _ZN12_GLOBAL__N_127rocblas_gemm_batched_kernelI19rocblas_complex_numIdELi16ELi16ELi64ELi64ELi4ELi64ELi4ELi4ELi64ELc67ELc78EKS2_S3_S2_EEvlllT_PT11_llS6_llS4_PT12_llPT13_lli
    .private_segment_fixed_size: 0
    .sgpr_count:     58
    .sgpr_spill_count: 0
    .symbol:         _ZN12_GLOBAL__N_127rocblas_gemm_batched_kernelI19rocblas_complex_numIdELi16ELi16ELi64ELi64ELi4ELi64ELi4ELi4ELi64ELc67ELc78EKS2_S3_S2_EEvlllT_PT11_llS6_llS4_PT12_llPT13_lli.kd
    .uniform_work_group_size: 1
    .uses_dynamic_stack: false
    .vgpr_count:     138
    .vgpr_spill_count: 0
    .wavefront_size: 64
  - .agpr_count:     0
    .args:
      - .offset:         0
        .size:           8
        .value_kind:     by_value
      - .offset:         8
        .size:           8
        .value_kind:     by_value
      - .offset:         16
        .size:           8
        .value_kind:     by_value
      - .offset:         24
        .size:           16
        .value_kind:     by_value
      - .address_space:  global
        .offset:         40
        .size:           8
        .value_kind:     global_buffer
      - .offset:         48
        .size:           8
        .value_kind:     by_value
      - .offset:         56
        .size:           8
        .value_kind:     by_value
      - .address_space:  global
        .offset:         64
        .size:           8
        .value_kind:     global_buffer
      - .offset:         72
        .size:           8
        .value_kind:     by_value
      - .offset:         80
        .size:           8
        .value_kind:     by_value
      - .offset:         88
        .size:           16
        .value_kind:     by_value
      - .address_space:  global
        .offset:         104
        .size:           8
        .value_kind:     global_buffer
      - .offset:         112
        .size:           8
        .value_kind:     by_value
      - .offset:         120
        .size:           8
        .value_kind:     by_value
      - .address_space:  global
        .offset:         128
        .size:           8
        .value_kind:     global_buffer
      - .offset:         136
        .size:           8
        .value_kind:     by_value
      - .offset:         144
        .size:           8
        .value_kind:     by_value
      - .offset:         152
        .size:           4
        .value_kind:     by_value
    .group_segment_fixed_size: 8192
    .kernarg_segment_align: 8
    .kernarg_segment_size: 156
    .language:       OpenCL C
    .language_version:
      - 2
      - 0
    .max_flat_workgroup_size: 256
    .name:           _ZN12_GLOBAL__N_127rocblas_gemm_batched_kernelI19rocblas_complex_numIdELi16ELi16ELi64ELi64ELi4ELi64ELi4ELi4ELi64ELc67ELc84EKS2_S3_S2_EEvlllT_PT11_llS6_llS4_PT12_llPT13_lli
    .private_segment_fixed_size: 0
    .sgpr_count:     58
    .sgpr_spill_count: 0
    .symbol:         _ZN12_GLOBAL__N_127rocblas_gemm_batched_kernelI19rocblas_complex_numIdELi16ELi16ELi64ELi64ELi4ELi64ELi4ELi4ELi64ELc67ELc84EKS2_S3_S2_EEvlllT_PT11_llS6_llS4_PT12_llPT13_lli.kd
    .uniform_work_group_size: 1
    .uses_dynamic_stack: false
    .vgpr_count:     138
    .vgpr_spill_count: 0
    .wavefront_size: 64
  - .agpr_count:     0
    .args:
      - .offset:         0
        .size:           8
        .value_kind:     by_value
      - .offset:         8
        .size:           8
        .value_kind:     by_value
      - .offset:         16
        .size:           8
        .value_kind:     by_value
      - .offset:         24
        .size:           16
        .value_kind:     by_value
      - .address_space:  global
        .offset:         40
        .size:           8
        .value_kind:     global_buffer
      - .offset:         48
        .size:           8
        .value_kind:     by_value
      - .offset:         56
        .size:           8
        .value_kind:     by_value
      - .address_space:  global
        .offset:         64
        .size:           8
        .value_kind:     global_buffer
      - .offset:         72
        .size:           8
        .value_kind:     by_value
      - .offset:         80
        .size:           8
        .value_kind:     by_value
      - .offset:         88
        .size:           16
        .value_kind:     by_value
      - .address_space:  global
        .offset:         104
        .size:           8
        .value_kind:     global_buffer
      - .offset:         112
        .size:           8
        .value_kind:     by_value
      - .offset:         120
        .size:           8
        .value_kind:     by_value
      - .address_space:  global
        .offset:         128
        .size:           8
        .value_kind:     global_buffer
      - .offset:         136
        .size:           8
        .value_kind:     by_value
      - .offset:         144
        .size:           8
        .value_kind:     by_value
      - .offset:         152
        .size:           4
        .value_kind:     by_value
    .group_segment_fixed_size: 8192
    .kernarg_segment_align: 8
    .kernarg_segment_size: 156
    .language:       OpenCL C
    .language_version:
      - 2
      - 0
    .max_flat_workgroup_size: 256
    .name:           _ZN12_GLOBAL__N_127rocblas_gemm_batched_kernelI19rocblas_complex_numIdELi16ELi16ELi64ELi64ELi4ELi64ELi4ELi4ELi64ELc78ELc67EKS2_S3_S2_EEvlllT_PT11_llS6_llS4_PT12_llPT13_lli
    .private_segment_fixed_size: 0
    .sgpr_count:     58
    .sgpr_spill_count: 0
    .symbol:         _ZN12_GLOBAL__N_127rocblas_gemm_batched_kernelI19rocblas_complex_numIdELi16ELi16ELi64ELi64ELi4ELi64ELi4ELi4ELi64ELc78ELc67EKS2_S3_S2_EEvlllT_PT11_llS6_llS4_PT12_llPT13_lli.kd
    .uniform_work_group_size: 1
    .uses_dynamic_stack: false
    .vgpr_count:     138
    .vgpr_spill_count: 0
    .wavefront_size: 64
  - .agpr_count:     0
    .args:
      - .offset:         0
        .size:           8
        .value_kind:     by_value
      - .offset:         8
        .size:           8
        .value_kind:     by_value
      - .offset:         16
        .size:           8
        .value_kind:     by_value
      - .offset:         24
        .size:           16
        .value_kind:     by_value
      - .address_space:  global
        .offset:         40
        .size:           8
        .value_kind:     global_buffer
      - .offset:         48
        .size:           8
        .value_kind:     by_value
      - .offset:         56
        .size:           8
        .value_kind:     by_value
      - .address_space:  global
        .offset:         64
        .size:           8
        .value_kind:     global_buffer
      - .offset:         72
        .size:           8
        .value_kind:     by_value
      - .offset:         80
        .size:           8
        .value_kind:     by_value
      - .offset:         88
        .size:           16
        .value_kind:     by_value
      - .address_space:  global
        .offset:         104
        .size:           8
        .value_kind:     global_buffer
      - .offset:         112
        .size:           8
        .value_kind:     by_value
      - .offset:         120
        .size:           8
        .value_kind:     by_value
      - .address_space:  global
        .offset:         128
        .size:           8
        .value_kind:     global_buffer
      - .offset:         136
        .size:           8
        .value_kind:     by_value
      - .offset:         144
        .size:           8
        .value_kind:     by_value
      - .offset:         152
        .size:           4
        .value_kind:     by_value
    .group_segment_fixed_size: 8192
    .kernarg_segment_align: 8
    .kernarg_segment_size: 156
    .language:       OpenCL C
    .language_version:
      - 2
      - 0
    .max_flat_workgroup_size: 256
    .name:           _ZN12_GLOBAL__N_127rocblas_gemm_batched_kernelI19rocblas_complex_numIdELi16ELi16ELi64ELi64ELi4ELi64ELi4ELi4ELi64ELc84ELc67EKS2_S3_S2_EEvlllT_PT11_llS6_llS4_PT12_llPT13_lli
    .private_segment_fixed_size: 0
    .sgpr_count:     58
    .sgpr_spill_count: 0
    .symbol:         _ZN12_GLOBAL__N_127rocblas_gemm_batched_kernelI19rocblas_complex_numIdELi16ELi16ELi64ELi64ELi4ELi64ELi4ELi4ELi64ELc84ELc67EKS2_S3_S2_EEvlllT_PT11_llS6_llS4_PT12_llPT13_lli.kd
    .uniform_work_group_size: 1
    .uses_dynamic_stack: false
    .vgpr_count:     138
    .vgpr_spill_count: 0
    .wavefront_size: 64
  - .agpr_count:     0
    .args:
      - .offset:         0
        .size:           8
        .value_kind:     by_value
      - .offset:         8
        .size:           8
        .value_kind:     by_value
      - .offset:         16
        .size:           8
        .value_kind:     by_value
      - .offset:         24
        .size:           16
        .value_kind:     by_value
      - .address_space:  global
        .offset:         40
        .size:           8
        .value_kind:     global_buffer
      - .offset:         48
        .size:           8
        .value_kind:     by_value
      - .offset:         56
        .size:           8
        .value_kind:     by_value
      - .address_space:  global
        .offset:         64
        .size:           8
        .value_kind:     global_buffer
      - .offset:         72
        .size:           8
        .value_kind:     by_value
      - .offset:         80
        .size:           8
        .value_kind:     by_value
      - .offset:         88
        .size:           16
        .value_kind:     by_value
      - .address_space:  global
        .offset:         104
        .size:           8
        .value_kind:     global_buffer
      - .offset:         112
        .size:           8
        .value_kind:     by_value
      - .offset:         120
        .size:           8
        .value_kind:     by_value
      - .address_space:  global
        .offset:         128
        .size:           8
        .value_kind:     global_buffer
      - .offset:         136
        .size:           8
        .value_kind:     by_value
      - .offset:         144
        .size:           8
        .value_kind:     by_value
      - .offset:         152
        .size:           4
        .value_kind:     by_value
    .group_segment_fixed_size: 8192
    .kernarg_segment_align: 8
    .kernarg_segment_size: 156
    .language:       OpenCL C
    .language_version:
      - 2
      - 0
    .max_flat_workgroup_size: 256
    .name:           _ZN12_GLOBAL__N_127rocblas_gemm_batched_kernelI19rocblas_complex_numIdELi16ELi16ELi32ELi32ELi8ELi32ELi8ELi8ELi32ELc78ELc78EKS2_S3_S2_EEvlllT_PT11_llS6_llS4_PT12_llPT13_lli
    .private_segment_fixed_size: 0
    .sgpr_count:     58
    .sgpr_spill_count: 0
    .symbol:         _ZN12_GLOBAL__N_127rocblas_gemm_batched_kernelI19rocblas_complex_numIdELi16ELi16ELi32ELi32ELi8ELi32ELi8ELi8ELi32ELc78ELc78EKS2_S3_S2_EEvlllT_PT11_llS6_llS4_PT12_llPT13_lli.kd
    .uniform_work_group_size: 1
    .uses_dynamic_stack: false
    .vgpr_count:     56
    .vgpr_spill_count: 0
    .wavefront_size: 64
  - .agpr_count:     0
    .args:
      - .offset:         0
        .size:           8
        .value_kind:     by_value
      - .offset:         8
        .size:           8
        .value_kind:     by_value
      - .offset:         16
        .size:           8
        .value_kind:     by_value
      - .offset:         24
        .size:           16
        .value_kind:     by_value
      - .address_space:  global
        .offset:         40
        .size:           8
        .value_kind:     global_buffer
      - .offset:         48
        .size:           8
        .value_kind:     by_value
      - .offset:         56
        .size:           8
        .value_kind:     by_value
      - .address_space:  global
        .offset:         64
        .size:           8
        .value_kind:     global_buffer
      - .offset:         72
        .size:           8
        .value_kind:     by_value
      - .offset:         80
        .size:           8
        .value_kind:     by_value
      - .offset:         88
        .size:           16
        .value_kind:     by_value
      - .address_space:  global
        .offset:         104
        .size:           8
        .value_kind:     global_buffer
      - .offset:         112
        .size:           8
        .value_kind:     by_value
      - .offset:         120
        .size:           8
        .value_kind:     by_value
      - .address_space:  global
        .offset:         128
        .size:           8
        .value_kind:     global_buffer
      - .offset:         136
        .size:           8
        .value_kind:     by_value
      - .offset:         144
        .size:           8
        .value_kind:     by_value
      - .offset:         152
        .size:           4
        .value_kind:     by_value
    .group_segment_fixed_size: 8192
    .kernarg_segment_align: 8
    .kernarg_segment_size: 156
    .language:       OpenCL C
    .language_version:
      - 2
      - 0
    .max_flat_workgroup_size: 256
    .name:           _ZN12_GLOBAL__N_127rocblas_gemm_batched_kernelI19rocblas_complex_numIdELi16ELi16ELi32ELi32ELi8ELi32ELi8ELi8ELi32ELc84ELc78EKS2_S3_S2_EEvlllT_PT11_llS6_llS4_PT12_llPT13_lli
    .private_segment_fixed_size: 0
    .sgpr_count:     58
    .sgpr_spill_count: 0
    .symbol:         _ZN12_GLOBAL__N_127rocblas_gemm_batched_kernelI19rocblas_complex_numIdELi16ELi16ELi32ELi32ELi8ELi32ELi8ELi8ELi32ELc84ELc78EKS2_S3_S2_EEvlllT_PT11_llS6_llS4_PT12_llPT13_lli.kd
    .uniform_work_group_size: 1
    .uses_dynamic_stack: false
    .vgpr_count:     56
    .vgpr_spill_count: 0
    .wavefront_size: 64
  - .agpr_count:     0
    .args:
      - .offset:         0
        .size:           8
        .value_kind:     by_value
      - .offset:         8
        .size:           8
        .value_kind:     by_value
      - .offset:         16
        .size:           8
        .value_kind:     by_value
      - .offset:         24
        .size:           16
        .value_kind:     by_value
      - .address_space:  global
        .offset:         40
        .size:           8
        .value_kind:     global_buffer
      - .offset:         48
        .size:           8
        .value_kind:     by_value
      - .offset:         56
        .size:           8
        .value_kind:     by_value
      - .address_space:  global
        .offset:         64
        .size:           8
        .value_kind:     global_buffer
      - .offset:         72
        .size:           8
        .value_kind:     by_value
      - .offset:         80
        .size:           8
        .value_kind:     by_value
      - .offset:         88
        .size:           16
        .value_kind:     by_value
      - .address_space:  global
        .offset:         104
        .size:           8
        .value_kind:     global_buffer
      - .offset:         112
        .size:           8
        .value_kind:     by_value
      - .offset:         120
        .size:           8
        .value_kind:     by_value
      - .address_space:  global
        .offset:         128
        .size:           8
        .value_kind:     global_buffer
      - .offset:         136
        .size:           8
        .value_kind:     by_value
      - .offset:         144
        .size:           8
        .value_kind:     by_value
      - .offset:         152
        .size:           4
        .value_kind:     by_value
    .group_segment_fixed_size: 8192
    .kernarg_segment_align: 8
    .kernarg_segment_size: 156
    .language:       OpenCL C
    .language_version:
      - 2
      - 0
    .max_flat_workgroup_size: 256
    .name:           _ZN12_GLOBAL__N_127rocblas_gemm_batched_kernelI19rocblas_complex_numIdELi16ELi16ELi32ELi32ELi8ELi32ELi8ELi8ELi32ELc78ELc84EKS2_S3_S2_EEvlllT_PT11_llS6_llS4_PT12_llPT13_lli
    .private_segment_fixed_size: 0
    .sgpr_count:     58
    .sgpr_spill_count: 0
    .symbol:         _ZN12_GLOBAL__N_127rocblas_gemm_batched_kernelI19rocblas_complex_numIdELi16ELi16ELi32ELi32ELi8ELi32ELi8ELi8ELi32ELc78ELc84EKS2_S3_S2_EEvlllT_PT11_llS6_llS4_PT12_llPT13_lli.kd
    .uniform_work_group_size: 1
    .uses_dynamic_stack: false
    .vgpr_count:     56
    .vgpr_spill_count: 0
    .wavefront_size: 64
  - .agpr_count:     0
    .args:
      - .offset:         0
        .size:           8
        .value_kind:     by_value
      - .offset:         8
        .size:           8
        .value_kind:     by_value
      - .offset:         16
        .size:           8
        .value_kind:     by_value
      - .offset:         24
        .size:           16
        .value_kind:     by_value
      - .address_space:  global
        .offset:         40
        .size:           8
        .value_kind:     global_buffer
      - .offset:         48
        .size:           8
        .value_kind:     by_value
      - .offset:         56
        .size:           8
        .value_kind:     by_value
      - .address_space:  global
        .offset:         64
        .size:           8
        .value_kind:     global_buffer
      - .offset:         72
        .size:           8
        .value_kind:     by_value
      - .offset:         80
        .size:           8
        .value_kind:     by_value
      - .offset:         88
        .size:           16
        .value_kind:     by_value
      - .address_space:  global
        .offset:         104
        .size:           8
        .value_kind:     global_buffer
      - .offset:         112
        .size:           8
        .value_kind:     by_value
      - .offset:         120
        .size:           8
        .value_kind:     by_value
      - .address_space:  global
        .offset:         128
        .size:           8
        .value_kind:     global_buffer
      - .offset:         136
        .size:           8
        .value_kind:     by_value
      - .offset:         144
        .size:           8
        .value_kind:     by_value
      - .offset:         152
        .size:           4
        .value_kind:     by_value
    .group_segment_fixed_size: 8192
    .kernarg_segment_align: 8
    .kernarg_segment_size: 156
    .language:       OpenCL C
    .language_version:
      - 2
      - 0
    .max_flat_workgroup_size: 256
    .name:           _ZN12_GLOBAL__N_127rocblas_gemm_batched_kernelI19rocblas_complex_numIdELi16ELi16ELi32ELi32ELi8ELi32ELi8ELi8ELi32ELc84ELc84EKS2_S3_S2_EEvlllT_PT11_llS6_llS4_PT12_llPT13_lli
    .private_segment_fixed_size: 0
    .sgpr_count:     58
    .sgpr_spill_count: 0
    .symbol:         _ZN12_GLOBAL__N_127rocblas_gemm_batched_kernelI19rocblas_complex_numIdELi16ELi16ELi32ELi32ELi8ELi32ELi8ELi8ELi32ELc84ELc84EKS2_S3_S2_EEvlllT_PT11_llS6_llS4_PT12_llPT13_lli.kd
    .uniform_work_group_size: 1
    .uses_dynamic_stack: false
    .vgpr_count:     56
    .vgpr_spill_count: 0
    .wavefront_size: 64
  - .agpr_count:     0
    .args:
      - .offset:         0
        .size:           8
        .value_kind:     by_value
      - .offset:         8
        .size:           8
        .value_kind:     by_value
      - .offset:         16
        .size:           8
        .value_kind:     by_value
      - .offset:         24
        .size:           16
        .value_kind:     by_value
      - .address_space:  global
        .offset:         40
        .size:           8
        .value_kind:     global_buffer
      - .offset:         48
        .size:           8
        .value_kind:     by_value
      - .offset:         56
        .size:           8
        .value_kind:     by_value
      - .address_space:  global
        .offset:         64
        .size:           8
        .value_kind:     global_buffer
      - .offset:         72
        .size:           8
        .value_kind:     by_value
      - .offset:         80
        .size:           8
        .value_kind:     by_value
      - .offset:         88
        .size:           16
        .value_kind:     by_value
      - .address_space:  global
        .offset:         104
        .size:           8
        .value_kind:     global_buffer
      - .offset:         112
        .size:           8
        .value_kind:     by_value
      - .offset:         120
        .size:           8
        .value_kind:     by_value
      - .address_space:  global
        .offset:         128
        .size:           8
        .value_kind:     global_buffer
      - .offset:         136
        .size:           8
        .value_kind:     by_value
      - .offset:         144
        .size:           8
        .value_kind:     by_value
      - .offset:         152
        .size:           4
        .value_kind:     by_value
    .group_segment_fixed_size: 8192
    .kernarg_segment_align: 8
    .kernarg_segment_size: 156
    .language:       OpenCL C
    .language_version:
      - 2
      - 0
    .max_flat_workgroup_size: 256
    .name:           _ZN12_GLOBAL__N_127rocblas_gemm_batched_kernelI19rocblas_complex_numIdELi16ELi16ELi32ELi32ELi8ELi32ELi8ELi8ELi32ELc67ELc67EKS2_S3_S2_EEvlllT_PT11_llS6_llS4_PT12_llPT13_lli
    .private_segment_fixed_size: 0
    .sgpr_count:     58
    .sgpr_spill_count: 0
    .symbol:         _ZN12_GLOBAL__N_127rocblas_gemm_batched_kernelI19rocblas_complex_numIdELi16ELi16ELi32ELi32ELi8ELi32ELi8ELi8ELi32ELc67ELc67EKS2_S3_S2_EEvlllT_PT11_llS6_llS4_PT12_llPT13_lli.kd
    .uniform_work_group_size: 1
    .uses_dynamic_stack: false
    .vgpr_count:     56
    .vgpr_spill_count: 0
    .wavefront_size: 64
  - .agpr_count:     0
    .args:
      - .offset:         0
        .size:           8
        .value_kind:     by_value
      - .offset:         8
        .size:           8
        .value_kind:     by_value
      - .offset:         16
        .size:           8
        .value_kind:     by_value
      - .offset:         24
        .size:           16
        .value_kind:     by_value
      - .address_space:  global
        .offset:         40
        .size:           8
        .value_kind:     global_buffer
      - .offset:         48
        .size:           8
        .value_kind:     by_value
      - .offset:         56
        .size:           8
        .value_kind:     by_value
      - .address_space:  global
        .offset:         64
        .size:           8
        .value_kind:     global_buffer
      - .offset:         72
        .size:           8
        .value_kind:     by_value
      - .offset:         80
        .size:           8
        .value_kind:     by_value
      - .offset:         88
        .size:           16
        .value_kind:     by_value
      - .address_space:  global
        .offset:         104
        .size:           8
        .value_kind:     global_buffer
      - .offset:         112
        .size:           8
        .value_kind:     by_value
      - .offset:         120
        .size:           8
        .value_kind:     by_value
      - .address_space:  global
        .offset:         128
        .size:           8
        .value_kind:     global_buffer
      - .offset:         136
        .size:           8
        .value_kind:     by_value
      - .offset:         144
        .size:           8
        .value_kind:     by_value
      - .offset:         152
        .size:           4
        .value_kind:     by_value
    .group_segment_fixed_size: 8192
    .kernarg_segment_align: 8
    .kernarg_segment_size: 156
    .language:       OpenCL C
    .language_version:
      - 2
      - 0
    .max_flat_workgroup_size: 256
    .name:           _ZN12_GLOBAL__N_127rocblas_gemm_batched_kernelI19rocblas_complex_numIdELi16ELi16ELi32ELi32ELi8ELi32ELi8ELi8ELi32ELc67ELc78EKS2_S3_S2_EEvlllT_PT11_llS6_llS4_PT12_llPT13_lli
    .private_segment_fixed_size: 0
    .sgpr_count:     58
    .sgpr_spill_count: 0
    .symbol:         _ZN12_GLOBAL__N_127rocblas_gemm_batched_kernelI19rocblas_complex_numIdELi16ELi16ELi32ELi32ELi8ELi32ELi8ELi8ELi32ELc67ELc78EKS2_S3_S2_EEvlllT_PT11_llS6_llS4_PT12_llPT13_lli.kd
    .uniform_work_group_size: 1
    .uses_dynamic_stack: false
    .vgpr_count:     56
    .vgpr_spill_count: 0
    .wavefront_size: 64
  - .agpr_count:     0
    .args:
      - .offset:         0
        .size:           8
        .value_kind:     by_value
      - .offset:         8
        .size:           8
        .value_kind:     by_value
      - .offset:         16
        .size:           8
        .value_kind:     by_value
      - .offset:         24
        .size:           16
        .value_kind:     by_value
      - .address_space:  global
        .offset:         40
        .size:           8
        .value_kind:     global_buffer
      - .offset:         48
        .size:           8
        .value_kind:     by_value
      - .offset:         56
        .size:           8
        .value_kind:     by_value
      - .address_space:  global
        .offset:         64
        .size:           8
        .value_kind:     global_buffer
      - .offset:         72
        .size:           8
        .value_kind:     by_value
      - .offset:         80
        .size:           8
        .value_kind:     by_value
      - .offset:         88
        .size:           16
        .value_kind:     by_value
      - .address_space:  global
        .offset:         104
        .size:           8
        .value_kind:     global_buffer
      - .offset:         112
        .size:           8
        .value_kind:     by_value
      - .offset:         120
        .size:           8
        .value_kind:     by_value
      - .address_space:  global
        .offset:         128
        .size:           8
        .value_kind:     global_buffer
      - .offset:         136
        .size:           8
        .value_kind:     by_value
      - .offset:         144
        .size:           8
        .value_kind:     by_value
      - .offset:         152
        .size:           4
        .value_kind:     by_value
    .group_segment_fixed_size: 8192
    .kernarg_segment_align: 8
    .kernarg_segment_size: 156
    .language:       OpenCL C
    .language_version:
      - 2
      - 0
    .max_flat_workgroup_size: 256
    .name:           _ZN12_GLOBAL__N_127rocblas_gemm_batched_kernelI19rocblas_complex_numIdELi16ELi16ELi32ELi32ELi8ELi32ELi8ELi8ELi32ELc67ELc84EKS2_S3_S2_EEvlllT_PT11_llS6_llS4_PT12_llPT13_lli
    .private_segment_fixed_size: 0
    .sgpr_count:     58
    .sgpr_spill_count: 0
    .symbol:         _ZN12_GLOBAL__N_127rocblas_gemm_batched_kernelI19rocblas_complex_numIdELi16ELi16ELi32ELi32ELi8ELi32ELi8ELi8ELi32ELc67ELc84EKS2_S3_S2_EEvlllT_PT11_llS6_llS4_PT12_llPT13_lli.kd
    .uniform_work_group_size: 1
    .uses_dynamic_stack: false
    .vgpr_count:     56
    .vgpr_spill_count: 0
    .wavefront_size: 64
  - .agpr_count:     0
    .args:
      - .offset:         0
        .size:           8
        .value_kind:     by_value
      - .offset:         8
        .size:           8
        .value_kind:     by_value
      - .offset:         16
        .size:           8
        .value_kind:     by_value
      - .offset:         24
        .size:           16
        .value_kind:     by_value
      - .address_space:  global
        .offset:         40
        .size:           8
        .value_kind:     global_buffer
      - .offset:         48
        .size:           8
        .value_kind:     by_value
      - .offset:         56
        .size:           8
        .value_kind:     by_value
      - .address_space:  global
        .offset:         64
        .size:           8
        .value_kind:     global_buffer
      - .offset:         72
        .size:           8
        .value_kind:     by_value
      - .offset:         80
        .size:           8
        .value_kind:     by_value
      - .offset:         88
        .size:           16
        .value_kind:     by_value
      - .address_space:  global
        .offset:         104
        .size:           8
        .value_kind:     global_buffer
      - .offset:         112
        .size:           8
        .value_kind:     by_value
      - .offset:         120
        .size:           8
        .value_kind:     by_value
      - .address_space:  global
        .offset:         128
        .size:           8
        .value_kind:     global_buffer
      - .offset:         136
        .size:           8
        .value_kind:     by_value
      - .offset:         144
        .size:           8
        .value_kind:     by_value
      - .offset:         152
        .size:           4
        .value_kind:     by_value
    .group_segment_fixed_size: 8192
    .kernarg_segment_align: 8
    .kernarg_segment_size: 156
    .language:       OpenCL C
    .language_version:
      - 2
      - 0
    .max_flat_workgroup_size: 256
    .name:           _ZN12_GLOBAL__N_127rocblas_gemm_batched_kernelI19rocblas_complex_numIdELi16ELi16ELi32ELi32ELi8ELi32ELi8ELi8ELi32ELc78ELc67EKS2_S3_S2_EEvlllT_PT11_llS6_llS4_PT12_llPT13_lli
    .private_segment_fixed_size: 0
    .sgpr_count:     58
    .sgpr_spill_count: 0
    .symbol:         _ZN12_GLOBAL__N_127rocblas_gemm_batched_kernelI19rocblas_complex_numIdELi16ELi16ELi32ELi32ELi8ELi32ELi8ELi8ELi32ELc78ELc67EKS2_S3_S2_EEvlllT_PT11_llS6_llS4_PT12_llPT13_lli.kd
    .uniform_work_group_size: 1
    .uses_dynamic_stack: false
    .vgpr_count:     56
    .vgpr_spill_count: 0
    .wavefront_size: 64
  - .agpr_count:     0
    .args:
      - .offset:         0
        .size:           8
        .value_kind:     by_value
      - .offset:         8
        .size:           8
        .value_kind:     by_value
      - .offset:         16
        .size:           8
        .value_kind:     by_value
      - .offset:         24
        .size:           16
        .value_kind:     by_value
      - .address_space:  global
        .offset:         40
        .size:           8
        .value_kind:     global_buffer
      - .offset:         48
        .size:           8
        .value_kind:     by_value
      - .offset:         56
        .size:           8
        .value_kind:     by_value
      - .address_space:  global
        .offset:         64
        .size:           8
        .value_kind:     global_buffer
      - .offset:         72
        .size:           8
        .value_kind:     by_value
      - .offset:         80
        .size:           8
        .value_kind:     by_value
      - .offset:         88
        .size:           16
        .value_kind:     by_value
      - .address_space:  global
        .offset:         104
        .size:           8
        .value_kind:     global_buffer
      - .offset:         112
        .size:           8
        .value_kind:     by_value
      - .offset:         120
        .size:           8
        .value_kind:     by_value
      - .address_space:  global
        .offset:         128
        .size:           8
        .value_kind:     global_buffer
      - .offset:         136
        .size:           8
        .value_kind:     by_value
      - .offset:         144
        .size:           8
        .value_kind:     by_value
      - .offset:         152
        .size:           4
        .value_kind:     by_value
    .group_segment_fixed_size: 8192
    .kernarg_segment_align: 8
    .kernarg_segment_size: 156
    .language:       OpenCL C
    .language_version:
      - 2
      - 0
    .max_flat_workgroup_size: 256
    .name:           _ZN12_GLOBAL__N_127rocblas_gemm_batched_kernelI19rocblas_complex_numIdELi16ELi16ELi32ELi32ELi8ELi32ELi8ELi8ELi32ELc84ELc67EKS2_S3_S2_EEvlllT_PT11_llS6_llS4_PT12_llPT13_lli
    .private_segment_fixed_size: 0
    .sgpr_count:     58
    .sgpr_spill_count: 0
    .symbol:         _ZN12_GLOBAL__N_127rocblas_gemm_batched_kernelI19rocblas_complex_numIdELi16ELi16ELi32ELi32ELi8ELi32ELi8ELi8ELi32ELc84ELc67EKS2_S3_S2_EEvlllT_PT11_llS6_llS4_PT12_llPT13_lli.kd
    .uniform_work_group_size: 1
    .uses_dynamic_stack: false
    .vgpr_count:     56
    .vgpr_spill_count: 0
    .wavefront_size: 64
  - .agpr_count:     0
    .args:
      - .offset:         0
        .size:           8
        .value_kind:     by_value
      - .offset:         8
        .size:           8
        .value_kind:     by_value
      - .offset:         16
        .size:           8
        .value_kind:     by_value
      - .offset:         24
        .size:           16
        .value_kind:     by_value
      - .address_space:  global
        .offset:         40
        .size:           8
        .value_kind:     global_buffer
      - .offset:         48
        .size:           8
        .value_kind:     by_value
      - .offset:         56
        .size:           8
        .value_kind:     by_value
      - .address_space:  global
        .offset:         64
        .size:           8
        .value_kind:     global_buffer
      - .offset:         72
        .size:           8
        .value_kind:     by_value
      - .offset:         80
        .size:           8
        .value_kind:     by_value
      - .offset:         88
        .size:           16
        .value_kind:     by_value
      - .address_space:  global
        .offset:         104
        .size:           8
        .value_kind:     global_buffer
      - .offset:         112
        .size:           8
        .value_kind:     by_value
      - .offset:         120
        .size:           8
        .value_kind:     by_value
      - .address_space:  global
        .offset:         128
        .size:           8
        .value_kind:     global_buffer
      - .offset:         136
        .size:           8
        .value_kind:     by_value
      - .offset:         144
        .size:           8
        .value_kind:     by_value
      - .offset:         152
        .size:           4
        .value_kind:     by_value
    .group_segment_fixed_size: 8192
    .kernarg_segment_align: 8
    .kernarg_segment_size: 156
    .language:       OpenCL C
    .language_version:
      - 2
      - 0
    .max_flat_workgroup_size: 256
    .name:           _ZN12_GLOBAL__N_135rocblas_gemm_batched_general_kernelI19rocblas_complex_numIdELi16ELi16ELi32ELi32ELi8ELi32ELi8ELi8ELi32ELc78ELc78EKS2_S3_S2_EEvlllT_PT11_llS6_llS4_PT12_llPT13_lli
    .private_segment_fixed_size: 0
    .sgpr_count:     58
    .sgpr_spill_count: 0
    .symbol:         _ZN12_GLOBAL__N_135rocblas_gemm_batched_general_kernelI19rocblas_complex_numIdELi16ELi16ELi32ELi32ELi8ELi32ELi8ELi8ELi32ELc78ELc78EKS2_S3_S2_EEvlllT_PT11_llS6_llS4_PT12_llPT13_lli.kd
    .uniform_work_group_size: 1
    .uses_dynamic_stack: false
    .vgpr_count:     68
    .vgpr_spill_count: 0
    .wavefront_size: 64
  - .agpr_count:     0
    .args:
      - .offset:         0
        .size:           8
        .value_kind:     by_value
      - .offset:         8
        .size:           8
        .value_kind:     by_value
      - .offset:         16
        .size:           8
        .value_kind:     by_value
      - .offset:         24
        .size:           16
        .value_kind:     by_value
      - .address_space:  global
        .offset:         40
        .size:           8
        .value_kind:     global_buffer
      - .offset:         48
        .size:           8
        .value_kind:     by_value
      - .offset:         56
        .size:           8
        .value_kind:     by_value
      - .address_space:  global
        .offset:         64
        .size:           8
        .value_kind:     global_buffer
      - .offset:         72
        .size:           8
        .value_kind:     by_value
      - .offset:         80
        .size:           8
        .value_kind:     by_value
      - .offset:         88
        .size:           16
        .value_kind:     by_value
      - .address_space:  global
        .offset:         104
        .size:           8
        .value_kind:     global_buffer
      - .offset:         112
        .size:           8
        .value_kind:     by_value
      - .offset:         120
        .size:           8
        .value_kind:     by_value
      - .address_space:  global
        .offset:         128
        .size:           8
        .value_kind:     global_buffer
      - .offset:         136
        .size:           8
        .value_kind:     by_value
      - .offset:         144
        .size:           8
        .value_kind:     by_value
      - .offset:         152
        .size:           4
        .value_kind:     by_value
    .group_segment_fixed_size: 8192
    .kernarg_segment_align: 8
    .kernarg_segment_size: 156
    .language:       OpenCL C
    .language_version:
      - 2
      - 0
    .max_flat_workgroup_size: 256
    .name:           _ZN12_GLOBAL__N_135rocblas_gemm_batched_general_kernelI19rocblas_complex_numIdELi16ELi16ELi32ELi32ELi8ELi32ELi8ELi8ELi32ELc84ELc78EKS2_S3_S2_EEvlllT_PT11_llS6_llS4_PT12_llPT13_lli
    .private_segment_fixed_size: 0
    .sgpr_count:     58
    .sgpr_spill_count: 0
    .symbol:         _ZN12_GLOBAL__N_135rocblas_gemm_batched_general_kernelI19rocblas_complex_numIdELi16ELi16ELi32ELi32ELi8ELi32ELi8ELi8ELi32ELc84ELc78EKS2_S3_S2_EEvlllT_PT11_llS6_llS4_PT12_llPT13_lli.kd
    .uniform_work_group_size: 1
    .uses_dynamic_stack: false
    .vgpr_count:     68
    .vgpr_spill_count: 0
    .wavefront_size: 64
  - .agpr_count:     0
    .args:
      - .offset:         0
        .size:           8
        .value_kind:     by_value
      - .offset:         8
        .size:           8
        .value_kind:     by_value
      - .offset:         16
        .size:           8
        .value_kind:     by_value
      - .offset:         24
        .size:           16
        .value_kind:     by_value
      - .address_space:  global
        .offset:         40
        .size:           8
        .value_kind:     global_buffer
      - .offset:         48
        .size:           8
        .value_kind:     by_value
      - .offset:         56
        .size:           8
        .value_kind:     by_value
      - .address_space:  global
        .offset:         64
        .size:           8
        .value_kind:     global_buffer
      - .offset:         72
        .size:           8
        .value_kind:     by_value
      - .offset:         80
        .size:           8
        .value_kind:     by_value
      - .offset:         88
        .size:           16
        .value_kind:     by_value
      - .address_space:  global
        .offset:         104
        .size:           8
        .value_kind:     global_buffer
      - .offset:         112
        .size:           8
        .value_kind:     by_value
      - .offset:         120
        .size:           8
        .value_kind:     by_value
      - .address_space:  global
        .offset:         128
        .size:           8
        .value_kind:     global_buffer
      - .offset:         136
        .size:           8
        .value_kind:     by_value
      - .offset:         144
        .size:           8
        .value_kind:     by_value
      - .offset:         152
        .size:           4
        .value_kind:     by_value
    .group_segment_fixed_size: 8192
    .kernarg_segment_align: 8
    .kernarg_segment_size: 156
    .language:       OpenCL C
    .language_version:
      - 2
      - 0
    .max_flat_workgroup_size: 256
    .name:           _ZN12_GLOBAL__N_135rocblas_gemm_batched_general_kernelI19rocblas_complex_numIdELi16ELi16ELi32ELi32ELi8ELi32ELi8ELi8ELi32ELc78ELc84EKS2_S3_S2_EEvlllT_PT11_llS6_llS4_PT12_llPT13_lli
    .private_segment_fixed_size: 0
    .sgpr_count:     58
    .sgpr_spill_count: 0
    .symbol:         _ZN12_GLOBAL__N_135rocblas_gemm_batched_general_kernelI19rocblas_complex_numIdELi16ELi16ELi32ELi32ELi8ELi32ELi8ELi8ELi32ELc78ELc84EKS2_S3_S2_EEvlllT_PT11_llS6_llS4_PT12_llPT13_lli.kd
    .uniform_work_group_size: 1
    .uses_dynamic_stack: false
    .vgpr_count:     68
    .vgpr_spill_count: 0
    .wavefront_size: 64
  - .agpr_count:     0
    .args:
      - .offset:         0
        .size:           8
        .value_kind:     by_value
      - .offset:         8
        .size:           8
        .value_kind:     by_value
      - .offset:         16
        .size:           8
        .value_kind:     by_value
      - .offset:         24
        .size:           16
        .value_kind:     by_value
      - .address_space:  global
        .offset:         40
        .size:           8
        .value_kind:     global_buffer
      - .offset:         48
        .size:           8
        .value_kind:     by_value
      - .offset:         56
        .size:           8
        .value_kind:     by_value
      - .address_space:  global
        .offset:         64
        .size:           8
        .value_kind:     global_buffer
      - .offset:         72
        .size:           8
        .value_kind:     by_value
      - .offset:         80
        .size:           8
        .value_kind:     by_value
      - .offset:         88
        .size:           16
        .value_kind:     by_value
      - .address_space:  global
        .offset:         104
        .size:           8
        .value_kind:     global_buffer
      - .offset:         112
        .size:           8
        .value_kind:     by_value
      - .offset:         120
        .size:           8
        .value_kind:     by_value
      - .address_space:  global
        .offset:         128
        .size:           8
        .value_kind:     global_buffer
      - .offset:         136
        .size:           8
        .value_kind:     by_value
      - .offset:         144
        .size:           8
        .value_kind:     by_value
      - .offset:         152
        .size:           4
        .value_kind:     by_value
    .group_segment_fixed_size: 8192
    .kernarg_segment_align: 8
    .kernarg_segment_size: 156
    .language:       OpenCL C
    .language_version:
      - 2
      - 0
    .max_flat_workgroup_size: 256
    .name:           _ZN12_GLOBAL__N_135rocblas_gemm_batched_general_kernelI19rocblas_complex_numIdELi16ELi16ELi32ELi32ELi8ELi32ELi8ELi8ELi32ELc84ELc84EKS2_S3_S2_EEvlllT_PT11_llS6_llS4_PT12_llPT13_lli
    .private_segment_fixed_size: 0
    .sgpr_count:     58
    .sgpr_spill_count: 0
    .symbol:         _ZN12_GLOBAL__N_135rocblas_gemm_batched_general_kernelI19rocblas_complex_numIdELi16ELi16ELi32ELi32ELi8ELi32ELi8ELi8ELi32ELc84ELc84EKS2_S3_S2_EEvlllT_PT11_llS6_llS4_PT12_llPT13_lli.kd
    .uniform_work_group_size: 1
    .uses_dynamic_stack: false
    .vgpr_count:     68
    .vgpr_spill_count: 0
    .wavefront_size: 64
  - .agpr_count:     0
    .args:
      - .offset:         0
        .size:           8
        .value_kind:     by_value
      - .offset:         8
        .size:           8
        .value_kind:     by_value
      - .offset:         16
        .size:           8
        .value_kind:     by_value
      - .offset:         24
        .size:           16
        .value_kind:     by_value
      - .address_space:  global
        .offset:         40
        .size:           8
        .value_kind:     global_buffer
      - .offset:         48
        .size:           8
        .value_kind:     by_value
      - .offset:         56
        .size:           8
        .value_kind:     by_value
      - .address_space:  global
        .offset:         64
        .size:           8
        .value_kind:     global_buffer
      - .offset:         72
        .size:           8
        .value_kind:     by_value
      - .offset:         80
        .size:           8
        .value_kind:     by_value
      - .offset:         88
        .size:           16
        .value_kind:     by_value
      - .address_space:  global
        .offset:         104
        .size:           8
        .value_kind:     global_buffer
      - .offset:         112
        .size:           8
        .value_kind:     by_value
      - .offset:         120
        .size:           8
        .value_kind:     by_value
      - .address_space:  global
        .offset:         128
        .size:           8
        .value_kind:     global_buffer
      - .offset:         136
        .size:           8
        .value_kind:     by_value
      - .offset:         144
        .size:           8
        .value_kind:     by_value
      - .offset:         152
        .size:           4
        .value_kind:     by_value
    .group_segment_fixed_size: 8192
    .kernarg_segment_align: 8
    .kernarg_segment_size: 156
    .language:       OpenCL C
    .language_version:
      - 2
      - 0
    .max_flat_workgroup_size: 256
    .name:           _ZN12_GLOBAL__N_135rocblas_gemm_batched_general_kernelI19rocblas_complex_numIdELi16ELi16ELi32ELi32ELi8ELi32ELi8ELi8ELi32ELc67ELc67EKS2_S3_S2_EEvlllT_PT11_llS6_llS4_PT12_llPT13_lli
    .private_segment_fixed_size: 0
    .sgpr_count:     58
    .sgpr_spill_count: 0
    .symbol:         _ZN12_GLOBAL__N_135rocblas_gemm_batched_general_kernelI19rocblas_complex_numIdELi16ELi16ELi32ELi32ELi8ELi32ELi8ELi8ELi32ELc67ELc67EKS2_S3_S2_EEvlllT_PT11_llS6_llS4_PT12_llPT13_lli.kd
    .uniform_work_group_size: 1
    .uses_dynamic_stack: false
    .vgpr_count:     64
    .vgpr_spill_count: 0
    .wavefront_size: 64
  - .agpr_count:     0
    .args:
      - .offset:         0
        .size:           8
        .value_kind:     by_value
      - .offset:         8
        .size:           8
        .value_kind:     by_value
      - .offset:         16
        .size:           8
        .value_kind:     by_value
      - .offset:         24
        .size:           16
        .value_kind:     by_value
      - .address_space:  global
        .offset:         40
        .size:           8
        .value_kind:     global_buffer
      - .offset:         48
        .size:           8
        .value_kind:     by_value
      - .offset:         56
        .size:           8
        .value_kind:     by_value
      - .address_space:  global
        .offset:         64
        .size:           8
        .value_kind:     global_buffer
      - .offset:         72
        .size:           8
        .value_kind:     by_value
      - .offset:         80
        .size:           8
        .value_kind:     by_value
      - .offset:         88
        .size:           16
        .value_kind:     by_value
      - .address_space:  global
        .offset:         104
        .size:           8
        .value_kind:     global_buffer
      - .offset:         112
        .size:           8
        .value_kind:     by_value
      - .offset:         120
        .size:           8
        .value_kind:     by_value
      - .address_space:  global
        .offset:         128
        .size:           8
        .value_kind:     global_buffer
      - .offset:         136
        .size:           8
        .value_kind:     by_value
      - .offset:         144
        .size:           8
        .value_kind:     by_value
      - .offset:         152
        .size:           4
        .value_kind:     by_value
    .group_segment_fixed_size: 8192
    .kernarg_segment_align: 8
    .kernarg_segment_size: 156
    .language:       OpenCL C
    .language_version:
      - 2
      - 0
    .max_flat_workgroup_size: 256
    .name:           _ZN12_GLOBAL__N_135rocblas_gemm_batched_general_kernelI19rocblas_complex_numIdELi16ELi16ELi32ELi32ELi8ELi32ELi8ELi8ELi32ELc67ELc78EKS2_S3_S2_EEvlllT_PT11_llS6_llS4_PT12_llPT13_lli
    .private_segment_fixed_size: 0
    .sgpr_count:     58
    .sgpr_spill_count: 0
    .symbol:         _ZN12_GLOBAL__N_135rocblas_gemm_batched_general_kernelI19rocblas_complex_numIdELi16ELi16ELi32ELi32ELi8ELi32ELi8ELi8ELi32ELc67ELc78EKS2_S3_S2_EEvlllT_PT11_llS6_llS4_PT12_llPT13_lli.kd
    .uniform_work_group_size: 1
    .uses_dynamic_stack: false
    .vgpr_count:     68
    .vgpr_spill_count: 0
    .wavefront_size: 64
  - .agpr_count:     0
    .args:
      - .offset:         0
        .size:           8
        .value_kind:     by_value
      - .offset:         8
        .size:           8
        .value_kind:     by_value
      - .offset:         16
        .size:           8
        .value_kind:     by_value
      - .offset:         24
        .size:           16
        .value_kind:     by_value
      - .address_space:  global
        .offset:         40
        .size:           8
        .value_kind:     global_buffer
      - .offset:         48
        .size:           8
        .value_kind:     by_value
      - .offset:         56
        .size:           8
        .value_kind:     by_value
      - .address_space:  global
        .offset:         64
        .size:           8
        .value_kind:     global_buffer
      - .offset:         72
        .size:           8
        .value_kind:     by_value
      - .offset:         80
        .size:           8
        .value_kind:     by_value
      - .offset:         88
        .size:           16
        .value_kind:     by_value
      - .address_space:  global
        .offset:         104
        .size:           8
        .value_kind:     global_buffer
      - .offset:         112
        .size:           8
        .value_kind:     by_value
      - .offset:         120
        .size:           8
        .value_kind:     by_value
      - .address_space:  global
        .offset:         128
        .size:           8
        .value_kind:     global_buffer
      - .offset:         136
        .size:           8
        .value_kind:     by_value
      - .offset:         144
        .size:           8
        .value_kind:     by_value
      - .offset:         152
        .size:           4
        .value_kind:     by_value
    .group_segment_fixed_size: 8192
    .kernarg_segment_align: 8
    .kernarg_segment_size: 156
    .language:       OpenCL C
    .language_version:
      - 2
      - 0
    .max_flat_workgroup_size: 256
    .name:           _ZN12_GLOBAL__N_135rocblas_gemm_batched_general_kernelI19rocblas_complex_numIdELi16ELi16ELi32ELi32ELi8ELi32ELi8ELi8ELi32ELc67ELc84EKS2_S3_S2_EEvlllT_PT11_llS6_llS4_PT12_llPT13_lli
    .private_segment_fixed_size: 0
    .sgpr_count:     58
    .sgpr_spill_count: 0
    .symbol:         _ZN12_GLOBAL__N_135rocblas_gemm_batched_general_kernelI19rocblas_complex_numIdELi16ELi16ELi32ELi32ELi8ELi32ELi8ELi8ELi32ELc67ELc84EKS2_S3_S2_EEvlllT_PT11_llS6_llS4_PT12_llPT13_lli.kd
    .uniform_work_group_size: 1
    .uses_dynamic_stack: false
    .vgpr_count:     68
    .vgpr_spill_count: 0
    .wavefront_size: 64
  - .agpr_count:     0
    .args:
      - .offset:         0
        .size:           8
        .value_kind:     by_value
      - .offset:         8
        .size:           8
        .value_kind:     by_value
      - .offset:         16
        .size:           8
        .value_kind:     by_value
      - .offset:         24
        .size:           16
        .value_kind:     by_value
      - .address_space:  global
        .offset:         40
        .size:           8
        .value_kind:     global_buffer
      - .offset:         48
        .size:           8
        .value_kind:     by_value
      - .offset:         56
        .size:           8
        .value_kind:     by_value
      - .address_space:  global
        .offset:         64
        .size:           8
        .value_kind:     global_buffer
      - .offset:         72
        .size:           8
        .value_kind:     by_value
      - .offset:         80
        .size:           8
        .value_kind:     by_value
      - .offset:         88
        .size:           16
        .value_kind:     by_value
      - .address_space:  global
        .offset:         104
        .size:           8
        .value_kind:     global_buffer
      - .offset:         112
        .size:           8
        .value_kind:     by_value
      - .offset:         120
        .size:           8
        .value_kind:     by_value
      - .address_space:  global
        .offset:         128
        .size:           8
        .value_kind:     global_buffer
      - .offset:         136
        .size:           8
        .value_kind:     by_value
      - .offset:         144
        .size:           8
        .value_kind:     by_value
      - .offset:         152
        .size:           4
        .value_kind:     by_value
    .group_segment_fixed_size: 8192
    .kernarg_segment_align: 8
    .kernarg_segment_size: 156
    .language:       OpenCL C
    .language_version:
      - 2
      - 0
    .max_flat_workgroup_size: 256
    .name:           _ZN12_GLOBAL__N_135rocblas_gemm_batched_general_kernelI19rocblas_complex_numIdELi16ELi16ELi32ELi32ELi8ELi32ELi8ELi8ELi32ELc78ELc67EKS2_S3_S2_EEvlllT_PT11_llS6_llS4_PT12_llPT13_lli
    .private_segment_fixed_size: 0
    .sgpr_count:     58
    .sgpr_spill_count: 0
    .symbol:         _ZN12_GLOBAL__N_135rocblas_gemm_batched_general_kernelI19rocblas_complex_numIdELi16ELi16ELi32ELi32ELi8ELi32ELi8ELi8ELi32ELc78ELc67EKS2_S3_S2_EEvlllT_PT11_llS6_llS4_PT12_llPT13_lli.kd
    .uniform_work_group_size: 1
    .uses_dynamic_stack: false
    .vgpr_count:     68
    .vgpr_spill_count: 0
    .wavefront_size: 64
  - .agpr_count:     0
    .args:
      - .offset:         0
        .size:           8
        .value_kind:     by_value
      - .offset:         8
        .size:           8
        .value_kind:     by_value
      - .offset:         16
        .size:           8
        .value_kind:     by_value
      - .offset:         24
        .size:           16
        .value_kind:     by_value
      - .address_space:  global
        .offset:         40
        .size:           8
        .value_kind:     global_buffer
      - .offset:         48
        .size:           8
        .value_kind:     by_value
      - .offset:         56
        .size:           8
        .value_kind:     by_value
      - .address_space:  global
        .offset:         64
        .size:           8
        .value_kind:     global_buffer
      - .offset:         72
        .size:           8
        .value_kind:     by_value
      - .offset:         80
        .size:           8
        .value_kind:     by_value
      - .offset:         88
        .size:           16
        .value_kind:     by_value
      - .address_space:  global
        .offset:         104
        .size:           8
        .value_kind:     global_buffer
      - .offset:         112
        .size:           8
        .value_kind:     by_value
      - .offset:         120
        .size:           8
        .value_kind:     by_value
      - .address_space:  global
        .offset:         128
        .size:           8
        .value_kind:     global_buffer
      - .offset:         136
        .size:           8
        .value_kind:     by_value
      - .offset:         144
        .size:           8
        .value_kind:     by_value
      - .offset:         152
        .size:           4
        .value_kind:     by_value
    .group_segment_fixed_size: 8192
    .kernarg_segment_align: 8
    .kernarg_segment_size: 156
    .language:       OpenCL C
    .language_version:
      - 2
      - 0
    .max_flat_workgroup_size: 256
    .name:           _ZN12_GLOBAL__N_135rocblas_gemm_batched_general_kernelI19rocblas_complex_numIdELi16ELi16ELi32ELi32ELi8ELi32ELi8ELi8ELi32ELc84ELc67EKS2_S3_S2_EEvlllT_PT11_llS6_llS4_PT12_llPT13_lli
    .private_segment_fixed_size: 0
    .sgpr_count:     58
    .sgpr_spill_count: 0
    .symbol:         _ZN12_GLOBAL__N_135rocblas_gemm_batched_general_kernelI19rocblas_complex_numIdELi16ELi16ELi32ELi32ELi8ELi32ELi8ELi8ELi32ELc84ELc67EKS2_S3_S2_EEvlllT_PT11_llS6_llS4_PT12_llPT13_lli.kd
    .uniform_work_group_size: 1
    .uses_dynamic_stack: false
    .vgpr_count:     68
    .vgpr_spill_count: 0
    .wavefront_size: 64
  - .agpr_count:     0
    .args:
      - .offset:         0
        .size:           4
        .value_kind:     by_value
      - .offset:         4
        .size:           4
        .value_kind:     by_value
      - .offset:         8
        .size:           2
        .value_kind:     by_value
      - .address_space:  global
        .offset:         16
        .size:           8
        .value_kind:     global_buffer
      - .offset:         24
        .size:           8
        .value_kind:     by_value
      - .offset:         32
        .size:           8
        .value_kind:     by_value
      - .offset:         40
        .size:           8
        .value_kind:     by_value
      - .offset:         48
        .size:           4
        .value_kind:     by_value
    .group_segment_fixed_size: 0
    .kernarg_segment_align: 8
    .kernarg_segment_size: 52
    .language:       OpenCL C
    .language_version:
      - 2
      - 0
    .max_flat_workgroup_size: 1024
    .name:           _ZN12_GLOBAL__N_125rocblas_gemm_scale_kernelILi32ELi32EDF16_PKPDF16_EEviiT1_T2_llli
    .private_segment_fixed_size: 0
    .sgpr_count:     22
    .sgpr_spill_count: 0
    .symbol:         _ZN12_GLOBAL__N_125rocblas_gemm_scale_kernelILi32ELi32EDF16_PKPDF16_EEviiT1_T2_llli.kd
    .uniform_work_group_size: 1
    .uses_dynamic_stack: false
    .vgpr_count:     8
    .vgpr_spill_count: 0
    .wavefront_size: 64
  - .agpr_count:     0
    .args:
      - .offset:         0
        .size:           4
        .value_kind:     by_value
      - .offset:         4
        .size:           4
        .value_kind:     by_value
      - .offset:         8
        .size:           2
        .value_kind:     by_value
      - .address_space:  global
        .offset:         16
        .size:           8
        .value_kind:     global_buffer
      - .offset:         24
        .size:           8
        .value_kind:     by_value
      - .offset:         32
        .size:           8
        .value_kind:     by_value
      - .offset:         40
        .size:           8
        .value_kind:     by_value
      - .address_space:  global
        .offset:         48
        .size:           8
        .value_kind:     global_buffer
      - .offset:         56
        .size:           8
        .value_kind:     by_value
      - .offset:         64
        .size:           8
        .value_kind:     by_value
      - .offset:         72
        .size:           8
        .value_kind:     by_value
      - .offset:         80
        .size:           4
        .value_kind:     by_value
    .group_segment_fixed_size: 0
    .kernarg_segment_align: 8
    .kernarg_segment_size: 84
    .language:       OpenCL C
    .language_version:
      - 2
      - 0
    .max_flat_workgroup_size: 1024
    .name:           _ZN12_GLOBAL__N_120gemm_ex_scale_kernelILi32ELi32EDF16_PKPKDF16_PKPDF16_EEviiT1_T2_lllT3_llli
    .private_segment_fixed_size: 0
    .sgpr_count:     26
    .sgpr_spill_count: 0
    .symbol:         _ZN12_GLOBAL__N_120gemm_ex_scale_kernelILi32ELi32EDF16_PKPKDF16_PKPDF16_EEviiT1_T2_lllT3_llli.kd
    .uniform_work_group_size: 1
    .uses_dynamic_stack: false
    .vgpr_count:     10
    .vgpr_spill_count: 0
    .wavefront_size: 64
  - .agpr_count:     0
    .args:
      - .offset:         0
        .size:           8
        .value_kind:     by_value
      - .offset:         8
        .size:           8
        .value_kind:     by_value
      - .offset:         16
        .size:           8
        .value_kind:     by_value
      - .offset:         24
        .size:           2
        .value_kind:     by_value
      - .address_space:  global
        .offset:         32
        .size:           8
        .value_kind:     global_buffer
      - .offset:         40
        .size:           8
        .value_kind:     by_value
      - .offset:         48
        .size:           8
        .value_kind:     by_value
      - .address_space:  global
        .offset:         56
        .size:           8
        .value_kind:     global_buffer
      - .offset:         64
        .size:           8
        .value_kind:     by_value
      - .offset:         72
        .size:           8
        .value_kind:     by_value
      - .offset:         80
        .size:           2
        .value_kind:     by_value
      - .address_space:  global
        .offset:         88
        .size:           8
        .value_kind:     global_buffer
      - .offset:         96
        .size:           8
        .value_kind:     by_value
      - .offset:         104
        .size:           8
        .value_kind:     by_value
      - .address_space:  global
        .offset:         112
        .size:           8
        .value_kind:     global_buffer
      - .offset:         120
        .size:           8
        .value_kind:     by_value
      - .offset:         128
        .size:           8
        .value_kind:     by_value
      - .offset:         136
        .size:           4
        .value_kind:     by_value
    .group_segment_fixed_size: 1024
    .kernarg_segment_align: 8
    .kernarg_segment_size: 140
    .language:       OpenCL C
    .language_version:
      - 2
      - 0
    .max_flat_workgroup_size: 256
    .name:           _ZN12_GLOBAL__N_127rocblas_gemm_batched_kernelIDF16_Li16ELi16ELi64ELi64ELi4ELi64ELi4ELi4ELi64ELc78ELc78EKPKDF16_S3_KPDF16_EEvlllT_PT11_llS8_llS6_PT12_llPT13_lli
    .private_segment_fixed_size: 0
    .sgpr_count:     46
    .sgpr_spill_count: 0
    .symbol:         _ZN12_GLOBAL__N_127rocblas_gemm_batched_kernelIDF16_Li16ELi16ELi64ELi64ELi4ELi64ELi4ELi4ELi64ELc78ELc78EKPKDF16_S3_KPDF16_EEvlllT_PT11_llS8_llS6_PT12_llPT13_lli.kd
    .uniform_work_group_size: 1
    .uses_dynamic_stack: false
    .vgpr_count:     46
    .vgpr_spill_count: 0
    .wavefront_size: 64
  - .agpr_count:     0
    .args:
      - .offset:         0
        .size:           8
        .value_kind:     by_value
      - .offset:         8
        .size:           8
        .value_kind:     by_value
      - .offset:         16
        .size:           8
        .value_kind:     by_value
      - .offset:         24
        .size:           2
        .value_kind:     by_value
      - .address_space:  global
        .offset:         32
        .size:           8
        .value_kind:     global_buffer
      - .offset:         40
        .size:           8
        .value_kind:     by_value
      - .offset:         48
        .size:           8
        .value_kind:     by_value
      - .address_space:  global
        .offset:         56
        .size:           8
        .value_kind:     global_buffer
      - .offset:         64
        .size:           8
        .value_kind:     by_value
      - .offset:         72
        .size:           8
        .value_kind:     by_value
      - .offset:         80
        .size:           2
        .value_kind:     by_value
      - .address_space:  global
        .offset:         88
        .size:           8
        .value_kind:     global_buffer
      - .offset:         96
        .size:           8
        .value_kind:     by_value
      - .offset:         104
        .size:           8
        .value_kind:     by_value
      - .address_space:  global
        .offset:         112
        .size:           8
        .value_kind:     global_buffer
      - .offset:         120
        .size:           8
        .value_kind:     by_value
      - .offset:         128
        .size:           8
        .value_kind:     by_value
      - .offset:         136
        .size:           4
        .value_kind:     by_value
    .group_segment_fixed_size: 1024
    .kernarg_segment_align: 8
    .kernarg_segment_size: 140
    .language:       OpenCL C
    .language_version:
      - 2
      - 0
    .max_flat_workgroup_size: 256
    .name:           _ZN12_GLOBAL__N_127rocblas_gemm_batched_kernelIDF16_Li16ELi16ELi64ELi64ELi4ELi64ELi4ELi4ELi64ELc84ELc78EKPKDF16_S3_KPDF16_EEvlllT_PT11_llS8_llS6_PT12_llPT13_lli
    .private_segment_fixed_size: 0
    .sgpr_count:     46
    .sgpr_spill_count: 0
    .symbol:         _ZN12_GLOBAL__N_127rocblas_gemm_batched_kernelIDF16_Li16ELi16ELi64ELi64ELi4ELi64ELi4ELi4ELi64ELc84ELc78EKPKDF16_S3_KPDF16_EEvlllT_PT11_llS8_llS6_PT12_llPT13_lli.kd
    .uniform_work_group_size: 1
    .uses_dynamic_stack: false
    .vgpr_count:     46
    .vgpr_spill_count: 0
    .wavefront_size: 64
  - .agpr_count:     0
    .args:
      - .offset:         0
        .size:           8
        .value_kind:     by_value
      - .offset:         8
        .size:           8
        .value_kind:     by_value
      - .offset:         16
        .size:           8
        .value_kind:     by_value
      - .offset:         24
        .size:           2
        .value_kind:     by_value
      - .address_space:  global
        .offset:         32
        .size:           8
        .value_kind:     global_buffer
      - .offset:         40
        .size:           8
        .value_kind:     by_value
      - .offset:         48
        .size:           8
        .value_kind:     by_value
      - .address_space:  global
        .offset:         56
        .size:           8
        .value_kind:     global_buffer
      - .offset:         64
        .size:           8
        .value_kind:     by_value
      - .offset:         72
        .size:           8
        .value_kind:     by_value
      - .offset:         80
        .size:           2
        .value_kind:     by_value
      - .address_space:  global
        .offset:         88
        .size:           8
        .value_kind:     global_buffer
      - .offset:         96
        .size:           8
        .value_kind:     by_value
      - .offset:         104
        .size:           8
        .value_kind:     by_value
      - .address_space:  global
        .offset:         112
        .size:           8
        .value_kind:     global_buffer
      - .offset:         120
        .size:           8
        .value_kind:     by_value
      - .offset:         128
        .size:           8
        .value_kind:     by_value
      - .offset:         136
        .size:           4
        .value_kind:     by_value
    .group_segment_fixed_size: 1024
    .kernarg_segment_align: 8
    .kernarg_segment_size: 140
    .language:       OpenCL C
    .language_version:
      - 2
      - 0
    .max_flat_workgroup_size: 256
    .name:           _ZN12_GLOBAL__N_127rocblas_gemm_batched_kernelIDF16_Li16ELi16ELi64ELi64ELi4ELi64ELi4ELi4ELi64ELc78ELc84EKPKDF16_S3_KPDF16_EEvlllT_PT11_llS8_llS6_PT12_llPT13_lli
    .private_segment_fixed_size: 0
    .sgpr_count:     42
    .sgpr_spill_count: 0
    .symbol:         _ZN12_GLOBAL__N_127rocblas_gemm_batched_kernelIDF16_Li16ELi16ELi64ELi64ELi4ELi64ELi4ELi4ELi64ELc78ELc84EKPKDF16_S3_KPDF16_EEvlllT_PT11_llS8_llS6_PT12_llPT13_lli.kd
    .uniform_work_group_size: 1
    .uses_dynamic_stack: false
    .vgpr_count:     46
    .vgpr_spill_count: 0
    .wavefront_size: 64
  - .agpr_count:     0
    .args:
      - .offset:         0
        .size:           8
        .value_kind:     by_value
      - .offset:         8
        .size:           8
        .value_kind:     by_value
      - .offset:         16
        .size:           8
        .value_kind:     by_value
      - .offset:         24
        .size:           2
        .value_kind:     by_value
      - .address_space:  global
        .offset:         32
        .size:           8
        .value_kind:     global_buffer
      - .offset:         40
        .size:           8
        .value_kind:     by_value
      - .offset:         48
        .size:           8
        .value_kind:     by_value
      - .address_space:  global
        .offset:         56
        .size:           8
        .value_kind:     global_buffer
      - .offset:         64
        .size:           8
        .value_kind:     by_value
      - .offset:         72
        .size:           8
        .value_kind:     by_value
      - .offset:         80
        .size:           2
        .value_kind:     by_value
      - .address_space:  global
        .offset:         88
        .size:           8
        .value_kind:     global_buffer
      - .offset:         96
        .size:           8
        .value_kind:     by_value
      - .offset:         104
        .size:           8
        .value_kind:     by_value
      - .address_space:  global
        .offset:         112
        .size:           8
        .value_kind:     global_buffer
      - .offset:         120
        .size:           8
        .value_kind:     by_value
      - .offset:         128
        .size:           8
        .value_kind:     by_value
      - .offset:         136
        .size:           4
        .value_kind:     by_value
    .group_segment_fixed_size: 1024
    .kernarg_segment_align: 8
    .kernarg_segment_size: 140
    .language:       OpenCL C
    .language_version:
      - 2
      - 0
    .max_flat_workgroup_size: 256
    .name:           _ZN12_GLOBAL__N_127rocblas_gemm_batched_kernelIDF16_Li16ELi16ELi64ELi64ELi4ELi64ELi4ELi4ELi64ELc84ELc84EKPKDF16_S3_KPDF16_EEvlllT_PT11_llS8_llS6_PT12_llPT13_lli
    .private_segment_fixed_size: 0
    .sgpr_count:     42
    .sgpr_spill_count: 0
    .symbol:         _ZN12_GLOBAL__N_127rocblas_gemm_batched_kernelIDF16_Li16ELi16ELi64ELi64ELi4ELi64ELi4ELi4ELi64ELc84ELc84EKPKDF16_S3_KPDF16_EEvlllT_PT11_llS8_llS6_PT12_llPT13_lli.kd
    .uniform_work_group_size: 1
    .uses_dynamic_stack: false
    .vgpr_count:     46
    .vgpr_spill_count: 0
    .wavefront_size: 64
  - .agpr_count:     0
    .args:
      - .offset:         0
        .size:           8
        .value_kind:     by_value
      - .offset:         8
        .size:           8
        .value_kind:     by_value
      - .offset:         16
        .size:           8
        .value_kind:     by_value
      - .offset:         24
        .size:           2
        .value_kind:     by_value
      - .address_space:  global
        .offset:         32
        .size:           8
        .value_kind:     global_buffer
      - .offset:         40
        .size:           8
        .value_kind:     by_value
      - .offset:         48
        .size:           8
        .value_kind:     by_value
      - .address_space:  global
        .offset:         56
        .size:           8
        .value_kind:     global_buffer
      - .offset:         64
        .size:           8
        .value_kind:     by_value
      - .offset:         72
        .size:           8
        .value_kind:     by_value
      - .offset:         80
        .size:           2
        .value_kind:     by_value
      - .address_space:  global
        .offset:         88
        .size:           8
        .value_kind:     global_buffer
      - .offset:         96
        .size:           8
        .value_kind:     by_value
      - .offset:         104
        .size:           8
        .value_kind:     by_value
      - .address_space:  global
        .offset:         112
        .size:           8
        .value_kind:     global_buffer
      - .offset:         120
        .size:           8
        .value_kind:     by_value
      - .offset:         128
        .size:           8
        .value_kind:     by_value
      - .offset:         136
        .size:           4
        .value_kind:     by_value
    .group_segment_fixed_size: 1024
    .kernarg_segment_align: 8
    .kernarg_segment_size: 140
    .language:       OpenCL C
    .language_version:
      - 2
      - 0
    .max_flat_workgroup_size: 256
    .name:           _ZN12_GLOBAL__N_127rocblas_gemm_batched_kernelIDF16_Li16ELi16ELi64ELi64ELi4ELi64ELi4ELi4ELi64ELc67ELc67EKPKDF16_S3_KPDF16_EEvlllT_PT11_llS8_llS6_PT12_llPT13_lli
    .private_segment_fixed_size: 0
    .sgpr_count:     42
    .sgpr_spill_count: 0
    .symbol:         _ZN12_GLOBAL__N_127rocblas_gemm_batched_kernelIDF16_Li16ELi16ELi64ELi64ELi4ELi64ELi4ELi4ELi64ELc67ELc67EKPKDF16_S3_KPDF16_EEvlllT_PT11_llS8_llS6_PT12_llPT13_lli.kd
    .uniform_work_group_size: 1
    .uses_dynamic_stack: false
    .vgpr_count:     46
    .vgpr_spill_count: 0
    .wavefront_size: 64
  - .agpr_count:     0
    .args:
      - .offset:         0
        .size:           8
        .value_kind:     by_value
      - .offset:         8
        .size:           8
        .value_kind:     by_value
      - .offset:         16
        .size:           8
        .value_kind:     by_value
      - .offset:         24
        .size:           2
        .value_kind:     by_value
      - .address_space:  global
        .offset:         32
        .size:           8
        .value_kind:     global_buffer
      - .offset:         40
        .size:           8
        .value_kind:     by_value
      - .offset:         48
        .size:           8
        .value_kind:     by_value
      - .address_space:  global
        .offset:         56
        .size:           8
        .value_kind:     global_buffer
      - .offset:         64
        .size:           8
        .value_kind:     by_value
      - .offset:         72
        .size:           8
        .value_kind:     by_value
      - .offset:         80
        .size:           2
        .value_kind:     by_value
      - .address_space:  global
        .offset:         88
        .size:           8
        .value_kind:     global_buffer
      - .offset:         96
        .size:           8
        .value_kind:     by_value
      - .offset:         104
        .size:           8
        .value_kind:     by_value
      - .address_space:  global
        .offset:         112
        .size:           8
        .value_kind:     global_buffer
      - .offset:         120
        .size:           8
        .value_kind:     by_value
      - .offset:         128
        .size:           8
        .value_kind:     by_value
      - .offset:         136
        .size:           4
        .value_kind:     by_value
    .group_segment_fixed_size: 1024
    .kernarg_segment_align: 8
    .kernarg_segment_size: 140
    .language:       OpenCL C
    .language_version:
      - 2
      - 0
    .max_flat_workgroup_size: 256
    .name:           _ZN12_GLOBAL__N_127rocblas_gemm_batched_kernelIDF16_Li16ELi16ELi64ELi64ELi4ELi64ELi4ELi4ELi64ELc67ELc78EKPKDF16_S3_KPDF16_EEvlllT_PT11_llS8_llS6_PT12_llPT13_lli
    .private_segment_fixed_size: 0
    .sgpr_count:     46
    .sgpr_spill_count: 0
    .symbol:         _ZN12_GLOBAL__N_127rocblas_gemm_batched_kernelIDF16_Li16ELi16ELi64ELi64ELi4ELi64ELi4ELi4ELi64ELc67ELc78EKPKDF16_S3_KPDF16_EEvlllT_PT11_llS8_llS6_PT12_llPT13_lli.kd
    .uniform_work_group_size: 1
    .uses_dynamic_stack: false
    .vgpr_count:     46
    .vgpr_spill_count: 0
    .wavefront_size: 64
  - .agpr_count:     0
    .args:
      - .offset:         0
        .size:           8
        .value_kind:     by_value
      - .offset:         8
        .size:           8
        .value_kind:     by_value
      - .offset:         16
        .size:           8
        .value_kind:     by_value
      - .offset:         24
        .size:           2
        .value_kind:     by_value
      - .address_space:  global
        .offset:         32
        .size:           8
        .value_kind:     global_buffer
      - .offset:         40
        .size:           8
        .value_kind:     by_value
      - .offset:         48
        .size:           8
        .value_kind:     by_value
      - .address_space:  global
        .offset:         56
        .size:           8
        .value_kind:     global_buffer
      - .offset:         64
        .size:           8
        .value_kind:     by_value
      - .offset:         72
        .size:           8
        .value_kind:     by_value
      - .offset:         80
        .size:           2
        .value_kind:     by_value
      - .address_space:  global
        .offset:         88
        .size:           8
        .value_kind:     global_buffer
      - .offset:         96
        .size:           8
        .value_kind:     by_value
      - .offset:         104
        .size:           8
        .value_kind:     by_value
      - .address_space:  global
        .offset:         112
        .size:           8
        .value_kind:     global_buffer
      - .offset:         120
        .size:           8
        .value_kind:     by_value
      - .offset:         128
        .size:           8
        .value_kind:     by_value
      - .offset:         136
        .size:           4
        .value_kind:     by_value
    .group_segment_fixed_size: 1024
    .kernarg_segment_align: 8
    .kernarg_segment_size: 140
    .language:       OpenCL C
    .language_version:
      - 2
      - 0
    .max_flat_workgroup_size: 256
    .name:           _ZN12_GLOBAL__N_127rocblas_gemm_batched_kernelIDF16_Li16ELi16ELi64ELi64ELi4ELi64ELi4ELi4ELi64ELc67ELc84EKPKDF16_S3_KPDF16_EEvlllT_PT11_llS8_llS6_PT12_llPT13_lli
    .private_segment_fixed_size: 0
    .sgpr_count:     42
    .sgpr_spill_count: 0
    .symbol:         _ZN12_GLOBAL__N_127rocblas_gemm_batched_kernelIDF16_Li16ELi16ELi64ELi64ELi4ELi64ELi4ELi4ELi64ELc67ELc84EKPKDF16_S3_KPDF16_EEvlllT_PT11_llS8_llS6_PT12_llPT13_lli.kd
    .uniform_work_group_size: 1
    .uses_dynamic_stack: false
    .vgpr_count:     46
    .vgpr_spill_count: 0
    .wavefront_size: 64
  - .agpr_count:     0
    .args:
      - .offset:         0
        .size:           8
        .value_kind:     by_value
      - .offset:         8
        .size:           8
        .value_kind:     by_value
      - .offset:         16
        .size:           8
        .value_kind:     by_value
      - .offset:         24
        .size:           2
        .value_kind:     by_value
      - .address_space:  global
        .offset:         32
        .size:           8
        .value_kind:     global_buffer
      - .offset:         40
        .size:           8
        .value_kind:     by_value
      - .offset:         48
        .size:           8
        .value_kind:     by_value
      - .address_space:  global
        .offset:         56
        .size:           8
        .value_kind:     global_buffer
      - .offset:         64
        .size:           8
        .value_kind:     by_value
      - .offset:         72
        .size:           8
        .value_kind:     by_value
      - .offset:         80
        .size:           2
        .value_kind:     by_value
      - .address_space:  global
        .offset:         88
        .size:           8
        .value_kind:     global_buffer
      - .offset:         96
        .size:           8
        .value_kind:     by_value
      - .offset:         104
        .size:           8
        .value_kind:     by_value
      - .address_space:  global
        .offset:         112
        .size:           8
        .value_kind:     global_buffer
      - .offset:         120
        .size:           8
        .value_kind:     by_value
      - .offset:         128
        .size:           8
        .value_kind:     by_value
      - .offset:         136
        .size:           4
        .value_kind:     by_value
    .group_segment_fixed_size: 1024
    .kernarg_segment_align: 8
    .kernarg_segment_size: 140
    .language:       OpenCL C
    .language_version:
      - 2
      - 0
    .max_flat_workgroup_size: 256
    .name:           _ZN12_GLOBAL__N_127rocblas_gemm_batched_kernelIDF16_Li16ELi16ELi64ELi64ELi4ELi64ELi4ELi4ELi64ELc78ELc67EKPKDF16_S3_KPDF16_EEvlllT_PT11_llS8_llS6_PT12_llPT13_lli
    .private_segment_fixed_size: 0
    .sgpr_count:     42
    .sgpr_spill_count: 0
    .symbol:         _ZN12_GLOBAL__N_127rocblas_gemm_batched_kernelIDF16_Li16ELi16ELi64ELi64ELi4ELi64ELi4ELi4ELi64ELc78ELc67EKPKDF16_S3_KPDF16_EEvlllT_PT11_llS8_llS6_PT12_llPT13_lli.kd
    .uniform_work_group_size: 1
    .uses_dynamic_stack: false
    .vgpr_count:     46
    .vgpr_spill_count: 0
    .wavefront_size: 64
  - .agpr_count:     0
    .args:
      - .offset:         0
        .size:           8
        .value_kind:     by_value
      - .offset:         8
        .size:           8
        .value_kind:     by_value
      - .offset:         16
        .size:           8
        .value_kind:     by_value
      - .offset:         24
        .size:           2
        .value_kind:     by_value
      - .address_space:  global
        .offset:         32
        .size:           8
        .value_kind:     global_buffer
      - .offset:         40
        .size:           8
        .value_kind:     by_value
      - .offset:         48
        .size:           8
        .value_kind:     by_value
      - .address_space:  global
        .offset:         56
        .size:           8
        .value_kind:     global_buffer
      - .offset:         64
        .size:           8
        .value_kind:     by_value
      - .offset:         72
        .size:           8
        .value_kind:     by_value
      - .offset:         80
        .size:           2
        .value_kind:     by_value
      - .address_space:  global
        .offset:         88
        .size:           8
        .value_kind:     global_buffer
      - .offset:         96
        .size:           8
        .value_kind:     by_value
      - .offset:         104
        .size:           8
        .value_kind:     by_value
      - .address_space:  global
        .offset:         112
        .size:           8
        .value_kind:     global_buffer
      - .offset:         120
        .size:           8
        .value_kind:     by_value
      - .offset:         128
        .size:           8
        .value_kind:     by_value
      - .offset:         136
        .size:           4
        .value_kind:     by_value
    .group_segment_fixed_size: 1024
    .kernarg_segment_align: 8
    .kernarg_segment_size: 140
    .language:       OpenCL C
    .language_version:
      - 2
      - 0
    .max_flat_workgroup_size: 256
    .name:           _ZN12_GLOBAL__N_127rocblas_gemm_batched_kernelIDF16_Li16ELi16ELi64ELi64ELi4ELi64ELi4ELi4ELi64ELc84ELc67EKPKDF16_S3_KPDF16_EEvlllT_PT11_llS8_llS6_PT12_llPT13_lli
    .private_segment_fixed_size: 0
    .sgpr_count:     42
    .sgpr_spill_count: 0
    .symbol:         _ZN12_GLOBAL__N_127rocblas_gemm_batched_kernelIDF16_Li16ELi16ELi64ELi64ELi4ELi64ELi4ELi4ELi64ELc84ELc67EKPKDF16_S3_KPDF16_EEvlllT_PT11_llS8_llS6_PT12_llPT13_lli.kd
    .uniform_work_group_size: 1
    .uses_dynamic_stack: false
    .vgpr_count:     46
    .vgpr_spill_count: 0
    .wavefront_size: 64
  - .agpr_count:     0
    .args:
      - .offset:         0
        .size:           8
        .value_kind:     by_value
      - .offset:         8
        .size:           8
        .value_kind:     by_value
      - .offset:         16
        .size:           8
        .value_kind:     by_value
      - .offset:         24
        .size:           2
        .value_kind:     by_value
      - .address_space:  global
        .offset:         32
        .size:           8
        .value_kind:     global_buffer
      - .offset:         40
        .size:           8
        .value_kind:     by_value
      - .offset:         48
        .size:           8
        .value_kind:     by_value
      - .address_space:  global
        .offset:         56
        .size:           8
        .value_kind:     global_buffer
      - .offset:         64
        .size:           8
        .value_kind:     by_value
      - .offset:         72
        .size:           8
        .value_kind:     by_value
      - .offset:         80
        .size:           2
        .value_kind:     by_value
      - .address_space:  global
        .offset:         88
        .size:           8
        .value_kind:     global_buffer
      - .offset:         96
        .size:           8
        .value_kind:     by_value
      - .offset:         104
        .size:           8
        .value_kind:     by_value
      - .address_space:  global
        .offset:         112
        .size:           8
        .value_kind:     global_buffer
      - .offset:         120
        .size:           8
        .value_kind:     by_value
      - .offset:         128
        .size:           8
        .value_kind:     by_value
      - .offset:         136
        .size:           4
        .value_kind:     by_value
    .group_segment_fixed_size: 1024
    .kernarg_segment_align: 8
    .kernarg_segment_size: 140
    .language:       OpenCL C
    .language_version:
      - 2
      - 0
    .max_flat_workgroup_size: 256
    .name:           _ZN12_GLOBAL__N_127rocblas_gemm_batched_kernelIDF16_Li16ELi16ELi32ELi32ELi8ELi32ELi8ELi8ELi32ELc78ELc78EKPKDF16_S3_KPDF16_EEvlllT_PT11_llS8_llS6_PT12_llPT13_lli
    .private_segment_fixed_size: 0
    .sgpr_count:     46
    .sgpr_spill_count: 0
    .symbol:         _ZN12_GLOBAL__N_127rocblas_gemm_batched_kernelIDF16_Li16ELi16ELi32ELi32ELi8ELi32ELi8ELi8ELi32ELc78ELc78EKPKDF16_S3_KPDF16_EEvlllT_PT11_llS8_llS6_PT12_llPT13_lli.kd
    .uniform_work_group_size: 1
    .uses_dynamic_stack: false
    .vgpr_count:     40
    .vgpr_spill_count: 0
    .wavefront_size: 64
  - .agpr_count:     0
    .args:
      - .offset:         0
        .size:           8
        .value_kind:     by_value
      - .offset:         8
        .size:           8
        .value_kind:     by_value
      - .offset:         16
        .size:           8
        .value_kind:     by_value
      - .offset:         24
        .size:           2
        .value_kind:     by_value
      - .address_space:  global
        .offset:         32
        .size:           8
        .value_kind:     global_buffer
      - .offset:         40
        .size:           8
        .value_kind:     by_value
      - .offset:         48
        .size:           8
        .value_kind:     by_value
      - .address_space:  global
        .offset:         56
        .size:           8
        .value_kind:     global_buffer
      - .offset:         64
        .size:           8
        .value_kind:     by_value
      - .offset:         72
        .size:           8
        .value_kind:     by_value
      - .offset:         80
        .size:           2
        .value_kind:     by_value
      - .address_space:  global
        .offset:         88
        .size:           8
        .value_kind:     global_buffer
      - .offset:         96
        .size:           8
        .value_kind:     by_value
      - .offset:         104
        .size:           8
        .value_kind:     by_value
      - .address_space:  global
        .offset:         112
        .size:           8
        .value_kind:     global_buffer
      - .offset:         120
        .size:           8
        .value_kind:     by_value
      - .offset:         128
        .size:           8
        .value_kind:     by_value
      - .offset:         136
        .size:           4
        .value_kind:     by_value
    .group_segment_fixed_size: 1024
    .kernarg_segment_align: 8
    .kernarg_segment_size: 140
    .language:       OpenCL C
    .language_version:
      - 2
      - 0
    .max_flat_workgroup_size: 256
    .name:           _ZN12_GLOBAL__N_127rocblas_gemm_batched_kernelIDF16_Li16ELi16ELi32ELi32ELi8ELi32ELi8ELi8ELi32ELc84ELc78EKPKDF16_S3_KPDF16_EEvlllT_PT11_llS8_llS6_PT12_llPT13_lli
    .private_segment_fixed_size: 0
    .sgpr_count:     46
    .sgpr_spill_count: 0
    .symbol:         _ZN12_GLOBAL__N_127rocblas_gemm_batched_kernelIDF16_Li16ELi16ELi32ELi32ELi8ELi32ELi8ELi8ELi32ELc84ELc78EKPKDF16_S3_KPDF16_EEvlllT_PT11_llS8_llS6_PT12_llPT13_lli.kd
    .uniform_work_group_size: 1
    .uses_dynamic_stack: false
    .vgpr_count:     40
    .vgpr_spill_count: 0
    .wavefront_size: 64
  - .agpr_count:     0
    .args:
      - .offset:         0
        .size:           8
        .value_kind:     by_value
      - .offset:         8
        .size:           8
        .value_kind:     by_value
      - .offset:         16
        .size:           8
        .value_kind:     by_value
      - .offset:         24
        .size:           2
        .value_kind:     by_value
      - .address_space:  global
        .offset:         32
        .size:           8
        .value_kind:     global_buffer
      - .offset:         40
        .size:           8
        .value_kind:     by_value
      - .offset:         48
        .size:           8
        .value_kind:     by_value
      - .address_space:  global
        .offset:         56
        .size:           8
        .value_kind:     global_buffer
      - .offset:         64
        .size:           8
        .value_kind:     by_value
      - .offset:         72
        .size:           8
        .value_kind:     by_value
      - .offset:         80
        .size:           2
        .value_kind:     by_value
      - .address_space:  global
        .offset:         88
        .size:           8
        .value_kind:     global_buffer
      - .offset:         96
        .size:           8
        .value_kind:     by_value
      - .offset:         104
        .size:           8
        .value_kind:     by_value
      - .address_space:  global
        .offset:         112
        .size:           8
        .value_kind:     global_buffer
      - .offset:         120
        .size:           8
        .value_kind:     by_value
      - .offset:         128
        .size:           8
        .value_kind:     by_value
      - .offset:         136
        .size:           4
        .value_kind:     by_value
    .group_segment_fixed_size: 1024
    .kernarg_segment_align: 8
    .kernarg_segment_size: 140
    .language:       OpenCL C
    .language_version:
      - 2
      - 0
    .max_flat_workgroup_size: 256
    .name:           _ZN12_GLOBAL__N_127rocblas_gemm_batched_kernelIDF16_Li16ELi16ELi32ELi32ELi8ELi32ELi8ELi8ELi32ELc78ELc84EKPKDF16_S3_KPDF16_EEvlllT_PT11_llS8_llS6_PT12_llPT13_lli
    .private_segment_fixed_size: 0
    .sgpr_count:     42
    .sgpr_spill_count: 0
    .symbol:         _ZN12_GLOBAL__N_127rocblas_gemm_batched_kernelIDF16_Li16ELi16ELi32ELi32ELi8ELi32ELi8ELi8ELi32ELc78ELc84EKPKDF16_S3_KPDF16_EEvlllT_PT11_llS8_llS6_PT12_llPT13_lli.kd
    .uniform_work_group_size: 1
    .uses_dynamic_stack: false
    .vgpr_count:     40
    .vgpr_spill_count: 0
    .wavefront_size: 64
  - .agpr_count:     0
    .args:
      - .offset:         0
        .size:           8
        .value_kind:     by_value
      - .offset:         8
        .size:           8
        .value_kind:     by_value
      - .offset:         16
        .size:           8
        .value_kind:     by_value
      - .offset:         24
        .size:           2
        .value_kind:     by_value
      - .address_space:  global
        .offset:         32
        .size:           8
        .value_kind:     global_buffer
      - .offset:         40
        .size:           8
        .value_kind:     by_value
      - .offset:         48
        .size:           8
        .value_kind:     by_value
      - .address_space:  global
        .offset:         56
        .size:           8
        .value_kind:     global_buffer
      - .offset:         64
        .size:           8
        .value_kind:     by_value
      - .offset:         72
        .size:           8
        .value_kind:     by_value
      - .offset:         80
        .size:           2
        .value_kind:     by_value
      - .address_space:  global
        .offset:         88
        .size:           8
        .value_kind:     global_buffer
      - .offset:         96
        .size:           8
        .value_kind:     by_value
      - .offset:         104
        .size:           8
        .value_kind:     by_value
      - .address_space:  global
        .offset:         112
        .size:           8
        .value_kind:     global_buffer
      - .offset:         120
        .size:           8
        .value_kind:     by_value
      - .offset:         128
        .size:           8
        .value_kind:     by_value
      - .offset:         136
        .size:           4
        .value_kind:     by_value
    .group_segment_fixed_size: 1024
    .kernarg_segment_align: 8
    .kernarg_segment_size: 140
    .language:       OpenCL C
    .language_version:
      - 2
      - 0
    .max_flat_workgroup_size: 256
    .name:           _ZN12_GLOBAL__N_127rocblas_gemm_batched_kernelIDF16_Li16ELi16ELi32ELi32ELi8ELi32ELi8ELi8ELi32ELc84ELc84EKPKDF16_S3_KPDF16_EEvlllT_PT11_llS8_llS6_PT12_llPT13_lli
    .private_segment_fixed_size: 0
    .sgpr_count:     42
    .sgpr_spill_count: 0
    .symbol:         _ZN12_GLOBAL__N_127rocblas_gemm_batched_kernelIDF16_Li16ELi16ELi32ELi32ELi8ELi32ELi8ELi8ELi32ELc84ELc84EKPKDF16_S3_KPDF16_EEvlllT_PT11_llS8_llS6_PT12_llPT13_lli.kd
    .uniform_work_group_size: 1
    .uses_dynamic_stack: false
    .vgpr_count:     40
    .vgpr_spill_count: 0
    .wavefront_size: 64
  - .agpr_count:     0
    .args:
      - .offset:         0
        .size:           8
        .value_kind:     by_value
      - .offset:         8
        .size:           8
        .value_kind:     by_value
      - .offset:         16
        .size:           8
        .value_kind:     by_value
      - .offset:         24
        .size:           2
        .value_kind:     by_value
      - .address_space:  global
        .offset:         32
        .size:           8
        .value_kind:     global_buffer
      - .offset:         40
        .size:           8
        .value_kind:     by_value
      - .offset:         48
        .size:           8
        .value_kind:     by_value
      - .address_space:  global
        .offset:         56
        .size:           8
        .value_kind:     global_buffer
      - .offset:         64
        .size:           8
        .value_kind:     by_value
      - .offset:         72
        .size:           8
        .value_kind:     by_value
      - .offset:         80
        .size:           2
        .value_kind:     by_value
      - .address_space:  global
        .offset:         88
        .size:           8
        .value_kind:     global_buffer
      - .offset:         96
        .size:           8
        .value_kind:     by_value
      - .offset:         104
        .size:           8
        .value_kind:     by_value
      - .address_space:  global
        .offset:         112
        .size:           8
        .value_kind:     global_buffer
      - .offset:         120
        .size:           8
        .value_kind:     by_value
      - .offset:         128
        .size:           8
        .value_kind:     by_value
      - .offset:         136
        .size:           4
        .value_kind:     by_value
    .group_segment_fixed_size: 1024
    .kernarg_segment_align: 8
    .kernarg_segment_size: 140
    .language:       OpenCL C
    .language_version:
      - 2
      - 0
    .max_flat_workgroup_size: 256
    .name:           _ZN12_GLOBAL__N_127rocblas_gemm_batched_kernelIDF16_Li16ELi16ELi32ELi32ELi8ELi32ELi8ELi8ELi32ELc67ELc67EKPKDF16_S3_KPDF16_EEvlllT_PT11_llS8_llS6_PT12_llPT13_lli
    .private_segment_fixed_size: 0
    .sgpr_count:     42
    .sgpr_spill_count: 0
    .symbol:         _ZN12_GLOBAL__N_127rocblas_gemm_batched_kernelIDF16_Li16ELi16ELi32ELi32ELi8ELi32ELi8ELi8ELi32ELc67ELc67EKPKDF16_S3_KPDF16_EEvlllT_PT11_llS8_llS6_PT12_llPT13_lli.kd
    .uniform_work_group_size: 1
    .uses_dynamic_stack: false
    .vgpr_count:     40
    .vgpr_spill_count: 0
    .wavefront_size: 64
  - .agpr_count:     0
    .args:
      - .offset:         0
        .size:           8
        .value_kind:     by_value
      - .offset:         8
        .size:           8
        .value_kind:     by_value
      - .offset:         16
        .size:           8
        .value_kind:     by_value
      - .offset:         24
        .size:           2
        .value_kind:     by_value
      - .address_space:  global
        .offset:         32
        .size:           8
        .value_kind:     global_buffer
      - .offset:         40
        .size:           8
        .value_kind:     by_value
      - .offset:         48
        .size:           8
        .value_kind:     by_value
      - .address_space:  global
        .offset:         56
        .size:           8
        .value_kind:     global_buffer
      - .offset:         64
        .size:           8
        .value_kind:     by_value
      - .offset:         72
        .size:           8
        .value_kind:     by_value
      - .offset:         80
        .size:           2
        .value_kind:     by_value
      - .address_space:  global
        .offset:         88
        .size:           8
        .value_kind:     global_buffer
      - .offset:         96
        .size:           8
        .value_kind:     by_value
      - .offset:         104
        .size:           8
        .value_kind:     by_value
      - .address_space:  global
        .offset:         112
        .size:           8
        .value_kind:     global_buffer
      - .offset:         120
        .size:           8
        .value_kind:     by_value
      - .offset:         128
        .size:           8
        .value_kind:     by_value
      - .offset:         136
        .size:           4
        .value_kind:     by_value
    .group_segment_fixed_size: 1024
    .kernarg_segment_align: 8
    .kernarg_segment_size: 140
    .language:       OpenCL C
    .language_version:
      - 2
      - 0
    .max_flat_workgroup_size: 256
    .name:           _ZN12_GLOBAL__N_127rocblas_gemm_batched_kernelIDF16_Li16ELi16ELi32ELi32ELi8ELi32ELi8ELi8ELi32ELc67ELc78EKPKDF16_S3_KPDF16_EEvlllT_PT11_llS8_llS6_PT12_llPT13_lli
    .private_segment_fixed_size: 0
    .sgpr_count:     46
    .sgpr_spill_count: 0
    .symbol:         _ZN12_GLOBAL__N_127rocblas_gemm_batched_kernelIDF16_Li16ELi16ELi32ELi32ELi8ELi32ELi8ELi8ELi32ELc67ELc78EKPKDF16_S3_KPDF16_EEvlllT_PT11_llS8_llS6_PT12_llPT13_lli.kd
    .uniform_work_group_size: 1
    .uses_dynamic_stack: false
    .vgpr_count:     40
    .vgpr_spill_count: 0
    .wavefront_size: 64
  - .agpr_count:     0
    .args:
      - .offset:         0
        .size:           8
        .value_kind:     by_value
      - .offset:         8
        .size:           8
        .value_kind:     by_value
      - .offset:         16
        .size:           8
        .value_kind:     by_value
      - .offset:         24
        .size:           2
        .value_kind:     by_value
      - .address_space:  global
        .offset:         32
        .size:           8
        .value_kind:     global_buffer
      - .offset:         40
        .size:           8
        .value_kind:     by_value
      - .offset:         48
        .size:           8
        .value_kind:     by_value
      - .address_space:  global
        .offset:         56
        .size:           8
        .value_kind:     global_buffer
      - .offset:         64
        .size:           8
        .value_kind:     by_value
      - .offset:         72
        .size:           8
        .value_kind:     by_value
      - .offset:         80
        .size:           2
        .value_kind:     by_value
      - .address_space:  global
        .offset:         88
        .size:           8
        .value_kind:     global_buffer
      - .offset:         96
        .size:           8
        .value_kind:     by_value
      - .offset:         104
        .size:           8
        .value_kind:     by_value
      - .address_space:  global
        .offset:         112
        .size:           8
        .value_kind:     global_buffer
      - .offset:         120
        .size:           8
        .value_kind:     by_value
      - .offset:         128
        .size:           8
        .value_kind:     by_value
      - .offset:         136
        .size:           4
        .value_kind:     by_value
    .group_segment_fixed_size: 1024
    .kernarg_segment_align: 8
    .kernarg_segment_size: 140
    .language:       OpenCL C
    .language_version:
      - 2
      - 0
    .max_flat_workgroup_size: 256
    .name:           _ZN12_GLOBAL__N_127rocblas_gemm_batched_kernelIDF16_Li16ELi16ELi32ELi32ELi8ELi32ELi8ELi8ELi32ELc67ELc84EKPKDF16_S3_KPDF16_EEvlllT_PT11_llS8_llS6_PT12_llPT13_lli
    .private_segment_fixed_size: 0
    .sgpr_count:     42
    .sgpr_spill_count: 0
    .symbol:         _ZN12_GLOBAL__N_127rocblas_gemm_batched_kernelIDF16_Li16ELi16ELi32ELi32ELi8ELi32ELi8ELi8ELi32ELc67ELc84EKPKDF16_S3_KPDF16_EEvlllT_PT11_llS8_llS6_PT12_llPT13_lli.kd
    .uniform_work_group_size: 1
    .uses_dynamic_stack: false
    .vgpr_count:     40
    .vgpr_spill_count: 0
    .wavefront_size: 64
  - .agpr_count:     0
    .args:
      - .offset:         0
        .size:           8
        .value_kind:     by_value
      - .offset:         8
        .size:           8
        .value_kind:     by_value
      - .offset:         16
        .size:           8
        .value_kind:     by_value
      - .offset:         24
        .size:           2
        .value_kind:     by_value
      - .address_space:  global
        .offset:         32
        .size:           8
        .value_kind:     global_buffer
      - .offset:         40
        .size:           8
        .value_kind:     by_value
      - .offset:         48
        .size:           8
        .value_kind:     by_value
      - .address_space:  global
        .offset:         56
        .size:           8
        .value_kind:     global_buffer
      - .offset:         64
        .size:           8
        .value_kind:     by_value
      - .offset:         72
        .size:           8
        .value_kind:     by_value
      - .offset:         80
        .size:           2
        .value_kind:     by_value
      - .address_space:  global
        .offset:         88
        .size:           8
        .value_kind:     global_buffer
      - .offset:         96
        .size:           8
        .value_kind:     by_value
      - .offset:         104
        .size:           8
        .value_kind:     by_value
      - .address_space:  global
        .offset:         112
        .size:           8
        .value_kind:     global_buffer
      - .offset:         120
        .size:           8
        .value_kind:     by_value
      - .offset:         128
        .size:           8
        .value_kind:     by_value
      - .offset:         136
        .size:           4
        .value_kind:     by_value
    .group_segment_fixed_size: 1024
    .kernarg_segment_align: 8
    .kernarg_segment_size: 140
    .language:       OpenCL C
    .language_version:
      - 2
      - 0
    .max_flat_workgroup_size: 256
    .name:           _ZN12_GLOBAL__N_127rocblas_gemm_batched_kernelIDF16_Li16ELi16ELi32ELi32ELi8ELi32ELi8ELi8ELi32ELc78ELc67EKPKDF16_S3_KPDF16_EEvlllT_PT11_llS8_llS6_PT12_llPT13_lli
    .private_segment_fixed_size: 0
    .sgpr_count:     42
    .sgpr_spill_count: 0
    .symbol:         _ZN12_GLOBAL__N_127rocblas_gemm_batched_kernelIDF16_Li16ELi16ELi32ELi32ELi8ELi32ELi8ELi8ELi32ELc78ELc67EKPKDF16_S3_KPDF16_EEvlllT_PT11_llS8_llS6_PT12_llPT13_lli.kd
    .uniform_work_group_size: 1
    .uses_dynamic_stack: false
    .vgpr_count:     40
    .vgpr_spill_count: 0
    .wavefront_size: 64
  - .agpr_count:     0
    .args:
      - .offset:         0
        .size:           8
        .value_kind:     by_value
      - .offset:         8
        .size:           8
        .value_kind:     by_value
      - .offset:         16
        .size:           8
        .value_kind:     by_value
      - .offset:         24
        .size:           2
        .value_kind:     by_value
      - .address_space:  global
        .offset:         32
        .size:           8
        .value_kind:     global_buffer
      - .offset:         40
        .size:           8
        .value_kind:     by_value
      - .offset:         48
        .size:           8
        .value_kind:     by_value
      - .address_space:  global
        .offset:         56
        .size:           8
        .value_kind:     global_buffer
      - .offset:         64
        .size:           8
        .value_kind:     by_value
      - .offset:         72
        .size:           8
        .value_kind:     by_value
      - .offset:         80
        .size:           2
        .value_kind:     by_value
      - .address_space:  global
        .offset:         88
        .size:           8
        .value_kind:     global_buffer
      - .offset:         96
        .size:           8
        .value_kind:     by_value
      - .offset:         104
        .size:           8
        .value_kind:     by_value
      - .address_space:  global
        .offset:         112
        .size:           8
        .value_kind:     global_buffer
      - .offset:         120
        .size:           8
        .value_kind:     by_value
      - .offset:         128
        .size:           8
        .value_kind:     by_value
      - .offset:         136
        .size:           4
        .value_kind:     by_value
    .group_segment_fixed_size: 1024
    .kernarg_segment_align: 8
    .kernarg_segment_size: 140
    .language:       OpenCL C
    .language_version:
      - 2
      - 0
    .max_flat_workgroup_size: 256
    .name:           _ZN12_GLOBAL__N_127rocblas_gemm_batched_kernelIDF16_Li16ELi16ELi32ELi32ELi8ELi32ELi8ELi8ELi32ELc84ELc67EKPKDF16_S3_KPDF16_EEvlllT_PT11_llS8_llS6_PT12_llPT13_lli
    .private_segment_fixed_size: 0
    .sgpr_count:     42
    .sgpr_spill_count: 0
    .symbol:         _ZN12_GLOBAL__N_127rocblas_gemm_batched_kernelIDF16_Li16ELi16ELi32ELi32ELi8ELi32ELi8ELi8ELi32ELc84ELc67EKPKDF16_S3_KPDF16_EEvlllT_PT11_llS8_llS6_PT12_llPT13_lli.kd
    .uniform_work_group_size: 1
    .uses_dynamic_stack: false
    .vgpr_count:     40
    .vgpr_spill_count: 0
    .wavefront_size: 64
  - .agpr_count:     0
    .args:
      - .offset:         0
        .size:           8
        .value_kind:     by_value
      - .offset:         8
        .size:           8
        .value_kind:     by_value
      - .offset:         16
        .size:           8
        .value_kind:     by_value
      - .offset:         24
        .size:           2
        .value_kind:     by_value
      - .address_space:  global
        .offset:         32
        .size:           8
        .value_kind:     global_buffer
      - .offset:         40
        .size:           8
        .value_kind:     by_value
      - .offset:         48
        .size:           8
        .value_kind:     by_value
      - .address_space:  global
        .offset:         56
        .size:           8
        .value_kind:     global_buffer
      - .offset:         64
        .size:           8
        .value_kind:     by_value
      - .offset:         72
        .size:           8
        .value_kind:     by_value
      - .offset:         80
        .size:           2
        .value_kind:     by_value
      - .address_space:  global
        .offset:         88
        .size:           8
        .value_kind:     global_buffer
      - .offset:         96
        .size:           8
        .value_kind:     by_value
      - .offset:         104
        .size:           8
        .value_kind:     by_value
      - .address_space:  global
        .offset:         112
        .size:           8
        .value_kind:     global_buffer
      - .offset:         120
        .size:           8
        .value_kind:     by_value
      - .offset:         128
        .size:           8
        .value_kind:     by_value
      - .offset:         136
        .size:           4
        .value_kind:     by_value
    .group_segment_fixed_size: 1024
    .kernarg_segment_align: 8
    .kernarg_segment_size: 140
    .language:       OpenCL C
    .language_version:
      - 2
      - 0
    .max_flat_workgroup_size: 256
    .name:           _ZN12_GLOBAL__N_135rocblas_gemm_batched_general_kernelIDF16_Li16ELi16ELi32ELi32ELi8ELi32ELi8ELi8ELi32ELc78ELc78EKPKDF16_S3_KPDF16_EEvlllT_PT11_llS8_llS6_PT12_llPT13_lli
    .private_segment_fixed_size: 0
    .sgpr_count:     50
    .sgpr_spill_count: 0
    .symbol:         _ZN12_GLOBAL__N_135rocblas_gemm_batched_general_kernelIDF16_Li16ELi16ELi32ELi32ELi8ELi32ELi8ELi8ELi32ELc78ELc78EKPKDF16_S3_KPDF16_EEvlllT_PT11_llS8_llS6_PT12_llPT13_lli.kd
    .uniform_work_group_size: 1
    .uses_dynamic_stack: false
    .vgpr_count:     44
    .vgpr_spill_count: 0
    .wavefront_size: 64
  - .agpr_count:     0
    .args:
      - .offset:         0
        .size:           8
        .value_kind:     by_value
      - .offset:         8
        .size:           8
        .value_kind:     by_value
      - .offset:         16
        .size:           8
        .value_kind:     by_value
      - .offset:         24
        .size:           2
        .value_kind:     by_value
      - .address_space:  global
        .offset:         32
        .size:           8
        .value_kind:     global_buffer
      - .offset:         40
        .size:           8
        .value_kind:     by_value
      - .offset:         48
        .size:           8
        .value_kind:     by_value
      - .address_space:  global
        .offset:         56
        .size:           8
        .value_kind:     global_buffer
      - .offset:         64
        .size:           8
        .value_kind:     by_value
      - .offset:         72
        .size:           8
        .value_kind:     by_value
      - .offset:         80
        .size:           2
        .value_kind:     by_value
      - .address_space:  global
        .offset:         88
        .size:           8
        .value_kind:     global_buffer
      - .offset:         96
        .size:           8
        .value_kind:     by_value
      - .offset:         104
        .size:           8
        .value_kind:     by_value
      - .address_space:  global
        .offset:         112
        .size:           8
        .value_kind:     global_buffer
      - .offset:         120
        .size:           8
        .value_kind:     by_value
      - .offset:         128
        .size:           8
        .value_kind:     by_value
      - .offset:         136
        .size:           4
        .value_kind:     by_value
    .group_segment_fixed_size: 1024
    .kernarg_segment_align: 8
    .kernarg_segment_size: 140
    .language:       OpenCL C
    .language_version:
      - 2
      - 0
    .max_flat_workgroup_size: 256
    .name:           _ZN12_GLOBAL__N_135rocblas_gemm_batched_general_kernelIDF16_Li16ELi16ELi32ELi32ELi8ELi32ELi8ELi8ELi32ELc84ELc78EKPKDF16_S3_KPDF16_EEvlllT_PT11_llS8_llS6_PT12_llPT13_lli
    .private_segment_fixed_size: 0
    .sgpr_count:     48
    .sgpr_spill_count: 0
    .symbol:         _ZN12_GLOBAL__N_135rocblas_gemm_batched_general_kernelIDF16_Li16ELi16ELi32ELi32ELi8ELi32ELi8ELi8ELi32ELc84ELc78EKPKDF16_S3_KPDF16_EEvlllT_PT11_llS8_llS6_PT12_llPT13_lli.kd
    .uniform_work_group_size: 1
    .uses_dynamic_stack: false
    .vgpr_count:     44
    .vgpr_spill_count: 0
    .wavefront_size: 64
  - .agpr_count:     0
    .args:
      - .offset:         0
        .size:           8
        .value_kind:     by_value
      - .offset:         8
        .size:           8
        .value_kind:     by_value
      - .offset:         16
        .size:           8
        .value_kind:     by_value
      - .offset:         24
        .size:           2
        .value_kind:     by_value
      - .address_space:  global
        .offset:         32
        .size:           8
        .value_kind:     global_buffer
      - .offset:         40
        .size:           8
        .value_kind:     by_value
      - .offset:         48
        .size:           8
        .value_kind:     by_value
      - .address_space:  global
        .offset:         56
        .size:           8
        .value_kind:     global_buffer
      - .offset:         64
        .size:           8
        .value_kind:     by_value
      - .offset:         72
        .size:           8
        .value_kind:     by_value
      - .offset:         80
        .size:           2
        .value_kind:     by_value
      - .address_space:  global
        .offset:         88
        .size:           8
        .value_kind:     global_buffer
      - .offset:         96
        .size:           8
        .value_kind:     by_value
      - .offset:         104
        .size:           8
        .value_kind:     by_value
      - .address_space:  global
        .offset:         112
        .size:           8
        .value_kind:     global_buffer
      - .offset:         120
        .size:           8
        .value_kind:     by_value
      - .offset:         128
        .size:           8
        .value_kind:     by_value
      - .offset:         136
        .size:           4
        .value_kind:     by_value
    .group_segment_fixed_size: 1024
    .kernarg_segment_align: 8
    .kernarg_segment_size: 140
    .language:       OpenCL C
    .language_version:
      - 2
      - 0
    .max_flat_workgroup_size: 256
    .name:           _ZN12_GLOBAL__N_135rocblas_gemm_batched_general_kernelIDF16_Li16ELi16ELi32ELi32ELi8ELi32ELi8ELi8ELi32ELc78ELc84EKPKDF16_S3_KPDF16_EEvlllT_PT11_llS8_llS6_PT12_llPT13_lli
    .private_segment_fixed_size: 0
    .sgpr_count:     54
    .sgpr_spill_count: 0
    .symbol:         _ZN12_GLOBAL__N_135rocblas_gemm_batched_general_kernelIDF16_Li16ELi16ELi32ELi32ELi8ELi32ELi8ELi8ELi32ELc78ELc84EKPKDF16_S3_KPDF16_EEvlllT_PT11_llS8_llS6_PT12_llPT13_lli.kd
    .uniform_work_group_size: 1
    .uses_dynamic_stack: false
    .vgpr_count:     44
    .vgpr_spill_count: 0
    .wavefront_size: 64
  - .agpr_count:     0
    .args:
      - .offset:         0
        .size:           8
        .value_kind:     by_value
      - .offset:         8
        .size:           8
        .value_kind:     by_value
      - .offset:         16
        .size:           8
        .value_kind:     by_value
      - .offset:         24
        .size:           2
        .value_kind:     by_value
      - .address_space:  global
        .offset:         32
        .size:           8
        .value_kind:     global_buffer
      - .offset:         40
        .size:           8
        .value_kind:     by_value
      - .offset:         48
        .size:           8
        .value_kind:     by_value
      - .address_space:  global
        .offset:         56
        .size:           8
        .value_kind:     global_buffer
      - .offset:         64
        .size:           8
        .value_kind:     by_value
      - .offset:         72
        .size:           8
        .value_kind:     by_value
      - .offset:         80
        .size:           2
        .value_kind:     by_value
      - .address_space:  global
        .offset:         88
        .size:           8
        .value_kind:     global_buffer
      - .offset:         96
        .size:           8
        .value_kind:     by_value
      - .offset:         104
        .size:           8
        .value_kind:     by_value
      - .address_space:  global
        .offset:         112
        .size:           8
        .value_kind:     global_buffer
      - .offset:         120
        .size:           8
        .value_kind:     by_value
      - .offset:         128
        .size:           8
        .value_kind:     by_value
      - .offset:         136
        .size:           4
        .value_kind:     by_value
    .group_segment_fixed_size: 1024
    .kernarg_segment_align: 8
    .kernarg_segment_size: 140
    .language:       OpenCL C
    .language_version:
      - 2
      - 0
    .max_flat_workgroup_size: 256
    .name:           _ZN12_GLOBAL__N_135rocblas_gemm_batched_general_kernelIDF16_Li16ELi16ELi32ELi32ELi8ELi32ELi8ELi8ELi32ELc84ELc84EKPKDF16_S3_KPDF16_EEvlllT_PT11_llS8_llS6_PT12_llPT13_lli
    .private_segment_fixed_size: 0
    .sgpr_count:     52
    .sgpr_spill_count: 0
    .symbol:         _ZN12_GLOBAL__N_135rocblas_gemm_batched_general_kernelIDF16_Li16ELi16ELi32ELi32ELi8ELi32ELi8ELi8ELi32ELc84ELc84EKPKDF16_S3_KPDF16_EEvlllT_PT11_llS8_llS6_PT12_llPT13_lli.kd
    .uniform_work_group_size: 1
    .uses_dynamic_stack: false
    .vgpr_count:     44
    .vgpr_spill_count: 0
    .wavefront_size: 64
  - .agpr_count:     0
    .args:
      - .offset:         0
        .size:           8
        .value_kind:     by_value
      - .offset:         8
        .size:           8
        .value_kind:     by_value
      - .offset:         16
        .size:           8
        .value_kind:     by_value
      - .offset:         24
        .size:           2
        .value_kind:     by_value
      - .address_space:  global
        .offset:         32
        .size:           8
        .value_kind:     global_buffer
      - .offset:         40
        .size:           8
        .value_kind:     by_value
      - .offset:         48
        .size:           8
        .value_kind:     by_value
      - .address_space:  global
        .offset:         56
        .size:           8
        .value_kind:     global_buffer
      - .offset:         64
        .size:           8
        .value_kind:     by_value
      - .offset:         72
        .size:           8
        .value_kind:     by_value
      - .offset:         80
        .size:           2
        .value_kind:     by_value
      - .address_space:  global
        .offset:         88
        .size:           8
        .value_kind:     global_buffer
      - .offset:         96
        .size:           8
        .value_kind:     by_value
      - .offset:         104
        .size:           8
        .value_kind:     by_value
      - .address_space:  global
        .offset:         112
        .size:           8
        .value_kind:     global_buffer
      - .offset:         120
        .size:           8
        .value_kind:     by_value
      - .offset:         128
        .size:           8
        .value_kind:     by_value
      - .offset:         136
        .size:           4
        .value_kind:     by_value
    .group_segment_fixed_size: 1024
    .kernarg_segment_align: 8
    .kernarg_segment_size: 140
    .language:       OpenCL C
    .language_version:
      - 2
      - 0
    .max_flat_workgroup_size: 256
    .name:           _ZN12_GLOBAL__N_135rocblas_gemm_batched_general_kernelIDF16_Li16ELi16ELi32ELi32ELi8ELi32ELi8ELi8ELi32ELc67ELc67EKPKDF16_S3_KPDF16_EEvlllT_PT11_llS8_llS6_PT12_llPT13_lli
    .private_segment_fixed_size: 0
    .sgpr_count:     52
    .sgpr_spill_count: 0
    .symbol:         _ZN12_GLOBAL__N_135rocblas_gemm_batched_general_kernelIDF16_Li16ELi16ELi32ELi32ELi8ELi32ELi8ELi8ELi32ELc67ELc67EKPKDF16_S3_KPDF16_EEvlllT_PT11_llS8_llS6_PT12_llPT13_lli.kd
    .uniform_work_group_size: 1
    .uses_dynamic_stack: false
    .vgpr_count:     44
    .vgpr_spill_count: 0
    .wavefront_size: 64
  - .agpr_count:     0
    .args:
      - .offset:         0
        .size:           8
        .value_kind:     by_value
      - .offset:         8
        .size:           8
        .value_kind:     by_value
      - .offset:         16
        .size:           8
        .value_kind:     by_value
      - .offset:         24
        .size:           2
        .value_kind:     by_value
      - .address_space:  global
        .offset:         32
        .size:           8
        .value_kind:     global_buffer
      - .offset:         40
        .size:           8
        .value_kind:     by_value
      - .offset:         48
        .size:           8
        .value_kind:     by_value
      - .address_space:  global
        .offset:         56
        .size:           8
        .value_kind:     global_buffer
      - .offset:         64
        .size:           8
        .value_kind:     by_value
      - .offset:         72
        .size:           8
        .value_kind:     by_value
      - .offset:         80
        .size:           2
        .value_kind:     by_value
      - .address_space:  global
        .offset:         88
        .size:           8
        .value_kind:     global_buffer
      - .offset:         96
        .size:           8
        .value_kind:     by_value
      - .offset:         104
        .size:           8
        .value_kind:     by_value
      - .address_space:  global
        .offset:         112
        .size:           8
        .value_kind:     global_buffer
      - .offset:         120
        .size:           8
        .value_kind:     by_value
      - .offset:         128
        .size:           8
        .value_kind:     by_value
      - .offset:         136
        .size:           4
        .value_kind:     by_value
    .group_segment_fixed_size: 1024
    .kernarg_segment_align: 8
    .kernarg_segment_size: 140
    .language:       OpenCL C
    .language_version:
      - 2
      - 0
    .max_flat_workgroup_size: 256
    .name:           _ZN12_GLOBAL__N_135rocblas_gemm_batched_general_kernelIDF16_Li16ELi16ELi32ELi32ELi8ELi32ELi8ELi8ELi32ELc67ELc78EKPKDF16_S3_KPDF16_EEvlllT_PT11_llS8_llS6_PT12_llPT13_lli
    .private_segment_fixed_size: 0
    .sgpr_count:     48
    .sgpr_spill_count: 0
    .symbol:         _ZN12_GLOBAL__N_135rocblas_gemm_batched_general_kernelIDF16_Li16ELi16ELi32ELi32ELi8ELi32ELi8ELi8ELi32ELc67ELc78EKPKDF16_S3_KPDF16_EEvlllT_PT11_llS8_llS6_PT12_llPT13_lli.kd
    .uniform_work_group_size: 1
    .uses_dynamic_stack: false
    .vgpr_count:     44
    .vgpr_spill_count: 0
    .wavefront_size: 64
  - .agpr_count:     0
    .args:
      - .offset:         0
        .size:           8
        .value_kind:     by_value
      - .offset:         8
        .size:           8
        .value_kind:     by_value
      - .offset:         16
        .size:           8
        .value_kind:     by_value
      - .offset:         24
        .size:           2
        .value_kind:     by_value
      - .address_space:  global
        .offset:         32
        .size:           8
        .value_kind:     global_buffer
      - .offset:         40
        .size:           8
        .value_kind:     by_value
      - .offset:         48
        .size:           8
        .value_kind:     by_value
      - .address_space:  global
        .offset:         56
        .size:           8
        .value_kind:     global_buffer
      - .offset:         64
        .size:           8
        .value_kind:     by_value
      - .offset:         72
        .size:           8
        .value_kind:     by_value
      - .offset:         80
        .size:           2
        .value_kind:     by_value
      - .address_space:  global
        .offset:         88
        .size:           8
        .value_kind:     global_buffer
      - .offset:         96
        .size:           8
        .value_kind:     by_value
      - .offset:         104
        .size:           8
        .value_kind:     by_value
      - .address_space:  global
        .offset:         112
        .size:           8
        .value_kind:     global_buffer
      - .offset:         120
        .size:           8
        .value_kind:     by_value
      - .offset:         128
        .size:           8
        .value_kind:     by_value
      - .offset:         136
        .size:           4
        .value_kind:     by_value
    .group_segment_fixed_size: 1024
    .kernarg_segment_align: 8
    .kernarg_segment_size: 140
    .language:       OpenCL C
    .language_version:
      - 2
      - 0
    .max_flat_workgroup_size: 256
    .name:           _ZN12_GLOBAL__N_135rocblas_gemm_batched_general_kernelIDF16_Li16ELi16ELi32ELi32ELi8ELi32ELi8ELi8ELi32ELc67ELc84EKPKDF16_S3_KPDF16_EEvlllT_PT11_llS8_llS6_PT12_llPT13_lli
    .private_segment_fixed_size: 0
    .sgpr_count:     52
    .sgpr_spill_count: 0
    .symbol:         _ZN12_GLOBAL__N_135rocblas_gemm_batched_general_kernelIDF16_Li16ELi16ELi32ELi32ELi8ELi32ELi8ELi8ELi32ELc67ELc84EKPKDF16_S3_KPDF16_EEvlllT_PT11_llS8_llS6_PT12_llPT13_lli.kd
    .uniform_work_group_size: 1
    .uses_dynamic_stack: false
    .vgpr_count:     44
    .vgpr_spill_count: 0
    .wavefront_size: 64
  - .agpr_count:     0
    .args:
      - .offset:         0
        .size:           8
        .value_kind:     by_value
      - .offset:         8
        .size:           8
        .value_kind:     by_value
      - .offset:         16
        .size:           8
        .value_kind:     by_value
      - .offset:         24
        .size:           2
        .value_kind:     by_value
      - .address_space:  global
        .offset:         32
        .size:           8
        .value_kind:     global_buffer
      - .offset:         40
        .size:           8
        .value_kind:     by_value
      - .offset:         48
        .size:           8
        .value_kind:     by_value
      - .address_space:  global
        .offset:         56
        .size:           8
        .value_kind:     global_buffer
      - .offset:         64
        .size:           8
        .value_kind:     by_value
      - .offset:         72
        .size:           8
        .value_kind:     by_value
      - .offset:         80
        .size:           2
        .value_kind:     by_value
      - .address_space:  global
        .offset:         88
        .size:           8
        .value_kind:     global_buffer
      - .offset:         96
        .size:           8
        .value_kind:     by_value
      - .offset:         104
        .size:           8
        .value_kind:     by_value
      - .address_space:  global
        .offset:         112
        .size:           8
        .value_kind:     global_buffer
      - .offset:         120
        .size:           8
        .value_kind:     by_value
      - .offset:         128
        .size:           8
        .value_kind:     by_value
      - .offset:         136
        .size:           4
        .value_kind:     by_value
    .group_segment_fixed_size: 1024
    .kernarg_segment_align: 8
    .kernarg_segment_size: 140
    .language:       OpenCL C
    .language_version:
      - 2
      - 0
    .max_flat_workgroup_size: 256
    .name:           _ZN12_GLOBAL__N_135rocblas_gemm_batched_general_kernelIDF16_Li16ELi16ELi32ELi32ELi8ELi32ELi8ELi8ELi32ELc78ELc67EKPKDF16_S3_KPDF16_EEvlllT_PT11_llS8_llS6_PT12_llPT13_lli
    .private_segment_fixed_size: 0
    .sgpr_count:     54
    .sgpr_spill_count: 0
    .symbol:         _ZN12_GLOBAL__N_135rocblas_gemm_batched_general_kernelIDF16_Li16ELi16ELi32ELi32ELi8ELi32ELi8ELi8ELi32ELc78ELc67EKPKDF16_S3_KPDF16_EEvlllT_PT11_llS8_llS6_PT12_llPT13_lli.kd
    .uniform_work_group_size: 1
    .uses_dynamic_stack: false
    .vgpr_count:     44
    .vgpr_spill_count: 0
    .wavefront_size: 64
  - .agpr_count:     0
    .args:
      - .offset:         0
        .size:           8
        .value_kind:     by_value
      - .offset:         8
        .size:           8
        .value_kind:     by_value
      - .offset:         16
        .size:           8
        .value_kind:     by_value
      - .offset:         24
        .size:           2
        .value_kind:     by_value
      - .address_space:  global
        .offset:         32
        .size:           8
        .value_kind:     global_buffer
      - .offset:         40
        .size:           8
        .value_kind:     by_value
      - .offset:         48
        .size:           8
        .value_kind:     by_value
      - .address_space:  global
        .offset:         56
        .size:           8
        .value_kind:     global_buffer
      - .offset:         64
        .size:           8
        .value_kind:     by_value
      - .offset:         72
        .size:           8
        .value_kind:     by_value
      - .offset:         80
        .size:           2
        .value_kind:     by_value
      - .address_space:  global
        .offset:         88
        .size:           8
        .value_kind:     global_buffer
      - .offset:         96
        .size:           8
        .value_kind:     by_value
      - .offset:         104
        .size:           8
        .value_kind:     by_value
      - .address_space:  global
        .offset:         112
        .size:           8
        .value_kind:     global_buffer
      - .offset:         120
        .size:           8
        .value_kind:     by_value
      - .offset:         128
        .size:           8
        .value_kind:     by_value
      - .offset:         136
        .size:           4
        .value_kind:     by_value
    .group_segment_fixed_size: 1024
    .kernarg_segment_align: 8
    .kernarg_segment_size: 140
    .language:       OpenCL C
    .language_version:
      - 2
      - 0
    .max_flat_workgroup_size: 256
    .name:           _ZN12_GLOBAL__N_135rocblas_gemm_batched_general_kernelIDF16_Li16ELi16ELi32ELi32ELi8ELi32ELi8ELi8ELi32ELc84ELc67EKPKDF16_S3_KPDF16_EEvlllT_PT11_llS8_llS6_PT12_llPT13_lli
    .private_segment_fixed_size: 0
    .sgpr_count:     52
    .sgpr_spill_count: 0
    .symbol:         _ZN12_GLOBAL__N_135rocblas_gemm_batched_general_kernelIDF16_Li16ELi16ELi32ELi32ELi8ELi32ELi8ELi8ELi32ELc84ELc67EKPKDF16_S3_KPDF16_EEvlllT_PT11_llS8_llS6_PT12_llPT13_lli.kd
    .uniform_work_group_size: 1
    .uses_dynamic_stack: false
    .vgpr_count:     44
    .vgpr_spill_count: 0
    .wavefront_size: 64
  - .agpr_count:     0
    .args:
      - .offset:         0
        .size:           4
        .value_kind:     by_value
      - .offset:         4
        .size:           4
        .value_kind:     by_value
      - .offset:         8
        .size:           4
        .value_kind:     by_value
      - .address_space:  global
        .offset:         16
        .size:           8
        .value_kind:     global_buffer
      - .offset:         24
        .size:           8
        .value_kind:     by_value
      - .offset:         32
        .size:           8
        .value_kind:     by_value
      - .offset:         40
        .size:           8
        .value_kind:     by_value
      - .offset:         48
        .size:           4
        .value_kind:     by_value
    .group_segment_fixed_size: 0
    .kernarg_segment_align: 8
    .kernarg_segment_size: 52
    .language:       OpenCL C
    .language_version:
      - 2
      - 0
    .max_flat_workgroup_size: 1024
    .name:           _ZN12_GLOBAL__N_125rocblas_gemm_scale_kernelILi32ELi32EfPKPfEEviiT1_T2_llli
    .private_segment_fixed_size: 0
    .sgpr_count:     22
    .sgpr_spill_count: 0
    .symbol:         _ZN12_GLOBAL__N_125rocblas_gemm_scale_kernelILi32ELi32EfPKPfEEviiT1_T2_llli.kd
    .uniform_work_group_size: 1
    .uses_dynamic_stack: false
    .vgpr_count:     8
    .vgpr_spill_count: 0
    .wavefront_size: 64
  - .agpr_count:     0
    .args:
      - .offset:         0
        .size:           4
        .value_kind:     by_value
      - .offset:         4
        .size:           4
        .value_kind:     by_value
      - .offset:         8
        .size:           4
        .value_kind:     by_value
      - .address_space:  global
        .offset:         16
        .size:           8
        .value_kind:     global_buffer
      - .offset:         24
        .size:           8
        .value_kind:     by_value
      - .offset:         32
        .size:           8
        .value_kind:     by_value
      - .offset:         40
        .size:           8
        .value_kind:     by_value
      - .address_space:  global
        .offset:         48
        .size:           8
        .value_kind:     global_buffer
      - .offset:         56
        .size:           8
        .value_kind:     by_value
      - .offset:         64
        .size:           8
        .value_kind:     by_value
      - .offset:         72
        .size:           8
        .value_kind:     by_value
      - .offset:         80
        .size:           4
        .value_kind:     by_value
    .group_segment_fixed_size: 0
    .kernarg_segment_align: 8
    .kernarg_segment_size: 84
    .language:       OpenCL C
    .language_version:
      - 2
      - 0
    .max_flat_workgroup_size: 1024
    .name:           _ZN12_GLOBAL__N_120gemm_ex_scale_kernelILi32ELi32EfPKPKfPKPfEEviiT1_T2_lllT3_llli
    .private_segment_fixed_size: 0
    .sgpr_count:     26
    .sgpr_spill_count: 0
    .symbol:         _ZN12_GLOBAL__N_120gemm_ex_scale_kernelILi32ELi32EfPKPKfPKPfEEviiT1_T2_lllT3_llli.kd
    .uniform_work_group_size: 1
    .uses_dynamic_stack: false
    .vgpr_count:     10
    .vgpr_spill_count: 0
    .wavefront_size: 64
  - .agpr_count:     0
    .args:
      - .offset:         0
        .size:           8
        .value_kind:     by_value
      - .offset:         8
        .size:           8
        .value_kind:     by_value
      - .offset:         16
        .size:           8
        .value_kind:     by_value
      - .offset:         24
        .size:           4
        .value_kind:     by_value
      - .address_space:  global
        .offset:         32
        .size:           8
        .value_kind:     global_buffer
      - .offset:         40
        .size:           8
        .value_kind:     by_value
      - .offset:         48
        .size:           8
        .value_kind:     by_value
      - .address_space:  global
        .offset:         56
        .size:           8
        .value_kind:     global_buffer
      - .offset:         64
        .size:           8
        .value_kind:     by_value
      - .offset:         72
        .size:           8
        .value_kind:     by_value
      - .offset:         80
        .size:           4
        .value_kind:     by_value
      - .address_space:  global
        .offset:         88
        .size:           8
        .value_kind:     global_buffer
      - .offset:         96
        .size:           8
        .value_kind:     by_value
      - .offset:         104
        .size:           8
        .value_kind:     by_value
      - .address_space:  global
        .offset:         112
        .size:           8
        .value_kind:     global_buffer
      - .offset:         120
        .size:           8
        .value_kind:     by_value
      - .offset:         128
        .size:           8
        .value_kind:     by_value
      - .offset:         136
        .size:           4
        .value_kind:     by_value
    .group_segment_fixed_size: 2048
    .kernarg_segment_align: 8
    .kernarg_segment_size: 140
    .language:       OpenCL C
    .language_version:
      - 2
      - 0
    .max_flat_workgroup_size: 256
    .name:           _ZN12_GLOBAL__N_127rocblas_gemm_batched_kernelIfLi16ELi16ELi64ELi64ELi4ELi64ELi4ELi4ELi64ELc78ELc78EKPKfS3_KPfEEvlllT_PT11_llS8_llS6_PT12_llPT13_lli
    .private_segment_fixed_size: 0
    .sgpr_count:     46
    .sgpr_spill_count: 0
    .symbol:         _ZN12_GLOBAL__N_127rocblas_gemm_batched_kernelIfLi16ELi16ELi64ELi64ELi4ELi64ELi4ELi4ELi64ELc78ELc78EKPKfS3_KPfEEvlllT_PT11_llS8_llS6_PT12_llPT13_lli.kd
    .uniform_work_group_size: 1
    .uses_dynamic_stack: false
    .vgpr_count:     70
    .vgpr_spill_count: 0
    .wavefront_size: 64
  - .agpr_count:     0
    .args:
      - .offset:         0
        .size:           8
        .value_kind:     by_value
      - .offset:         8
        .size:           8
        .value_kind:     by_value
      - .offset:         16
        .size:           8
        .value_kind:     by_value
      - .offset:         24
        .size:           4
        .value_kind:     by_value
      - .address_space:  global
        .offset:         32
        .size:           8
        .value_kind:     global_buffer
      - .offset:         40
        .size:           8
        .value_kind:     by_value
      - .offset:         48
        .size:           8
        .value_kind:     by_value
      - .address_space:  global
        .offset:         56
        .size:           8
        .value_kind:     global_buffer
      - .offset:         64
        .size:           8
        .value_kind:     by_value
      - .offset:         72
        .size:           8
        .value_kind:     by_value
      - .offset:         80
        .size:           4
        .value_kind:     by_value
      - .address_space:  global
        .offset:         88
        .size:           8
        .value_kind:     global_buffer
      - .offset:         96
        .size:           8
        .value_kind:     by_value
      - .offset:         104
        .size:           8
        .value_kind:     by_value
      - .address_space:  global
        .offset:         112
        .size:           8
        .value_kind:     global_buffer
      - .offset:         120
        .size:           8
        .value_kind:     by_value
      - .offset:         128
        .size:           8
        .value_kind:     by_value
      - .offset:         136
        .size:           4
        .value_kind:     by_value
    .group_segment_fixed_size: 2048
    .kernarg_segment_align: 8
    .kernarg_segment_size: 140
    .language:       OpenCL C
    .language_version:
      - 2
      - 0
    .max_flat_workgroup_size: 256
    .name:           _ZN12_GLOBAL__N_127rocblas_gemm_batched_kernelIfLi16ELi16ELi64ELi64ELi4ELi64ELi4ELi4ELi64ELc84ELc78EKPKfS3_KPfEEvlllT_PT11_llS8_llS6_PT12_llPT13_lli
    .private_segment_fixed_size: 0
    .sgpr_count:     46
    .sgpr_spill_count: 0
    .symbol:         _ZN12_GLOBAL__N_127rocblas_gemm_batched_kernelIfLi16ELi16ELi64ELi64ELi4ELi64ELi4ELi4ELi64ELc84ELc78EKPKfS3_KPfEEvlllT_PT11_llS8_llS6_PT12_llPT13_lli.kd
    .uniform_work_group_size: 1
    .uses_dynamic_stack: false
    .vgpr_count:     70
    .vgpr_spill_count: 0
    .wavefront_size: 64
  - .agpr_count:     0
    .args:
      - .offset:         0
        .size:           8
        .value_kind:     by_value
      - .offset:         8
        .size:           8
        .value_kind:     by_value
      - .offset:         16
        .size:           8
        .value_kind:     by_value
      - .offset:         24
        .size:           4
        .value_kind:     by_value
      - .address_space:  global
        .offset:         32
        .size:           8
        .value_kind:     global_buffer
      - .offset:         40
        .size:           8
        .value_kind:     by_value
      - .offset:         48
        .size:           8
        .value_kind:     by_value
      - .address_space:  global
        .offset:         56
        .size:           8
        .value_kind:     global_buffer
      - .offset:         64
        .size:           8
        .value_kind:     by_value
      - .offset:         72
        .size:           8
        .value_kind:     by_value
      - .offset:         80
        .size:           4
        .value_kind:     by_value
      - .address_space:  global
        .offset:         88
        .size:           8
        .value_kind:     global_buffer
      - .offset:         96
        .size:           8
        .value_kind:     by_value
      - .offset:         104
        .size:           8
        .value_kind:     by_value
      - .address_space:  global
        .offset:         112
        .size:           8
        .value_kind:     global_buffer
      - .offset:         120
        .size:           8
        .value_kind:     by_value
      - .offset:         128
        .size:           8
        .value_kind:     by_value
      - .offset:         136
        .size:           4
        .value_kind:     by_value
    .group_segment_fixed_size: 2048
    .kernarg_segment_align: 8
    .kernarg_segment_size: 140
    .language:       OpenCL C
    .language_version:
      - 2
      - 0
    .max_flat_workgroup_size: 256
    .name:           _ZN12_GLOBAL__N_127rocblas_gemm_batched_kernelIfLi16ELi16ELi64ELi64ELi4ELi64ELi4ELi4ELi64ELc78ELc84EKPKfS3_KPfEEvlllT_PT11_llS8_llS6_PT12_llPT13_lli
    .private_segment_fixed_size: 0
    .sgpr_count:     42
    .sgpr_spill_count: 0
    .symbol:         _ZN12_GLOBAL__N_127rocblas_gemm_batched_kernelIfLi16ELi16ELi64ELi64ELi4ELi64ELi4ELi4ELi64ELc78ELc84EKPKfS3_KPfEEvlllT_PT11_llS8_llS6_PT12_llPT13_lli.kd
    .uniform_work_group_size: 1
    .uses_dynamic_stack: false
    .vgpr_count:     70
    .vgpr_spill_count: 0
    .wavefront_size: 64
  - .agpr_count:     0
    .args:
      - .offset:         0
        .size:           8
        .value_kind:     by_value
      - .offset:         8
        .size:           8
        .value_kind:     by_value
      - .offset:         16
        .size:           8
        .value_kind:     by_value
      - .offset:         24
        .size:           4
        .value_kind:     by_value
      - .address_space:  global
        .offset:         32
        .size:           8
        .value_kind:     global_buffer
      - .offset:         40
        .size:           8
        .value_kind:     by_value
      - .offset:         48
        .size:           8
        .value_kind:     by_value
      - .address_space:  global
        .offset:         56
        .size:           8
        .value_kind:     global_buffer
      - .offset:         64
        .size:           8
        .value_kind:     by_value
      - .offset:         72
        .size:           8
        .value_kind:     by_value
      - .offset:         80
        .size:           4
        .value_kind:     by_value
      - .address_space:  global
        .offset:         88
        .size:           8
        .value_kind:     global_buffer
      - .offset:         96
        .size:           8
        .value_kind:     by_value
      - .offset:         104
        .size:           8
        .value_kind:     by_value
      - .address_space:  global
        .offset:         112
        .size:           8
        .value_kind:     global_buffer
      - .offset:         120
        .size:           8
        .value_kind:     by_value
      - .offset:         128
        .size:           8
        .value_kind:     by_value
      - .offset:         136
        .size:           4
        .value_kind:     by_value
    .group_segment_fixed_size: 2048
    .kernarg_segment_align: 8
    .kernarg_segment_size: 140
    .language:       OpenCL C
    .language_version:
      - 2
      - 0
    .max_flat_workgroup_size: 256
    .name:           _ZN12_GLOBAL__N_127rocblas_gemm_batched_kernelIfLi16ELi16ELi64ELi64ELi4ELi64ELi4ELi4ELi64ELc84ELc84EKPKfS3_KPfEEvlllT_PT11_llS8_llS6_PT12_llPT13_lli
    .private_segment_fixed_size: 0
    .sgpr_count:     42
    .sgpr_spill_count: 0
    .symbol:         _ZN12_GLOBAL__N_127rocblas_gemm_batched_kernelIfLi16ELi16ELi64ELi64ELi4ELi64ELi4ELi4ELi64ELc84ELc84EKPKfS3_KPfEEvlllT_PT11_llS8_llS6_PT12_llPT13_lli.kd
    .uniform_work_group_size: 1
    .uses_dynamic_stack: false
    .vgpr_count:     70
    .vgpr_spill_count: 0
    .wavefront_size: 64
  - .agpr_count:     0
    .args:
      - .offset:         0
        .size:           8
        .value_kind:     by_value
      - .offset:         8
        .size:           8
        .value_kind:     by_value
      - .offset:         16
        .size:           8
        .value_kind:     by_value
      - .offset:         24
        .size:           4
        .value_kind:     by_value
      - .address_space:  global
        .offset:         32
        .size:           8
        .value_kind:     global_buffer
      - .offset:         40
        .size:           8
        .value_kind:     by_value
      - .offset:         48
        .size:           8
        .value_kind:     by_value
      - .address_space:  global
        .offset:         56
        .size:           8
        .value_kind:     global_buffer
      - .offset:         64
        .size:           8
        .value_kind:     by_value
      - .offset:         72
        .size:           8
        .value_kind:     by_value
      - .offset:         80
        .size:           4
        .value_kind:     by_value
      - .address_space:  global
        .offset:         88
        .size:           8
        .value_kind:     global_buffer
      - .offset:         96
        .size:           8
        .value_kind:     by_value
      - .offset:         104
        .size:           8
        .value_kind:     by_value
      - .address_space:  global
        .offset:         112
        .size:           8
        .value_kind:     global_buffer
      - .offset:         120
        .size:           8
        .value_kind:     by_value
      - .offset:         128
        .size:           8
        .value_kind:     by_value
      - .offset:         136
        .size:           4
        .value_kind:     by_value
    .group_segment_fixed_size: 2048
    .kernarg_segment_align: 8
    .kernarg_segment_size: 140
    .language:       OpenCL C
    .language_version:
      - 2
      - 0
    .max_flat_workgroup_size: 256
    .name:           _ZN12_GLOBAL__N_127rocblas_gemm_batched_kernelIfLi16ELi16ELi64ELi64ELi4ELi64ELi4ELi4ELi64ELc67ELc67EKPKfS3_KPfEEvlllT_PT11_llS8_llS6_PT12_llPT13_lli
    .private_segment_fixed_size: 0
    .sgpr_count:     42
    .sgpr_spill_count: 0
    .symbol:         _ZN12_GLOBAL__N_127rocblas_gemm_batched_kernelIfLi16ELi16ELi64ELi64ELi4ELi64ELi4ELi4ELi64ELc67ELc67EKPKfS3_KPfEEvlllT_PT11_llS8_llS6_PT12_llPT13_lli.kd
    .uniform_work_group_size: 1
    .uses_dynamic_stack: false
    .vgpr_count:     70
    .vgpr_spill_count: 0
    .wavefront_size: 64
  - .agpr_count:     0
    .args:
      - .offset:         0
        .size:           8
        .value_kind:     by_value
      - .offset:         8
        .size:           8
        .value_kind:     by_value
      - .offset:         16
        .size:           8
        .value_kind:     by_value
      - .offset:         24
        .size:           4
        .value_kind:     by_value
      - .address_space:  global
        .offset:         32
        .size:           8
        .value_kind:     global_buffer
      - .offset:         40
        .size:           8
        .value_kind:     by_value
      - .offset:         48
        .size:           8
        .value_kind:     by_value
      - .address_space:  global
        .offset:         56
        .size:           8
        .value_kind:     global_buffer
      - .offset:         64
        .size:           8
        .value_kind:     by_value
      - .offset:         72
        .size:           8
        .value_kind:     by_value
      - .offset:         80
        .size:           4
        .value_kind:     by_value
      - .address_space:  global
        .offset:         88
        .size:           8
        .value_kind:     global_buffer
      - .offset:         96
        .size:           8
        .value_kind:     by_value
      - .offset:         104
        .size:           8
        .value_kind:     by_value
      - .address_space:  global
        .offset:         112
        .size:           8
        .value_kind:     global_buffer
      - .offset:         120
        .size:           8
        .value_kind:     by_value
      - .offset:         128
        .size:           8
        .value_kind:     by_value
      - .offset:         136
        .size:           4
        .value_kind:     by_value
    .group_segment_fixed_size: 2048
    .kernarg_segment_align: 8
    .kernarg_segment_size: 140
    .language:       OpenCL C
    .language_version:
      - 2
      - 0
    .max_flat_workgroup_size: 256
    .name:           _ZN12_GLOBAL__N_127rocblas_gemm_batched_kernelIfLi16ELi16ELi64ELi64ELi4ELi64ELi4ELi4ELi64ELc67ELc78EKPKfS3_KPfEEvlllT_PT11_llS8_llS6_PT12_llPT13_lli
    .private_segment_fixed_size: 0
    .sgpr_count:     46
    .sgpr_spill_count: 0
    .symbol:         _ZN12_GLOBAL__N_127rocblas_gemm_batched_kernelIfLi16ELi16ELi64ELi64ELi4ELi64ELi4ELi4ELi64ELc67ELc78EKPKfS3_KPfEEvlllT_PT11_llS8_llS6_PT12_llPT13_lli.kd
    .uniform_work_group_size: 1
    .uses_dynamic_stack: false
    .vgpr_count:     70
    .vgpr_spill_count: 0
    .wavefront_size: 64
  - .agpr_count:     0
    .args:
      - .offset:         0
        .size:           8
        .value_kind:     by_value
      - .offset:         8
        .size:           8
        .value_kind:     by_value
      - .offset:         16
        .size:           8
        .value_kind:     by_value
      - .offset:         24
        .size:           4
        .value_kind:     by_value
      - .address_space:  global
        .offset:         32
        .size:           8
        .value_kind:     global_buffer
      - .offset:         40
        .size:           8
        .value_kind:     by_value
      - .offset:         48
        .size:           8
        .value_kind:     by_value
      - .address_space:  global
        .offset:         56
        .size:           8
        .value_kind:     global_buffer
      - .offset:         64
        .size:           8
        .value_kind:     by_value
      - .offset:         72
        .size:           8
        .value_kind:     by_value
      - .offset:         80
        .size:           4
        .value_kind:     by_value
      - .address_space:  global
        .offset:         88
        .size:           8
        .value_kind:     global_buffer
      - .offset:         96
        .size:           8
        .value_kind:     by_value
      - .offset:         104
        .size:           8
        .value_kind:     by_value
      - .address_space:  global
        .offset:         112
        .size:           8
        .value_kind:     global_buffer
      - .offset:         120
        .size:           8
        .value_kind:     by_value
      - .offset:         128
        .size:           8
        .value_kind:     by_value
      - .offset:         136
        .size:           4
        .value_kind:     by_value
    .group_segment_fixed_size: 2048
    .kernarg_segment_align: 8
    .kernarg_segment_size: 140
    .language:       OpenCL C
    .language_version:
      - 2
      - 0
    .max_flat_workgroup_size: 256
    .name:           _ZN12_GLOBAL__N_127rocblas_gemm_batched_kernelIfLi16ELi16ELi64ELi64ELi4ELi64ELi4ELi4ELi64ELc67ELc84EKPKfS3_KPfEEvlllT_PT11_llS8_llS6_PT12_llPT13_lli
    .private_segment_fixed_size: 0
    .sgpr_count:     42
    .sgpr_spill_count: 0
    .symbol:         _ZN12_GLOBAL__N_127rocblas_gemm_batched_kernelIfLi16ELi16ELi64ELi64ELi4ELi64ELi4ELi4ELi64ELc67ELc84EKPKfS3_KPfEEvlllT_PT11_llS8_llS6_PT12_llPT13_lli.kd
    .uniform_work_group_size: 1
    .uses_dynamic_stack: false
    .vgpr_count:     70
    .vgpr_spill_count: 0
    .wavefront_size: 64
  - .agpr_count:     0
    .args:
      - .offset:         0
        .size:           8
        .value_kind:     by_value
      - .offset:         8
        .size:           8
        .value_kind:     by_value
      - .offset:         16
        .size:           8
        .value_kind:     by_value
      - .offset:         24
        .size:           4
        .value_kind:     by_value
      - .address_space:  global
        .offset:         32
        .size:           8
        .value_kind:     global_buffer
      - .offset:         40
        .size:           8
        .value_kind:     by_value
      - .offset:         48
        .size:           8
        .value_kind:     by_value
      - .address_space:  global
        .offset:         56
        .size:           8
        .value_kind:     global_buffer
      - .offset:         64
        .size:           8
        .value_kind:     by_value
      - .offset:         72
        .size:           8
        .value_kind:     by_value
      - .offset:         80
        .size:           4
        .value_kind:     by_value
      - .address_space:  global
        .offset:         88
        .size:           8
        .value_kind:     global_buffer
      - .offset:         96
        .size:           8
        .value_kind:     by_value
      - .offset:         104
        .size:           8
        .value_kind:     by_value
      - .address_space:  global
        .offset:         112
        .size:           8
        .value_kind:     global_buffer
      - .offset:         120
        .size:           8
        .value_kind:     by_value
      - .offset:         128
        .size:           8
        .value_kind:     by_value
      - .offset:         136
        .size:           4
        .value_kind:     by_value
    .group_segment_fixed_size: 2048
    .kernarg_segment_align: 8
    .kernarg_segment_size: 140
    .language:       OpenCL C
    .language_version:
      - 2
      - 0
    .max_flat_workgroup_size: 256
    .name:           _ZN12_GLOBAL__N_127rocblas_gemm_batched_kernelIfLi16ELi16ELi64ELi64ELi4ELi64ELi4ELi4ELi64ELc78ELc67EKPKfS3_KPfEEvlllT_PT11_llS8_llS6_PT12_llPT13_lli
    .private_segment_fixed_size: 0
    .sgpr_count:     42
    .sgpr_spill_count: 0
    .symbol:         _ZN12_GLOBAL__N_127rocblas_gemm_batched_kernelIfLi16ELi16ELi64ELi64ELi4ELi64ELi4ELi4ELi64ELc78ELc67EKPKfS3_KPfEEvlllT_PT11_llS8_llS6_PT12_llPT13_lli.kd
    .uniform_work_group_size: 1
    .uses_dynamic_stack: false
    .vgpr_count:     70
    .vgpr_spill_count: 0
    .wavefront_size: 64
  - .agpr_count:     0
    .args:
      - .offset:         0
        .size:           8
        .value_kind:     by_value
      - .offset:         8
        .size:           8
        .value_kind:     by_value
      - .offset:         16
        .size:           8
        .value_kind:     by_value
      - .offset:         24
        .size:           4
        .value_kind:     by_value
      - .address_space:  global
        .offset:         32
        .size:           8
        .value_kind:     global_buffer
      - .offset:         40
        .size:           8
        .value_kind:     by_value
      - .offset:         48
        .size:           8
        .value_kind:     by_value
      - .address_space:  global
        .offset:         56
        .size:           8
        .value_kind:     global_buffer
      - .offset:         64
        .size:           8
        .value_kind:     by_value
      - .offset:         72
        .size:           8
        .value_kind:     by_value
      - .offset:         80
        .size:           4
        .value_kind:     by_value
      - .address_space:  global
        .offset:         88
        .size:           8
        .value_kind:     global_buffer
      - .offset:         96
        .size:           8
        .value_kind:     by_value
      - .offset:         104
        .size:           8
        .value_kind:     by_value
      - .address_space:  global
        .offset:         112
        .size:           8
        .value_kind:     global_buffer
      - .offset:         120
        .size:           8
        .value_kind:     by_value
      - .offset:         128
        .size:           8
        .value_kind:     by_value
      - .offset:         136
        .size:           4
        .value_kind:     by_value
    .group_segment_fixed_size: 2048
    .kernarg_segment_align: 8
    .kernarg_segment_size: 140
    .language:       OpenCL C
    .language_version:
      - 2
      - 0
    .max_flat_workgroup_size: 256
    .name:           _ZN12_GLOBAL__N_127rocblas_gemm_batched_kernelIfLi16ELi16ELi64ELi64ELi4ELi64ELi4ELi4ELi64ELc84ELc67EKPKfS3_KPfEEvlllT_PT11_llS8_llS6_PT12_llPT13_lli
    .private_segment_fixed_size: 0
    .sgpr_count:     42
    .sgpr_spill_count: 0
    .symbol:         _ZN12_GLOBAL__N_127rocblas_gemm_batched_kernelIfLi16ELi16ELi64ELi64ELi4ELi64ELi4ELi4ELi64ELc84ELc67EKPKfS3_KPfEEvlllT_PT11_llS8_llS6_PT12_llPT13_lli.kd
    .uniform_work_group_size: 1
    .uses_dynamic_stack: false
    .vgpr_count:     70
    .vgpr_spill_count: 0
    .wavefront_size: 64
  - .agpr_count:     0
    .args:
      - .offset:         0
        .size:           8
        .value_kind:     by_value
      - .offset:         8
        .size:           8
        .value_kind:     by_value
      - .offset:         16
        .size:           8
        .value_kind:     by_value
      - .offset:         24
        .size:           4
        .value_kind:     by_value
      - .address_space:  global
        .offset:         32
        .size:           8
        .value_kind:     global_buffer
      - .offset:         40
        .size:           8
        .value_kind:     by_value
      - .offset:         48
        .size:           8
        .value_kind:     by_value
      - .address_space:  global
        .offset:         56
        .size:           8
        .value_kind:     global_buffer
      - .offset:         64
        .size:           8
        .value_kind:     by_value
      - .offset:         72
        .size:           8
        .value_kind:     by_value
      - .offset:         80
        .size:           4
        .value_kind:     by_value
      - .address_space:  global
        .offset:         88
        .size:           8
        .value_kind:     global_buffer
      - .offset:         96
        .size:           8
        .value_kind:     by_value
      - .offset:         104
        .size:           8
        .value_kind:     by_value
      - .address_space:  global
        .offset:         112
        .size:           8
        .value_kind:     global_buffer
      - .offset:         120
        .size:           8
        .value_kind:     by_value
      - .offset:         128
        .size:           8
        .value_kind:     by_value
      - .offset:         136
        .size:           4
        .value_kind:     by_value
    .group_segment_fixed_size: 2048
    .kernarg_segment_align: 8
    .kernarg_segment_size: 140
    .language:       OpenCL C
    .language_version:
      - 2
      - 0
    .max_flat_workgroup_size: 256
    .name:           _ZN12_GLOBAL__N_127rocblas_gemm_batched_kernelIfLi16ELi16ELi32ELi32ELi8ELi32ELi8ELi8ELi32ELc78ELc78EKPKfS3_KPfEEvlllT_PT11_llS8_llS6_PT12_llPT13_lli
    .private_segment_fixed_size: 0
    .sgpr_count:     46
    .sgpr_spill_count: 0
    .symbol:         _ZN12_GLOBAL__N_127rocblas_gemm_batched_kernelIfLi16ELi16ELi32ELi32ELi8ELi32ELi8ELi8ELi32ELc78ELc78EKPKfS3_KPfEEvlllT_PT11_llS8_llS6_PT12_llPT13_lli.kd
    .uniform_work_group_size: 1
    .uses_dynamic_stack: false
    .vgpr_count:     58
    .vgpr_spill_count: 0
    .wavefront_size: 64
  - .agpr_count:     0
    .args:
      - .offset:         0
        .size:           8
        .value_kind:     by_value
      - .offset:         8
        .size:           8
        .value_kind:     by_value
      - .offset:         16
        .size:           8
        .value_kind:     by_value
      - .offset:         24
        .size:           4
        .value_kind:     by_value
      - .address_space:  global
        .offset:         32
        .size:           8
        .value_kind:     global_buffer
      - .offset:         40
        .size:           8
        .value_kind:     by_value
      - .offset:         48
        .size:           8
        .value_kind:     by_value
      - .address_space:  global
        .offset:         56
        .size:           8
        .value_kind:     global_buffer
      - .offset:         64
        .size:           8
        .value_kind:     by_value
      - .offset:         72
        .size:           8
        .value_kind:     by_value
      - .offset:         80
        .size:           4
        .value_kind:     by_value
      - .address_space:  global
        .offset:         88
        .size:           8
        .value_kind:     global_buffer
      - .offset:         96
        .size:           8
        .value_kind:     by_value
      - .offset:         104
        .size:           8
        .value_kind:     by_value
      - .address_space:  global
        .offset:         112
        .size:           8
        .value_kind:     global_buffer
      - .offset:         120
        .size:           8
        .value_kind:     by_value
      - .offset:         128
        .size:           8
        .value_kind:     by_value
      - .offset:         136
        .size:           4
        .value_kind:     by_value
    .group_segment_fixed_size: 2048
    .kernarg_segment_align: 8
    .kernarg_segment_size: 140
    .language:       OpenCL C
    .language_version:
      - 2
      - 0
    .max_flat_workgroup_size: 256
    .name:           _ZN12_GLOBAL__N_127rocblas_gemm_batched_kernelIfLi16ELi16ELi32ELi32ELi8ELi32ELi8ELi8ELi32ELc84ELc78EKPKfS3_KPfEEvlllT_PT11_llS8_llS6_PT12_llPT13_lli
    .private_segment_fixed_size: 0
    .sgpr_count:     46
    .sgpr_spill_count: 0
    .symbol:         _ZN12_GLOBAL__N_127rocblas_gemm_batched_kernelIfLi16ELi16ELi32ELi32ELi8ELi32ELi8ELi8ELi32ELc84ELc78EKPKfS3_KPfEEvlllT_PT11_llS8_llS6_PT12_llPT13_lli.kd
    .uniform_work_group_size: 1
    .uses_dynamic_stack: false
    .vgpr_count:     58
    .vgpr_spill_count: 0
    .wavefront_size: 64
  - .agpr_count:     0
    .args:
      - .offset:         0
        .size:           8
        .value_kind:     by_value
      - .offset:         8
        .size:           8
        .value_kind:     by_value
      - .offset:         16
        .size:           8
        .value_kind:     by_value
      - .offset:         24
        .size:           4
        .value_kind:     by_value
      - .address_space:  global
        .offset:         32
        .size:           8
        .value_kind:     global_buffer
      - .offset:         40
        .size:           8
        .value_kind:     by_value
      - .offset:         48
        .size:           8
        .value_kind:     by_value
      - .address_space:  global
        .offset:         56
        .size:           8
        .value_kind:     global_buffer
      - .offset:         64
        .size:           8
        .value_kind:     by_value
      - .offset:         72
        .size:           8
        .value_kind:     by_value
      - .offset:         80
        .size:           4
        .value_kind:     by_value
      - .address_space:  global
        .offset:         88
        .size:           8
        .value_kind:     global_buffer
      - .offset:         96
        .size:           8
        .value_kind:     by_value
      - .offset:         104
        .size:           8
        .value_kind:     by_value
      - .address_space:  global
        .offset:         112
        .size:           8
        .value_kind:     global_buffer
      - .offset:         120
        .size:           8
        .value_kind:     by_value
      - .offset:         128
        .size:           8
        .value_kind:     by_value
      - .offset:         136
        .size:           4
        .value_kind:     by_value
    .group_segment_fixed_size: 2048
    .kernarg_segment_align: 8
    .kernarg_segment_size: 140
    .language:       OpenCL C
    .language_version:
      - 2
      - 0
    .max_flat_workgroup_size: 256
    .name:           _ZN12_GLOBAL__N_127rocblas_gemm_batched_kernelIfLi16ELi16ELi32ELi32ELi8ELi32ELi8ELi8ELi32ELc78ELc84EKPKfS3_KPfEEvlllT_PT11_llS8_llS6_PT12_llPT13_lli
    .private_segment_fixed_size: 0
    .sgpr_count:     42
    .sgpr_spill_count: 0
    .symbol:         _ZN12_GLOBAL__N_127rocblas_gemm_batched_kernelIfLi16ELi16ELi32ELi32ELi8ELi32ELi8ELi8ELi32ELc78ELc84EKPKfS3_KPfEEvlllT_PT11_llS8_llS6_PT12_llPT13_lli.kd
    .uniform_work_group_size: 1
    .uses_dynamic_stack: false
    .vgpr_count:     58
    .vgpr_spill_count: 0
    .wavefront_size: 64
  - .agpr_count:     0
    .args:
      - .offset:         0
        .size:           8
        .value_kind:     by_value
      - .offset:         8
        .size:           8
        .value_kind:     by_value
      - .offset:         16
        .size:           8
        .value_kind:     by_value
      - .offset:         24
        .size:           4
        .value_kind:     by_value
      - .address_space:  global
        .offset:         32
        .size:           8
        .value_kind:     global_buffer
      - .offset:         40
        .size:           8
        .value_kind:     by_value
      - .offset:         48
        .size:           8
        .value_kind:     by_value
      - .address_space:  global
        .offset:         56
        .size:           8
        .value_kind:     global_buffer
      - .offset:         64
        .size:           8
        .value_kind:     by_value
      - .offset:         72
        .size:           8
        .value_kind:     by_value
      - .offset:         80
        .size:           4
        .value_kind:     by_value
      - .address_space:  global
        .offset:         88
        .size:           8
        .value_kind:     global_buffer
      - .offset:         96
        .size:           8
        .value_kind:     by_value
      - .offset:         104
        .size:           8
        .value_kind:     by_value
      - .address_space:  global
        .offset:         112
        .size:           8
        .value_kind:     global_buffer
      - .offset:         120
        .size:           8
        .value_kind:     by_value
      - .offset:         128
        .size:           8
        .value_kind:     by_value
      - .offset:         136
        .size:           4
        .value_kind:     by_value
    .group_segment_fixed_size: 2048
    .kernarg_segment_align: 8
    .kernarg_segment_size: 140
    .language:       OpenCL C
    .language_version:
      - 2
      - 0
    .max_flat_workgroup_size: 256
    .name:           _ZN12_GLOBAL__N_127rocblas_gemm_batched_kernelIfLi16ELi16ELi32ELi32ELi8ELi32ELi8ELi8ELi32ELc84ELc84EKPKfS3_KPfEEvlllT_PT11_llS8_llS6_PT12_llPT13_lli
    .private_segment_fixed_size: 0
    .sgpr_count:     42
    .sgpr_spill_count: 0
    .symbol:         _ZN12_GLOBAL__N_127rocblas_gemm_batched_kernelIfLi16ELi16ELi32ELi32ELi8ELi32ELi8ELi8ELi32ELc84ELc84EKPKfS3_KPfEEvlllT_PT11_llS8_llS6_PT12_llPT13_lli.kd
    .uniform_work_group_size: 1
    .uses_dynamic_stack: false
    .vgpr_count:     58
    .vgpr_spill_count: 0
    .wavefront_size: 64
  - .agpr_count:     0
    .args:
      - .offset:         0
        .size:           8
        .value_kind:     by_value
      - .offset:         8
        .size:           8
        .value_kind:     by_value
      - .offset:         16
        .size:           8
        .value_kind:     by_value
      - .offset:         24
        .size:           4
        .value_kind:     by_value
      - .address_space:  global
        .offset:         32
        .size:           8
        .value_kind:     global_buffer
      - .offset:         40
        .size:           8
        .value_kind:     by_value
      - .offset:         48
        .size:           8
        .value_kind:     by_value
      - .address_space:  global
        .offset:         56
        .size:           8
        .value_kind:     global_buffer
      - .offset:         64
        .size:           8
        .value_kind:     by_value
      - .offset:         72
        .size:           8
        .value_kind:     by_value
      - .offset:         80
        .size:           4
        .value_kind:     by_value
      - .address_space:  global
        .offset:         88
        .size:           8
        .value_kind:     global_buffer
      - .offset:         96
        .size:           8
        .value_kind:     by_value
      - .offset:         104
        .size:           8
        .value_kind:     by_value
      - .address_space:  global
        .offset:         112
        .size:           8
        .value_kind:     global_buffer
      - .offset:         120
        .size:           8
        .value_kind:     by_value
      - .offset:         128
        .size:           8
        .value_kind:     by_value
      - .offset:         136
        .size:           4
        .value_kind:     by_value
    .group_segment_fixed_size: 2048
    .kernarg_segment_align: 8
    .kernarg_segment_size: 140
    .language:       OpenCL C
    .language_version:
      - 2
      - 0
    .max_flat_workgroup_size: 256
    .name:           _ZN12_GLOBAL__N_127rocblas_gemm_batched_kernelIfLi16ELi16ELi32ELi32ELi8ELi32ELi8ELi8ELi32ELc67ELc67EKPKfS3_KPfEEvlllT_PT11_llS8_llS6_PT12_llPT13_lli
    .private_segment_fixed_size: 0
    .sgpr_count:     42
    .sgpr_spill_count: 0
    .symbol:         _ZN12_GLOBAL__N_127rocblas_gemm_batched_kernelIfLi16ELi16ELi32ELi32ELi8ELi32ELi8ELi8ELi32ELc67ELc67EKPKfS3_KPfEEvlllT_PT11_llS8_llS6_PT12_llPT13_lli.kd
    .uniform_work_group_size: 1
    .uses_dynamic_stack: false
    .vgpr_count:     58
    .vgpr_spill_count: 0
    .wavefront_size: 64
  - .agpr_count:     0
    .args:
      - .offset:         0
        .size:           8
        .value_kind:     by_value
      - .offset:         8
        .size:           8
        .value_kind:     by_value
      - .offset:         16
        .size:           8
        .value_kind:     by_value
      - .offset:         24
        .size:           4
        .value_kind:     by_value
      - .address_space:  global
        .offset:         32
        .size:           8
        .value_kind:     global_buffer
      - .offset:         40
        .size:           8
        .value_kind:     by_value
      - .offset:         48
        .size:           8
        .value_kind:     by_value
      - .address_space:  global
        .offset:         56
        .size:           8
        .value_kind:     global_buffer
      - .offset:         64
        .size:           8
        .value_kind:     by_value
      - .offset:         72
        .size:           8
        .value_kind:     by_value
      - .offset:         80
        .size:           4
        .value_kind:     by_value
      - .address_space:  global
        .offset:         88
        .size:           8
        .value_kind:     global_buffer
      - .offset:         96
        .size:           8
        .value_kind:     by_value
      - .offset:         104
        .size:           8
        .value_kind:     by_value
      - .address_space:  global
        .offset:         112
        .size:           8
        .value_kind:     global_buffer
      - .offset:         120
        .size:           8
        .value_kind:     by_value
      - .offset:         128
        .size:           8
        .value_kind:     by_value
      - .offset:         136
        .size:           4
        .value_kind:     by_value
    .group_segment_fixed_size: 2048
    .kernarg_segment_align: 8
    .kernarg_segment_size: 140
    .language:       OpenCL C
    .language_version:
      - 2
      - 0
    .max_flat_workgroup_size: 256
    .name:           _ZN12_GLOBAL__N_127rocblas_gemm_batched_kernelIfLi16ELi16ELi32ELi32ELi8ELi32ELi8ELi8ELi32ELc67ELc78EKPKfS3_KPfEEvlllT_PT11_llS8_llS6_PT12_llPT13_lli
    .private_segment_fixed_size: 0
    .sgpr_count:     46
    .sgpr_spill_count: 0
    .symbol:         _ZN12_GLOBAL__N_127rocblas_gemm_batched_kernelIfLi16ELi16ELi32ELi32ELi8ELi32ELi8ELi8ELi32ELc67ELc78EKPKfS3_KPfEEvlllT_PT11_llS8_llS6_PT12_llPT13_lli.kd
    .uniform_work_group_size: 1
    .uses_dynamic_stack: false
    .vgpr_count:     58
    .vgpr_spill_count: 0
    .wavefront_size: 64
  - .agpr_count:     0
    .args:
      - .offset:         0
        .size:           8
        .value_kind:     by_value
      - .offset:         8
        .size:           8
        .value_kind:     by_value
      - .offset:         16
        .size:           8
        .value_kind:     by_value
      - .offset:         24
        .size:           4
        .value_kind:     by_value
      - .address_space:  global
        .offset:         32
        .size:           8
        .value_kind:     global_buffer
      - .offset:         40
        .size:           8
        .value_kind:     by_value
      - .offset:         48
        .size:           8
        .value_kind:     by_value
      - .address_space:  global
        .offset:         56
        .size:           8
        .value_kind:     global_buffer
      - .offset:         64
        .size:           8
        .value_kind:     by_value
      - .offset:         72
        .size:           8
        .value_kind:     by_value
      - .offset:         80
        .size:           4
        .value_kind:     by_value
      - .address_space:  global
        .offset:         88
        .size:           8
        .value_kind:     global_buffer
      - .offset:         96
        .size:           8
        .value_kind:     by_value
      - .offset:         104
        .size:           8
        .value_kind:     by_value
      - .address_space:  global
        .offset:         112
        .size:           8
        .value_kind:     global_buffer
      - .offset:         120
        .size:           8
        .value_kind:     by_value
      - .offset:         128
        .size:           8
        .value_kind:     by_value
      - .offset:         136
        .size:           4
        .value_kind:     by_value
    .group_segment_fixed_size: 2048
    .kernarg_segment_align: 8
    .kernarg_segment_size: 140
    .language:       OpenCL C
    .language_version:
      - 2
      - 0
    .max_flat_workgroup_size: 256
    .name:           _ZN12_GLOBAL__N_127rocblas_gemm_batched_kernelIfLi16ELi16ELi32ELi32ELi8ELi32ELi8ELi8ELi32ELc67ELc84EKPKfS3_KPfEEvlllT_PT11_llS8_llS6_PT12_llPT13_lli
    .private_segment_fixed_size: 0
    .sgpr_count:     42
    .sgpr_spill_count: 0
    .symbol:         _ZN12_GLOBAL__N_127rocblas_gemm_batched_kernelIfLi16ELi16ELi32ELi32ELi8ELi32ELi8ELi8ELi32ELc67ELc84EKPKfS3_KPfEEvlllT_PT11_llS8_llS6_PT12_llPT13_lli.kd
    .uniform_work_group_size: 1
    .uses_dynamic_stack: false
    .vgpr_count:     58
    .vgpr_spill_count: 0
    .wavefront_size: 64
  - .agpr_count:     0
    .args:
      - .offset:         0
        .size:           8
        .value_kind:     by_value
      - .offset:         8
        .size:           8
        .value_kind:     by_value
      - .offset:         16
        .size:           8
        .value_kind:     by_value
      - .offset:         24
        .size:           4
        .value_kind:     by_value
      - .address_space:  global
        .offset:         32
        .size:           8
        .value_kind:     global_buffer
      - .offset:         40
        .size:           8
        .value_kind:     by_value
      - .offset:         48
        .size:           8
        .value_kind:     by_value
      - .address_space:  global
        .offset:         56
        .size:           8
        .value_kind:     global_buffer
      - .offset:         64
        .size:           8
        .value_kind:     by_value
      - .offset:         72
        .size:           8
        .value_kind:     by_value
      - .offset:         80
        .size:           4
        .value_kind:     by_value
      - .address_space:  global
        .offset:         88
        .size:           8
        .value_kind:     global_buffer
      - .offset:         96
        .size:           8
        .value_kind:     by_value
      - .offset:         104
        .size:           8
        .value_kind:     by_value
      - .address_space:  global
        .offset:         112
        .size:           8
        .value_kind:     global_buffer
      - .offset:         120
        .size:           8
        .value_kind:     by_value
      - .offset:         128
        .size:           8
        .value_kind:     by_value
      - .offset:         136
        .size:           4
        .value_kind:     by_value
    .group_segment_fixed_size: 2048
    .kernarg_segment_align: 8
    .kernarg_segment_size: 140
    .language:       OpenCL C
    .language_version:
      - 2
      - 0
    .max_flat_workgroup_size: 256
    .name:           _ZN12_GLOBAL__N_127rocblas_gemm_batched_kernelIfLi16ELi16ELi32ELi32ELi8ELi32ELi8ELi8ELi32ELc78ELc67EKPKfS3_KPfEEvlllT_PT11_llS8_llS6_PT12_llPT13_lli
    .private_segment_fixed_size: 0
    .sgpr_count:     42
    .sgpr_spill_count: 0
    .symbol:         _ZN12_GLOBAL__N_127rocblas_gemm_batched_kernelIfLi16ELi16ELi32ELi32ELi8ELi32ELi8ELi8ELi32ELc78ELc67EKPKfS3_KPfEEvlllT_PT11_llS8_llS6_PT12_llPT13_lli.kd
    .uniform_work_group_size: 1
    .uses_dynamic_stack: false
    .vgpr_count:     58
    .vgpr_spill_count: 0
    .wavefront_size: 64
  - .agpr_count:     0
    .args:
      - .offset:         0
        .size:           8
        .value_kind:     by_value
      - .offset:         8
        .size:           8
        .value_kind:     by_value
      - .offset:         16
        .size:           8
        .value_kind:     by_value
      - .offset:         24
        .size:           4
        .value_kind:     by_value
      - .address_space:  global
        .offset:         32
        .size:           8
        .value_kind:     global_buffer
      - .offset:         40
        .size:           8
        .value_kind:     by_value
      - .offset:         48
        .size:           8
        .value_kind:     by_value
      - .address_space:  global
        .offset:         56
        .size:           8
        .value_kind:     global_buffer
      - .offset:         64
        .size:           8
        .value_kind:     by_value
      - .offset:         72
        .size:           8
        .value_kind:     by_value
      - .offset:         80
        .size:           4
        .value_kind:     by_value
      - .address_space:  global
        .offset:         88
        .size:           8
        .value_kind:     global_buffer
      - .offset:         96
        .size:           8
        .value_kind:     by_value
      - .offset:         104
        .size:           8
        .value_kind:     by_value
      - .address_space:  global
        .offset:         112
        .size:           8
        .value_kind:     global_buffer
      - .offset:         120
        .size:           8
        .value_kind:     by_value
      - .offset:         128
        .size:           8
        .value_kind:     by_value
      - .offset:         136
        .size:           4
        .value_kind:     by_value
    .group_segment_fixed_size: 2048
    .kernarg_segment_align: 8
    .kernarg_segment_size: 140
    .language:       OpenCL C
    .language_version:
      - 2
      - 0
    .max_flat_workgroup_size: 256
    .name:           _ZN12_GLOBAL__N_127rocblas_gemm_batched_kernelIfLi16ELi16ELi32ELi32ELi8ELi32ELi8ELi8ELi32ELc84ELc67EKPKfS3_KPfEEvlllT_PT11_llS8_llS6_PT12_llPT13_lli
    .private_segment_fixed_size: 0
    .sgpr_count:     42
    .sgpr_spill_count: 0
    .symbol:         _ZN12_GLOBAL__N_127rocblas_gemm_batched_kernelIfLi16ELi16ELi32ELi32ELi8ELi32ELi8ELi8ELi32ELc84ELc67EKPKfS3_KPfEEvlllT_PT11_llS8_llS6_PT12_llPT13_lli.kd
    .uniform_work_group_size: 1
    .uses_dynamic_stack: false
    .vgpr_count:     58
    .vgpr_spill_count: 0
    .wavefront_size: 64
  - .agpr_count:     0
    .args:
      - .offset:         0
        .size:           8
        .value_kind:     by_value
      - .offset:         8
        .size:           8
        .value_kind:     by_value
      - .offset:         16
        .size:           8
        .value_kind:     by_value
      - .offset:         24
        .size:           4
        .value_kind:     by_value
      - .address_space:  global
        .offset:         32
        .size:           8
        .value_kind:     global_buffer
      - .offset:         40
        .size:           8
        .value_kind:     by_value
      - .offset:         48
        .size:           8
        .value_kind:     by_value
      - .address_space:  global
        .offset:         56
        .size:           8
        .value_kind:     global_buffer
      - .offset:         64
        .size:           8
        .value_kind:     by_value
      - .offset:         72
        .size:           8
        .value_kind:     by_value
      - .offset:         80
        .size:           4
        .value_kind:     by_value
      - .address_space:  global
        .offset:         88
        .size:           8
        .value_kind:     global_buffer
      - .offset:         96
        .size:           8
        .value_kind:     by_value
      - .offset:         104
        .size:           8
        .value_kind:     by_value
      - .address_space:  global
        .offset:         112
        .size:           8
        .value_kind:     global_buffer
      - .offset:         120
        .size:           8
        .value_kind:     by_value
      - .offset:         128
        .size:           8
        .value_kind:     by_value
      - .offset:         136
        .size:           4
        .value_kind:     by_value
    .group_segment_fixed_size: 2048
    .kernarg_segment_align: 8
    .kernarg_segment_size: 140
    .language:       OpenCL C
    .language_version:
      - 2
      - 0
    .max_flat_workgroup_size: 256
    .name:           _ZN12_GLOBAL__N_135rocblas_gemm_batched_general_kernelIfLi16ELi16ELi32ELi32ELi8ELi32ELi8ELi8ELi32ELc78ELc78EKPKfS3_KPfEEvlllT_PT11_llS8_llS6_PT12_llPT13_lli
    .private_segment_fixed_size: 0
    .sgpr_count:     50
    .sgpr_spill_count: 0
    .symbol:         _ZN12_GLOBAL__N_135rocblas_gemm_batched_general_kernelIfLi16ELi16ELi32ELi32ELi8ELi32ELi8ELi8ELi32ELc78ELc78EKPKfS3_KPfEEvlllT_PT11_llS8_llS6_PT12_llPT13_lli.kd
    .uniform_work_group_size: 1
    .uses_dynamic_stack: false
    .vgpr_count:     54
    .vgpr_spill_count: 0
    .wavefront_size: 64
  - .agpr_count:     0
    .args:
      - .offset:         0
        .size:           8
        .value_kind:     by_value
      - .offset:         8
        .size:           8
        .value_kind:     by_value
      - .offset:         16
        .size:           8
        .value_kind:     by_value
      - .offset:         24
        .size:           4
        .value_kind:     by_value
      - .address_space:  global
        .offset:         32
        .size:           8
        .value_kind:     global_buffer
      - .offset:         40
        .size:           8
        .value_kind:     by_value
      - .offset:         48
        .size:           8
        .value_kind:     by_value
      - .address_space:  global
        .offset:         56
        .size:           8
        .value_kind:     global_buffer
      - .offset:         64
        .size:           8
        .value_kind:     by_value
      - .offset:         72
        .size:           8
        .value_kind:     by_value
      - .offset:         80
        .size:           4
        .value_kind:     by_value
      - .address_space:  global
        .offset:         88
        .size:           8
        .value_kind:     global_buffer
      - .offset:         96
        .size:           8
        .value_kind:     by_value
      - .offset:         104
        .size:           8
        .value_kind:     by_value
      - .address_space:  global
        .offset:         112
        .size:           8
        .value_kind:     global_buffer
      - .offset:         120
        .size:           8
        .value_kind:     by_value
      - .offset:         128
        .size:           8
        .value_kind:     by_value
      - .offset:         136
        .size:           4
        .value_kind:     by_value
    .group_segment_fixed_size: 2048
    .kernarg_segment_align: 8
    .kernarg_segment_size: 140
    .language:       OpenCL C
    .language_version:
      - 2
      - 0
    .max_flat_workgroup_size: 256
    .name:           _ZN12_GLOBAL__N_135rocblas_gemm_batched_general_kernelIfLi16ELi16ELi32ELi32ELi8ELi32ELi8ELi8ELi32ELc84ELc78EKPKfS3_KPfEEvlllT_PT11_llS8_llS6_PT12_llPT13_lli
    .private_segment_fixed_size: 0
    .sgpr_count:     48
    .sgpr_spill_count: 0
    .symbol:         _ZN12_GLOBAL__N_135rocblas_gemm_batched_general_kernelIfLi16ELi16ELi32ELi32ELi8ELi32ELi8ELi8ELi32ELc84ELc78EKPKfS3_KPfEEvlllT_PT11_llS8_llS6_PT12_llPT13_lli.kd
    .uniform_work_group_size: 1
    .uses_dynamic_stack: false
    .vgpr_count:     54
    .vgpr_spill_count: 0
    .wavefront_size: 64
  - .agpr_count:     0
    .args:
      - .offset:         0
        .size:           8
        .value_kind:     by_value
      - .offset:         8
        .size:           8
        .value_kind:     by_value
      - .offset:         16
        .size:           8
        .value_kind:     by_value
      - .offset:         24
        .size:           4
        .value_kind:     by_value
      - .address_space:  global
        .offset:         32
        .size:           8
        .value_kind:     global_buffer
      - .offset:         40
        .size:           8
        .value_kind:     by_value
      - .offset:         48
        .size:           8
        .value_kind:     by_value
      - .address_space:  global
        .offset:         56
        .size:           8
        .value_kind:     global_buffer
      - .offset:         64
        .size:           8
        .value_kind:     by_value
      - .offset:         72
        .size:           8
        .value_kind:     by_value
      - .offset:         80
        .size:           4
        .value_kind:     by_value
      - .address_space:  global
        .offset:         88
        .size:           8
        .value_kind:     global_buffer
      - .offset:         96
        .size:           8
        .value_kind:     by_value
      - .offset:         104
        .size:           8
        .value_kind:     by_value
      - .address_space:  global
        .offset:         112
        .size:           8
        .value_kind:     global_buffer
      - .offset:         120
        .size:           8
        .value_kind:     by_value
      - .offset:         128
        .size:           8
        .value_kind:     by_value
      - .offset:         136
        .size:           4
        .value_kind:     by_value
    .group_segment_fixed_size: 2048
    .kernarg_segment_align: 8
    .kernarg_segment_size: 140
    .language:       OpenCL C
    .language_version:
      - 2
      - 0
    .max_flat_workgroup_size: 256
    .name:           _ZN12_GLOBAL__N_135rocblas_gemm_batched_general_kernelIfLi16ELi16ELi32ELi32ELi8ELi32ELi8ELi8ELi32ELc78ELc84EKPKfS3_KPfEEvlllT_PT11_llS8_llS6_PT12_llPT13_lli
    .private_segment_fixed_size: 0
    .sgpr_count:     54
    .sgpr_spill_count: 0
    .symbol:         _ZN12_GLOBAL__N_135rocblas_gemm_batched_general_kernelIfLi16ELi16ELi32ELi32ELi8ELi32ELi8ELi8ELi32ELc78ELc84EKPKfS3_KPfEEvlllT_PT11_llS8_llS6_PT12_llPT13_lli.kd
    .uniform_work_group_size: 1
    .uses_dynamic_stack: false
    .vgpr_count:     54
    .vgpr_spill_count: 0
    .wavefront_size: 64
  - .agpr_count:     0
    .args:
      - .offset:         0
        .size:           8
        .value_kind:     by_value
      - .offset:         8
        .size:           8
        .value_kind:     by_value
      - .offset:         16
        .size:           8
        .value_kind:     by_value
      - .offset:         24
        .size:           4
        .value_kind:     by_value
      - .address_space:  global
        .offset:         32
        .size:           8
        .value_kind:     global_buffer
      - .offset:         40
        .size:           8
        .value_kind:     by_value
      - .offset:         48
        .size:           8
        .value_kind:     by_value
      - .address_space:  global
        .offset:         56
        .size:           8
        .value_kind:     global_buffer
      - .offset:         64
        .size:           8
        .value_kind:     by_value
      - .offset:         72
        .size:           8
        .value_kind:     by_value
      - .offset:         80
        .size:           4
        .value_kind:     by_value
      - .address_space:  global
        .offset:         88
        .size:           8
        .value_kind:     global_buffer
      - .offset:         96
        .size:           8
        .value_kind:     by_value
      - .offset:         104
        .size:           8
        .value_kind:     by_value
      - .address_space:  global
        .offset:         112
        .size:           8
        .value_kind:     global_buffer
      - .offset:         120
        .size:           8
        .value_kind:     by_value
      - .offset:         128
        .size:           8
        .value_kind:     by_value
      - .offset:         136
        .size:           4
        .value_kind:     by_value
    .group_segment_fixed_size: 2048
    .kernarg_segment_align: 8
    .kernarg_segment_size: 140
    .language:       OpenCL C
    .language_version:
      - 2
      - 0
    .max_flat_workgroup_size: 256
    .name:           _ZN12_GLOBAL__N_135rocblas_gemm_batched_general_kernelIfLi16ELi16ELi32ELi32ELi8ELi32ELi8ELi8ELi32ELc84ELc84EKPKfS3_KPfEEvlllT_PT11_llS8_llS6_PT12_llPT13_lli
    .private_segment_fixed_size: 0
    .sgpr_count:     52
    .sgpr_spill_count: 0
    .symbol:         _ZN12_GLOBAL__N_135rocblas_gemm_batched_general_kernelIfLi16ELi16ELi32ELi32ELi8ELi32ELi8ELi8ELi32ELc84ELc84EKPKfS3_KPfEEvlllT_PT11_llS8_llS6_PT12_llPT13_lli.kd
    .uniform_work_group_size: 1
    .uses_dynamic_stack: false
    .vgpr_count:     54
    .vgpr_spill_count: 0
    .wavefront_size: 64
  - .agpr_count:     0
    .args:
      - .offset:         0
        .size:           8
        .value_kind:     by_value
      - .offset:         8
        .size:           8
        .value_kind:     by_value
      - .offset:         16
        .size:           8
        .value_kind:     by_value
      - .offset:         24
        .size:           4
        .value_kind:     by_value
      - .address_space:  global
        .offset:         32
        .size:           8
        .value_kind:     global_buffer
      - .offset:         40
        .size:           8
        .value_kind:     by_value
      - .offset:         48
        .size:           8
        .value_kind:     by_value
      - .address_space:  global
        .offset:         56
        .size:           8
        .value_kind:     global_buffer
      - .offset:         64
        .size:           8
        .value_kind:     by_value
      - .offset:         72
        .size:           8
        .value_kind:     by_value
      - .offset:         80
        .size:           4
        .value_kind:     by_value
      - .address_space:  global
        .offset:         88
        .size:           8
        .value_kind:     global_buffer
      - .offset:         96
        .size:           8
        .value_kind:     by_value
      - .offset:         104
        .size:           8
        .value_kind:     by_value
      - .address_space:  global
        .offset:         112
        .size:           8
        .value_kind:     global_buffer
      - .offset:         120
        .size:           8
        .value_kind:     by_value
      - .offset:         128
        .size:           8
        .value_kind:     by_value
      - .offset:         136
        .size:           4
        .value_kind:     by_value
    .group_segment_fixed_size: 2048
    .kernarg_segment_align: 8
    .kernarg_segment_size: 140
    .language:       OpenCL C
    .language_version:
      - 2
      - 0
    .max_flat_workgroup_size: 256
    .name:           _ZN12_GLOBAL__N_135rocblas_gemm_batched_general_kernelIfLi16ELi16ELi32ELi32ELi8ELi32ELi8ELi8ELi32ELc67ELc67EKPKfS3_KPfEEvlllT_PT11_llS8_llS6_PT12_llPT13_lli
    .private_segment_fixed_size: 0
    .sgpr_count:     52
    .sgpr_spill_count: 0
    .symbol:         _ZN12_GLOBAL__N_135rocblas_gemm_batched_general_kernelIfLi16ELi16ELi32ELi32ELi8ELi32ELi8ELi8ELi32ELc67ELc67EKPKfS3_KPfEEvlllT_PT11_llS8_llS6_PT12_llPT13_lli.kd
    .uniform_work_group_size: 1
    .uses_dynamic_stack: false
    .vgpr_count:     54
    .vgpr_spill_count: 0
    .wavefront_size: 64
  - .agpr_count:     0
    .args:
      - .offset:         0
        .size:           8
        .value_kind:     by_value
      - .offset:         8
        .size:           8
        .value_kind:     by_value
      - .offset:         16
        .size:           8
        .value_kind:     by_value
      - .offset:         24
        .size:           4
        .value_kind:     by_value
      - .address_space:  global
        .offset:         32
        .size:           8
        .value_kind:     global_buffer
      - .offset:         40
        .size:           8
        .value_kind:     by_value
      - .offset:         48
        .size:           8
        .value_kind:     by_value
      - .address_space:  global
        .offset:         56
        .size:           8
        .value_kind:     global_buffer
      - .offset:         64
        .size:           8
        .value_kind:     by_value
      - .offset:         72
        .size:           8
        .value_kind:     by_value
      - .offset:         80
        .size:           4
        .value_kind:     by_value
      - .address_space:  global
        .offset:         88
        .size:           8
        .value_kind:     global_buffer
      - .offset:         96
        .size:           8
        .value_kind:     by_value
      - .offset:         104
        .size:           8
        .value_kind:     by_value
      - .address_space:  global
        .offset:         112
        .size:           8
        .value_kind:     global_buffer
      - .offset:         120
        .size:           8
        .value_kind:     by_value
      - .offset:         128
        .size:           8
        .value_kind:     by_value
      - .offset:         136
        .size:           4
        .value_kind:     by_value
    .group_segment_fixed_size: 2048
    .kernarg_segment_align: 8
    .kernarg_segment_size: 140
    .language:       OpenCL C
    .language_version:
      - 2
      - 0
    .max_flat_workgroup_size: 256
    .name:           _ZN12_GLOBAL__N_135rocblas_gemm_batched_general_kernelIfLi16ELi16ELi32ELi32ELi8ELi32ELi8ELi8ELi32ELc67ELc78EKPKfS3_KPfEEvlllT_PT11_llS8_llS6_PT12_llPT13_lli
    .private_segment_fixed_size: 0
    .sgpr_count:     48
    .sgpr_spill_count: 0
    .symbol:         _ZN12_GLOBAL__N_135rocblas_gemm_batched_general_kernelIfLi16ELi16ELi32ELi32ELi8ELi32ELi8ELi8ELi32ELc67ELc78EKPKfS3_KPfEEvlllT_PT11_llS8_llS6_PT12_llPT13_lli.kd
    .uniform_work_group_size: 1
    .uses_dynamic_stack: false
    .vgpr_count:     54
    .vgpr_spill_count: 0
    .wavefront_size: 64
  - .agpr_count:     0
    .args:
      - .offset:         0
        .size:           8
        .value_kind:     by_value
      - .offset:         8
        .size:           8
        .value_kind:     by_value
      - .offset:         16
        .size:           8
        .value_kind:     by_value
      - .offset:         24
        .size:           4
        .value_kind:     by_value
      - .address_space:  global
        .offset:         32
        .size:           8
        .value_kind:     global_buffer
      - .offset:         40
        .size:           8
        .value_kind:     by_value
      - .offset:         48
        .size:           8
        .value_kind:     by_value
      - .address_space:  global
        .offset:         56
        .size:           8
        .value_kind:     global_buffer
      - .offset:         64
        .size:           8
        .value_kind:     by_value
      - .offset:         72
        .size:           8
        .value_kind:     by_value
      - .offset:         80
        .size:           4
        .value_kind:     by_value
      - .address_space:  global
        .offset:         88
        .size:           8
        .value_kind:     global_buffer
      - .offset:         96
        .size:           8
        .value_kind:     by_value
      - .offset:         104
        .size:           8
        .value_kind:     by_value
      - .address_space:  global
        .offset:         112
        .size:           8
        .value_kind:     global_buffer
      - .offset:         120
        .size:           8
        .value_kind:     by_value
      - .offset:         128
        .size:           8
        .value_kind:     by_value
      - .offset:         136
        .size:           4
        .value_kind:     by_value
    .group_segment_fixed_size: 2048
    .kernarg_segment_align: 8
    .kernarg_segment_size: 140
    .language:       OpenCL C
    .language_version:
      - 2
      - 0
    .max_flat_workgroup_size: 256
    .name:           _ZN12_GLOBAL__N_135rocblas_gemm_batched_general_kernelIfLi16ELi16ELi32ELi32ELi8ELi32ELi8ELi8ELi32ELc67ELc84EKPKfS3_KPfEEvlllT_PT11_llS8_llS6_PT12_llPT13_lli
    .private_segment_fixed_size: 0
    .sgpr_count:     52
    .sgpr_spill_count: 0
    .symbol:         _ZN12_GLOBAL__N_135rocblas_gemm_batched_general_kernelIfLi16ELi16ELi32ELi32ELi8ELi32ELi8ELi8ELi32ELc67ELc84EKPKfS3_KPfEEvlllT_PT11_llS8_llS6_PT12_llPT13_lli.kd
    .uniform_work_group_size: 1
    .uses_dynamic_stack: false
    .vgpr_count:     54
    .vgpr_spill_count: 0
    .wavefront_size: 64
  - .agpr_count:     0
    .args:
      - .offset:         0
        .size:           8
        .value_kind:     by_value
      - .offset:         8
        .size:           8
        .value_kind:     by_value
      - .offset:         16
        .size:           8
        .value_kind:     by_value
      - .offset:         24
        .size:           4
        .value_kind:     by_value
      - .address_space:  global
        .offset:         32
        .size:           8
        .value_kind:     global_buffer
      - .offset:         40
        .size:           8
        .value_kind:     by_value
      - .offset:         48
        .size:           8
        .value_kind:     by_value
      - .address_space:  global
        .offset:         56
        .size:           8
        .value_kind:     global_buffer
      - .offset:         64
        .size:           8
        .value_kind:     by_value
      - .offset:         72
        .size:           8
        .value_kind:     by_value
      - .offset:         80
        .size:           4
        .value_kind:     by_value
      - .address_space:  global
        .offset:         88
        .size:           8
        .value_kind:     global_buffer
      - .offset:         96
        .size:           8
        .value_kind:     by_value
      - .offset:         104
        .size:           8
        .value_kind:     by_value
      - .address_space:  global
        .offset:         112
        .size:           8
        .value_kind:     global_buffer
      - .offset:         120
        .size:           8
        .value_kind:     by_value
      - .offset:         128
        .size:           8
        .value_kind:     by_value
      - .offset:         136
        .size:           4
        .value_kind:     by_value
    .group_segment_fixed_size: 2048
    .kernarg_segment_align: 8
    .kernarg_segment_size: 140
    .language:       OpenCL C
    .language_version:
      - 2
      - 0
    .max_flat_workgroup_size: 256
    .name:           _ZN12_GLOBAL__N_135rocblas_gemm_batched_general_kernelIfLi16ELi16ELi32ELi32ELi8ELi32ELi8ELi8ELi32ELc78ELc67EKPKfS3_KPfEEvlllT_PT11_llS8_llS6_PT12_llPT13_lli
    .private_segment_fixed_size: 0
    .sgpr_count:     54
    .sgpr_spill_count: 0
    .symbol:         _ZN12_GLOBAL__N_135rocblas_gemm_batched_general_kernelIfLi16ELi16ELi32ELi32ELi8ELi32ELi8ELi8ELi32ELc78ELc67EKPKfS3_KPfEEvlllT_PT11_llS8_llS6_PT12_llPT13_lli.kd
    .uniform_work_group_size: 1
    .uses_dynamic_stack: false
    .vgpr_count:     54
    .vgpr_spill_count: 0
    .wavefront_size: 64
  - .agpr_count:     0
    .args:
      - .offset:         0
        .size:           8
        .value_kind:     by_value
      - .offset:         8
        .size:           8
        .value_kind:     by_value
      - .offset:         16
        .size:           8
        .value_kind:     by_value
      - .offset:         24
        .size:           4
        .value_kind:     by_value
      - .address_space:  global
        .offset:         32
        .size:           8
        .value_kind:     global_buffer
      - .offset:         40
        .size:           8
        .value_kind:     by_value
      - .offset:         48
        .size:           8
        .value_kind:     by_value
      - .address_space:  global
        .offset:         56
        .size:           8
        .value_kind:     global_buffer
      - .offset:         64
        .size:           8
        .value_kind:     by_value
      - .offset:         72
        .size:           8
        .value_kind:     by_value
      - .offset:         80
        .size:           4
        .value_kind:     by_value
      - .address_space:  global
        .offset:         88
        .size:           8
        .value_kind:     global_buffer
      - .offset:         96
        .size:           8
        .value_kind:     by_value
      - .offset:         104
        .size:           8
        .value_kind:     by_value
      - .address_space:  global
        .offset:         112
        .size:           8
        .value_kind:     global_buffer
      - .offset:         120
        .size:           8
        .value_kind:     by_value
      - .offset:         128
        .size:           8
        .value_kind:     by_value
      - .offset:         136
        .size:           4
        .value_kind:     by_value
    .group_segment_fixed_size: 2048
    .kernarg_segment_align: 8
    .kernarg_segment_size: 140
    .language:       OpenCL C
    .language_version:
      - 2
      - 0
    .max_flat_workgroup_size: 256
    .name:           _ZN12_GLOBAL__N_135rocblas_gemm_batched_general_kernelIfLi16ELi16ELi32ELi32ELi8ELi32ELi8ELi8ELi32ELc84ELc67EKPKfS3_KPfEEvlllT_PT11_llS8_llS6_PT12_llPT13_lli
    .private_segment_fixed_size: 0
    .sgpr_count:     52
    .sgpr_spill_count: 0
    .symbol:         _ZN12_GLOBAL__N_135rocblas_gemm_batched_general_kernelIfLi16ELi16ELi32ELi32ELi8ELi32ELi8ELi8ELi32ELc84ELc67EKPKfS3_KPfEEvlllT_PT11_llS8_llS6_PT12_llPT13_lli.kd
    .uniform_work_group_size: 1
    .uses_dynamic_stack: false
    .vgpr_count:     54
    .vgpr_spill_count: 0
    .wavefront_size: 64
  - .agpr_count:     0
    .args:
      - .offset:         0
        .size:           4
        .value_kind:     by_value
      - .offset:         4
        .size:           4
        .value_kind:     by_value
      - .offset:         8
        .size:           8
        .value_kind:     by_value
      - .address_space:  global
        .offset:         16
        .size:           8
        .value_kind:     global_buffer
      - .offset:         24
        .size:           8
        .value_kind:     by_value
      - .offset:         32
        .size:           8
        .value_kind:     by_value
      - .offset:         40
        .size:           8
        .value_kind:     by_value
      - .offset:         48
        .size:           4
        .value_kind:     by_value
    .group_segment_fixed_size: 0
    .kernarg_segment_align: 8
    .kernarg_segment_size: 52
    .language:       OpenCL C
    .language_version:
      - 2
      - 0
    .max_flat_workgroup_size: 1024
    .name:           _ZN12_GLOBAL__N_125rocblas_gemm_scale_kernelILi32ELi32EdPKPdEEviiT1_T2_llli
    .private_segment_fixed_size: 0
    .sgpr_count:     22
    .sgpr_spill_count: 0
    .symbol:         _ZN12_GLOBAL__N_125rocblas_gemm_scale_kernelILi32ELi32EdPKPdEEviiT1_T2_llli.kd
    .uniform_work_group_size: 1
    .uses_dynamic_stack: false
    .vgpr_count:     8
    .vgpr_spill_count: 0
    .wavefront_size: 64
  - .agpr_count:     0
    .args:
      - .offset:         0
        .size:           4
        .value_kind:     by_value
      - .offset:         4
        .size:           4
        .value_kind:     by_value
      - .offset:         8
        .size:           8
        .value_kind:     by_value
      - .address_space:  global
        .offset:         16
        .size:           8
        .value_kind:     global_buffer
      - .offset:         24
        .size:           8
        .value_kind:     by_value
      - .offset:         32
        .size:           8
        .value_kind:     by_value
      - .offset:         40
        .size:           8
        .value_kind:     by_value
      - .address_space:  global
        .offset:         48
        .size:           8
        .value_kind:     global_buffer
      - .offset:         56
        .size:           8
        .value_kind:     by_value
      - .offset:         64
        .size:           8
        .value_kind:     by_value
      - .offset:         72
        .size:           8
        .value_kind:     by_value
      - .offset:         80
        .size:           4
        .value_kind:     by_value
    .group_segment_fixed_size: 0
    .kernarg_segment_align: 8
    .kernarg_segment_size: 84
    .language:       OpenCL C
    .language_version:
      - 2
      - 0
    .max_flat_workgroup_size: 1024
    .name:           _ZN12_GLOBAL__N_120gemm_ex_scale_kernelILi32ELi32EdPKPKdPKPdEEviiT1_T2_lllT3_llli
    .private_segment_fixed_size: 0
    .sgpr_count:     28
    .sgpr_spill_count: 0
    .symbol:         _ZN12_GLOBAL__N_120gemm_ex_scale_kernelILi32ELi32EdPKPKdPKPdEEviiT1_T2_lllT3_llli.kd
    .uniform_work_group_size: 1
    .uses_dynamic_stack: false
    .vgpr_count:     10
    .vgpr_spill_count: 0
    .wavefront_size: 64
  - .agpr_count:     0
    .args:
      - .offset:         0
        .size:           8
        .value_kind:     by_value
      - .offset:         8
        .size:           8
        .value_kind:     by_value
      - .offset:         16
        .size:           8
        .value_kind:     by_value
      - .offset:         24
        .size:           8
        .value_kind:     by_value
      - .address_space:  global
        .offset:         32
        .size:           8
        .value_kind:     global_buffer
      - .offset:         40
        .size:           8
        .value_kind:     by_value
      - .offset:         48
        .size:           8
        .value_kind:     by_value
      - .address_space:  global
        .offset:         56
        .size:           8
        .value_kind:     global_buffer
      - .offset:         64
        .size:           8
        .value_kind:     by_value
      - .offset:         72
        .size:           8
        .value_kind:     by_value
      - .offset:         80
        .size:           8
        .value_kind:     by_value
      - .address_space:  global
        .offset:         88
        .size:           8
        .value_kind:     global_buffer
      - .offset:         96
        .size:           8
        .value_kind:     by_value
      - .offset:         104
        .size:           8
        .value_kind:     by_value
      - .address_space:  global
        .offset:         112
        .size:           8
        .value_kind:     global_buffer
      - .offset:         120
        .size:           8
        .value_kind:     by_value
      - .offset:         128
        .size:           8
        .value_kind:     by_value
      - .offset:         136
        .size:           4
        .value_kind:     by_value
    .group_segment_fixed_size: 4096
    .kernarg_segment_align: 8
    .kernarg_segment_size: 140
    .language:       OpenCL C
    .language_version:
      - 2
      - 0
    .max_flat_workgroup_size: 256
    .name:           _ZN12_GLOBAL__N_127rocblas_gemm_batched_kernelIdLi16ELi16ELi64ELi64ELi4ELi64ELi4ELi4ELi64ELc78ELc78EKPKdS3_KPdEEvlllT_PT11_llS8_llS6_PT12_llPT13_lli
    .private_segment_fixed_size: 0
    .sgpr_count:     50
    .sgpr_spill_count: 0
    .symbol:         _ZN12_GLOBAL__N_127rocblas_gemm_batched_kernelIdLi16ELi16ELi64ELi64ELi4ELi64ELi4ELi4ELi64ELc78ELc78EKPKdS3_KPdEEvlllT_PT11_llS8_llS6_PT12_llPT13_lli.kd
    .uniform_work_group_size: 1
    .uses_dynamic_stack: false
    .vgpr_count:     86
    .vgpr_spill_count: 0
    .wavefront_size: 64
  - .agpr_count:     0
    .args:
      - .offset:         0
        .size:           8
        .value_kind:     by_value
      - .offset:         8
        .size:           8
        .value_kind:     by_value
      - .offset:         16
        .size:           8
        .value_kind:     by_value
      - .offset:         24
        .size:           8
        .value_kind:     by_value
      - .address_space:  global
        .offset:         32
        .size:           8
        .value_kind:     global_buffer
      - .offset:         40
        .size:           8
        .value_kind:     by_value
      - .offset:         48
        .size:           8
        .value_kind:     by_value
      - .address_space:  global
        .offset:         56
        .size:           8
        .value_kind:     global_buffer
      - .offset:         64
        .size:           8
        .value_kind:     by_value
      - .offset:         72
        .size:           8
        .value_kind:     by_value
      - .offset:         80
        .size:           8
        .value_kind:     by_value
      - .address_space:  global
        .offset:         88
        .size:           8
        .value_kind:     global_buffer
      - .offset:         96
        .size:           8
        .value_kind:     by_value
      - .offset:         104
        .size:           8
        .value_kind:     by_value
      - .address_space:  global
        .offset:         112
        .size:           8
        .value_kind:     global_buffer
      - .offset:         120
        .size:           8
        .value_kind:     by_value
      - .offset:         128
        .size:           8
        .value_kind:     by_value
      - .offset:         136
        .size:           4
        .value_kind:     by_value
    .group_segment_fixed_size: 4096
    .kernarg_segment_align: 8
    .kernarg_segment_size: 140
    .language:       OpenCL C
    .language_version:
      - 2
      - 0
    .max_flat_workgroup_size: 256
    .name:           _ZN12_GLOBAL__N_127rocblas_gemm_batched_kernelIdLi16ELi16ELi64ELi64ELi4ELi64ELi4ELi4ELi64ELc84ELc78EKPKdS3_KPdEEvlllT_PT11_llS8_llS6_PT12_llPT13_lli
    .private_segment_fixed_size: 0
    .sgpr_count:     50
    .sgpr_spill_count: 0
    .symbol:         _ZN12_GLOBAL__N_127rocblas_gemm_batched_kernelIdLi16ELi16ELi64ELi64ELi4ELi64ELi4ELi4ELi64ELc84ELc78EKPKdS3_KPdEEvlllT_PT11_llS8_llS6_PT12_llPT13_lli.kd
    .uniform_work_group_size: 1
    .uses_dynamic_stack: false
    .vgpr_count:     86
    .vgpr_spill_count: 0
    .wavefront_size: 64
  - .agpr_count:     0
    .args:
      - .offset:         0
        .size:           8
        .value_kind:     by_value
      - .offset:         8
        .size:           8
        .value_kind:     by_value
      - .offset:         16
        .size:           8
        .value_kind:     by_value
      - .offset:         24
        .size:           8
        .value_kind:     by_value
      - .address_space:  global
        .offset:         32
        .size:           8
        .value_kind:     global_buffer
      - .offset:         40
        .size:           8
        .value_kind:     by_value
      - .offset:         48
        .size:           8
        .value_kind:     by_value
      - .address_space:  global
        .offset:         56
        .size:           8
        .value_kind:     global_buffer
      - .offset:         64
        .size:           8
        .value_kind:     by_value
      - .offset:         72
        .size:           8
        .value_kind:     by_value
      - .offset:         80
        .size:           8
        .value_kind:     by_value
      - .address_space:  global
        .offset:         88
        .size:           8
        .value_kind:     global_buffer
      - .offset:         96
        .size:           8
        .value_kind:     by_value
      - .offset:         104
        .size:           8
        .value_kind:     by_value
      - .address_space:  global
        .offset:         112
        .size:           8
        .value_kind:     global_buffer
      - .offset:         120
        .size:           8
        .value_kind:     by_value
      - .offset:         128
        .size:           8
        .value_kind:     by_value
      - .offset:         136
        .size:           4
        .value_kind:     by_value
    .group_segment_fixed_size: 4096
    .kernarg_segment_align: 8
    .kernarg_segment_size: 140
    .language:       OpenCL C
    .language_version:
      - 2
      - 0
    .max_flat_workgroup_size: 256
    .name:           _ZN12_GLOBAL__N_127rocblas_gemm_batched_kernelIdLi16ELi16ELi64ELi64ELi4ELi64ELi4ELi4ELi64ELc78ELc84EKPKdS3_KPdEEvlllT_PT11_llS8_llS6_PT12_llPT13_lli
    .private_segment_fixed_size: 0
    .sgpr_count:     50
    .sgpr_spill_count: 0
    .symbol:         _ZN12_GLOBAL__N_127rocblas_gemm_batched_kernelIdLi16ELi16ELi64ELi64ELi4ELi64ELi4ELi4ELi64ELc78ELc84EKPKdS3_KPdEEvlllT_PT11_llS8_llS6_PT12_llPT13_lli.kd
    .uniform_work_group_size: 1
    .uses_dynamic_stack: false
    .vgpr_count:     86
    .vgpr_spill_count: 0
    .wavefront_size: 64
  - .agpr_count:     0
    .args:
      - .offset:         0
        .size:           8
        .value_kind:     by_value
      - .offset:         8
        .size:           8
        .value_kind:     by_value
      - .offset:         16
        .size:           8
        .value_kind:     by_value
      - .offset:         24
        .size:           8
        .value_kind:     by_value
      - .address_space:  global
        .offset:         32
        .size:           8
        .value_kind:     global_buffer
      - .offset:         40
        .size:           8
        .value_kind:     by_value
      - .offset:         48
        .size:           8
        .value_kind:     by_value
      - .address_space:  global
        .offset:         56
        .size:           8
        .value_kind:     global_buffer
      - .offset:         64
        .size:           8
        .value_kind:     by_value
      - .offset:         72
        .size:           8
        .value_kind:     by_value
      - .offset:         80
        .size:           8
        .value_kind:     by_value
      - .address_space:  global
        .offset:         88
        .size:           8
        .value_kind:     global_buffer
      - .offset:         96
        .size:           8
        .value_kind:     by_value
      - .offset:         104
        .size:           8
        .value_kind:     by_value
      - .address_space:  global
        .offset:         112
        .size:           8
        .value_kind:     global_buffer
      - .offset:         120
        .size:           8
        .value_kind:     by_value
      - .offset:         128
        .size:           8
        .value_kind:     by_value
      - .offset:         136
        .size:           4
        .value_kind:     by_value
    .group_segment_fixed_size: 4096
    .kernarg_segment_align: 8
    .kernarg_segment_size: 140
    .language:       OpenCL C
    .language_version:
      - 2
      - 0
    .max_flat_workgroup_size: 256
    .name:           _ZN12_GLOBAL__N_127rocblas_gemm_batched_kernelIdLi16ELi16ELi64ELi64ELi4ELi64ELi4ELi4ELi64ELc84ELc84EKPKdS3_KPdEEvlllT_PT11_llS8_llS6_PT12_llPT13_lli
    .private_segment_fixed_size: 0
    .sgpr_count:     50
    .sgpr_spill_count: 0
    .symbol:         _ZN12_GLOBAL__N_127rocblas_gemm_batched_kernelIdLi16ELi16ELi64ELi64ELi4ELi64ELi4ELi4ELi64ELc84ELc84EKPKdS3_KPdEEvlllT_PT11_llS8_llS6_PT12_llPT13_lli.kd
    .uniform_work_group_size: 1
    .uses_dynamic_stack: false
    .vgpr_count:     86
    .vgpr_spill_count: 0
    .wavefront_size: 64
  - .agpr_count:     0
    .args:
      - .offset:         0
        .size:           8
        .value_kind:     by_value
      - .offset:         8
        .size:           8
        .value_kind:     by_value
      - .offset:         16
        .size:           8
        .value_kind:     by_value
      - .offset:         24
        .size:           8
        .value_kind:     by_value
      - .address_space:  global
        .offset:         32
        .size:           8
        .value_kind:     global_buffer
      - .offset:         40
        .size:           8
        .value_kind:     by_value
      - .offset:         48
        .size:           8
        .value_kind:     by_value
      - .address_space:  global
        .offset:         56
        .size:           8
        .value_kind:     global_buffer
      - .offset:         64
        .size:           8
        .value_kind:     by_value
      - .offset:         72
        .size:           8
        .value_kind:     by_value
      - .offset:         80
        .size:           8
        .value_kind:     by_value
      - .address_space:  global
        .offset:         88
        .size:           8
        .value_kind:     global_buffer
      - .offset:         96
        .size:           8
        .value_kind:     by_value
      - .offset:         104
        .size:           8
        .value_kind:     by_value
      - .address_space:  global
        .offset:         112
        .size:           8
        .value_kind:     global_buffer
      - .offset:         120
        .size:           8
        .value_kind:     by_value
      - .offset:         128
        .size:           8
        .value_kind:     by_value
      - .offset:         136
        .size:           4
        .value_kind:     by_value
    .group_segment_fixed_size: 4096
    .kernarg_segment_align: 8
    .kernarg_segment_size: 140
    .language:       OpenCL C
    .language_version:
      - 2
      - 0
    .max_flat_workgroup_size: 256
    .name:           _ZN12_GLOBAL__N_127rocblas_gemm_batched_kernelIdLi16ELi16ELi64ELi64ELi4ELi64ELi4ELi4ELi64ELc67ELc67EKPKdS3_KPdEEvlllT_PT11_llS8_llS6_PT12_llPT13_lli
    .private_segment_fixed_size: 0
    .sgpr_count:     50
    .sgpr_spill_count: 0
    .symbol:         _ZN12_GLOBAL__N_127rocblas_gemm_batched_kernelIdLi16ELi16ELi64ELi64ELi4ELi64ELi4ELi4ELi64ELc67ELc67EKPKdS3_KPdEEvlllT_PT11_llS8_llS6_PT12_llPT13_lli.kd
    .uniform_work_group_size: 1
    .uses_dynamic_stack: false
    .vgpr_count:     86
    .vgpr_spill_count: 0
    .wavefront_size: 64
  - .agpr_count:     0
    .args:
      - .offset:         0
        .size:           8
        .value_kind:     by_value
      - .offset:         8
        .size:           8
        .value_kind:     by_value
      - .offset:         16
        .size:           8
        .value_kind:     by_value
      - .offset:         24
        .size:           8
        .value_kind:     by_value
      - .address_space:  global
        .offset:         32
        .size:           8
        .value_kind:     global_buffer
      - .offset:         40
        .size:           8
        .value_kind:     by_value
      - .offset:         48
        .size:           8
        .value_kind:     by_value
      - .address_space:  global
        .offset:         56
        .size:           8
        .value_kind:     global_buffer
      - .offset:         64
        .size:           8
        .value_kind:     by_value
      - .offset:         72
        .size:           8
        .value_kind:     by_value
      - .offset:         80
        .size:           8
        .value_kind:     by_value
      - .address_space:  global
        .offset:         88
        .size:           8
        .value_kind:     global_buffer
      - .offset:         96
        .size:           8
        .value_kind:     by_value
      - .offset:         104
        .size:           8
        .value_kind:     by_value
      - .address_space:  global
        .offset:         112
        .size:           8
        .value_kind:     global_buffer
      - .offset:         120
        .size:           8
        .value_kind:     by_value
      - .offset:         128
        .size:           8
        .value_kind:     by_value
      - .offset:         136
        .size:           4
        .value_kind:     by_value
    .group_segment_fixed_size: 4096
    .kernarg_segment_align: 8
    .kernarg_segment_size: 140
    .language:       OpenCL C
    .language_version:
      - 2
      - 0
    .max_flat_workgroup_size: 256
    .name:           _ZN12_GLOBAL__N_127rocblas_gemm_batched_kernelIdLi16ELi16ELi64ELi64ELi4ELi64ELi4ELi4ELi64ELc67ELc78EKPKdS3_KPdEEvlllT_PT11_llS8_llS6_PT12_llPT13_lli
    .private_segment_fixed_size: 0
    .sgpr_count:     50
    .sgpr_spill_count: 0
    .symbol:         _ZN12_GLOBAL__N_127rocblas_gemm_batched_kernelIdLi16ELi16ELi64ELi64ELi4ELi64ELi4ELi4ELi64ELc67ELc78EKPKdS3_KPdEEvlllT_PT11_llS8_llS6_PT12_llPT13_lli.kd
    .uniform_work_group_size: 1
    .uses_dynamic_stack: false
    .vgpr_count:     86
    .vgpr_spill_count: 0
    .wavefront_size: 64
  - .agpr_count:     0
    .args:
      - .offset:         0
        .size:           8
        .value_kind:     by_value
      - .offset:         8
        .size:           8
        .value_kind:     by_value
      - .offset:         16
        .size:           8
        .value_kind:     by_value
      - .offset:         24
        .size:           8
        .value_kind:     by_value
      - .address_space:  global
        .offset:         32
        .size:           8
        .value_kind:     global_buffer
      - .offset:         40
        .size:           8
        .value_kind:     by_value
      - .offset:         48
        .size:           8
        .value_kind:     by_value
      - .address_space:  global
        .offset:         56
        .size:           8
        .value_kind:     global_buffer
      - .offset:         64
        .size:           8
        .value_kind:     by_value
      - .offset:         72
        .size:           8
        .value_kind:     by_value
      - .offset:         80
        .size:           8
        .value_kind:     by_value
      - .address_space:  global
        .offset:         88
        .size:           8
        .value_kind:     global_buffer
      - .offset:         96
        .size:           8
        .value_kind:     by_value
      - .offset:         104
        .size:           8
        .value_kind:     by_value
      - .address_space:  global
        .offset:         112
        .size:           8
        .value_kind:     global_buffer
      - .offset:         120
        .size:           8
        .value_kind:     by_value
      - .offset:         128
        .size:           8
        .value_kind:     by_value
      - .offset:         136
        .size:           4
        .value_kind:     by_value
    .group_segment_fixed_size: 4096
    .kernarg_segment_align: 8
    .kernarg_segment_size: 140
    .language:       OpenCL C
    .language_version:
      - 2
      - 0
    .max_flat_workgroup_size: 256
    .name:           _ZN12_GLOBAL__N_127rocblas_gemm_batched_kernelIdLi16ELi16ELi64ELi64ELi4ELi64ELi4ELi4ELi64ELc67ELc84EKPKdS3_KPdEEvlllT_PT11_llS8_llS6_PT12_llPT13_lli
    .private_segment_fixed_size: 0
    .sgpr_count:     50
    .sgpr_spill_count: 0
    .symbol:         _ZN12_GLOBAL__N_127rocblas_gemm_batched_kernelIdLi16ELi16ELi64ELi64ELi4ELi64ELi4ELi4ELi64ELc67ELc84EKPKdS3_KPdEEvlllT_PT11_llS8_llS6_PT12_llPT13_lli.kd
    .uniform_work_group_size: 1
    .uses_dynamic_stack: false
    .vgpr_count:     86
    .vgpr_spill_count: 0
    .wavefront_size: 64
  - .agpr_count:     0
    .args:
      - .offset:         0
        .size:           8
        .value_kind:     by_value
      - .offset:         8
        .size:           8
        .value_kind:     by_value
      - .offset:         16
        .size:           8
        .value_kind:     by_value
      - .offset:         24
        .size:           8
        .value_kind:     by_value
      - .address_space:  global
        .offset:         32
        .size:           8
        .value_kind:     global_buffer
      - .offset:         40
        .size:           8
        .value_kind:     by_value
      - .offset:         48
        .size:           8
        .value_kind:     by_value
      - .address_space:  global
        .offset:         56
        .size:           8
        .value_kind:     global_buffer
      - .offset:         64
        .size:           8
        .value_kind:     by_value
      - .offset:         72
        .size:           8
        .value_kind:     by_value
      - .offset:         80
        .size:           8
        .value_kind:     by_value
      - .address_space:  global
        .offset:         88
        .size:           8
        .value_kind:     global_buffer
      - .offset:         96
        .size:           8
        .value_kind:     by_value
      - .offset:         104
        .size:           8
        .value_kind:     by_value
      - .address_space:  global
        .offset:         112
        .size:           8
        .value_kind:     global_buffer
      - .offset:         120
        .size:           8
        .value_kind:     by_value
      - .offset:         128
        .size:           8
        .value_kind:     by_value
      - .offset:         136
        .size:           4
        .value_kind:     by_value
    .group_segment_fixed_size: 4096
    .kernarg_segment_align: 8
    .kernarg_segment_size: 140
    .language:       OpenCL C
    .language_version:
      - 2
      - 0
    .max_flat_workgroup_size: 256
    .name:           _ZN12_GLOBAL__N_127rocblas_gemm_batched_kernelIdLi16ELi16ELi64ELi64ELi4ELi64ELi4ELi4ELi64ELc78ELc67EKPKdS3_KPdEEvlllT_PT11_llS8_llS6_PT12_llPT13_lli
    .private_segment_fixed_size: 0
    .sgpr_count:     50
    .sgpr_spill_count: 0
    .symbol:         _ZN12_GLOBAL__N_127rocblas_gemm_batched_kernelIdLi16ELi16ELi64ELi64ELi4ELi64ELi4ELi4ELi64ELc78ELc67EKPKdS3_KPdEEvlllT_PT11_llS8_llS6_PT12_llPT13_lli.kd
    .uniform_work_group_size: 1
    .uses_dynamic_stack: false
    .vgpr_count:     86
    .vgpr_spill_count: 0
    .wavefront_size: 64
  - .agpr_count:     0
    .args:
      - .offset:         0
        .size:           8
        .value_kind:     by_value
      - .offset:         8
        .size:           8
        .value_kind:     by_value
      - .offset:         16
        .size:           8
        .value_kind:     by_value
      - .offset:         24
        .size:           8
        .value_kind:     by_value
      - .address_space:  global
        .offset:         32
        .size:           8
        .value_kind:     global_buffer
      - .offset:         40
        .size:           8
        .value_kind:     by_value
      - .offset:         48
        .size:           8
        .value_kind:     by_value
      - .address_space:  global
        .offset:         56
        .size:           8
        .value_kind:     global_buffer
      - .offset:         64
        .size:           8
        .value_kind:     by_value
      - .offset:         72
        .size:           8
        .value_kind:     by_value
      - .offset:         80
        .size:           8
        .value_kind:     by_value
      - .address_space:  global
        .offset:         88
        .size:           8
        .value_kind:     global_buffer
      - .offset:         96
        .size:           8
        .value_kind:     by_value
      - .offset:         104
        .size:           8
        .value_kind:     by_value
      - .address_space:  global
        .offset:         112
        .size:           8
        .value_kind:     global_buffer
      - .offset:         120
        .size:           8
        .value_kind:     by_value
      - .offset:         128
        .size:           8
        .value_kind:     by_value
      - .offset:         136
        .size:           4
        .value_kind:     by_value
    .group_segment_fixed_size: 4096
    .kernarg_segment_align: 8
    .kernarg_segment_size: 140
    .language:       OpenCL C
    .language_version:
      - 2
      - 0
    .max_flat_workgroup_size: 256
    .name:           _ZN12_GLOBAL__N_127rocblas_gemm_batched_kernelIdLi16ELi16ELi64ELi64ELi4ELi64ELi4ELi4ELi64ELc84ELc67EKPKdS3_KPdEEvlllT_PT11_llS8_llS6_PT12_llPT13_lli
    .private_segment_fixed_size: 0
    .sgpr_count:     50
    .sgpr_spill_count: 0
    .symbol:         _ZN12_GLOBAL__N_127rocblas_gemm_batched_kernelIdLi16ELi16ELi64ELi64ELi4ELi64ELi4ELi4ELi64ELc84ELc67EKPKdS3_KPdEEvlllT_PT11_llS8_llS6_PT12_llPT13_lli.kd
    .uniform_work_group_size: 1
    .uses_dynamic_stack: false
    .vgpr_count:     86
    .vgpr_spill_count: 0
    .wavefront_size: 64
  - .agpr_count:     0
    .args:
      - .offset:         0
        .size:           8
        .value_kind:     by_value
      - .offset:         8
        .size:           8
        .value_kind:     by_value
      - .offset:         16
        .size:           8
        .value_kind:     by_value
      - .offset:         24
        .size:           8
        .value_kind:     by_value
      - .address_space:  global
        .offset:         32
        .size:           8
        .value_kind:     global_buffer
      - .offset:         40
        .size:           8
        .value_kind:     by_value
      - .offset:         48
        .size:           8
        .value_kind:     by_value
      - .address_space:  global
        .offset:         56
        .size:           8
        .value_kind:     global_buffer
      - .offset:         64
        .size:           8
        .value_kind:     by_value
      - .offset:         72
        .size:           8
        .value_kind:     by_value
      - .offset:         80
        .size:           8
        .value_kind:     by_value
      - .address_space:  global
        .offset:         88
        .size:           8
        .value_kind:     global_buffer
      - .offset:         96
        .size:           8
        .value_kind:     by_value
      - .offset:         104
        .size:           8
        .value_kind:     by_value
      - .address_space:  global
        .offset:         112
        .size:           8
        .value_kind:     global_buffer
      - .offset:         120
        .size:           8
        .value_kind:     by_value
      - .offset:         128
        .size:           8
        .value_kind:     by_value
      - .offset:         136
        .size:           4
        .value_kind:     by_value
    .group_segment_fixed_size: 4096
    .kernarg_segment_align: 8
    .kernarg_segment_size: 140
    .language:       OpenCL C
    .language_version:
      - 2
      - 0
    .max_flat_workgroup_size: 256
    .name:           _ZN12_GLOBAL__N_127rocblas_gemm_batched_kernelIdLi16ELi16ELi32ELi32ELi8ELi32ELi8ELi8ELi32ELc78ELc78EKPKdS3_KPdEEvlllT_PT11_llS8_llS6_PT12_llPT13_lli
    .private_segment_fixed_size: 0
    .sgpr_count:     50
    .sgpr_spill_count: 0
    .symbol:         _ZN12_GLOBAL__N_127rocblas_gemm_batched_kernelIdLi16ELi16ELi32ELi32ELi8ELi32ELi8ELi8ELi32ELc78ELc78EKPKdS3_KPdEEvlllT_PT11_llS8_llS6_PT12_llPT13_lli.kd
    .uniform_work_group_size: 1
    .uses_dynamic_stack: false
    .vgpr_count:     62
    .vgpr_spill_count: 0
    .wavefront_size: 64
  - .agpr_count:     0
    .args:
      - .offset:         0
        .size:           8
        .value_kind:     by_value
      - .offset:         8
        .size:           8
        .value_kind:     by_value
      - .offset:         16
        .size:           8
        .value_kind:     by_value
      - .offset:         24
        .size:           8
        .value_kind:     by_value
      - .address_space:  global
        .offset:         32
        .size:           8
        .value_kind:     global_buffer
      - .offset:         40
        .size:           8
        .value_kind:     by_value
      - .offset:         48
        .size:           8
        .value_kind:     by_value
      - .address_space:  global
        .offset:         56
        .size:           8
        .value_kind:     global_buffer
      - .offset:         64
        .size:           8
        .value_kind:     by_value
      - .offset:         72
        .size:           8
        .value_kind:     by_value
      - .offset:         80
        .size:           8
        .value_kind:     by_value
      - .address_space:  global
        .offset:         88
        .size:           8
        .value_kind:     global_buffer
      - .offset:         96
        .size:           8
        .value_kind:     by_value
      - .offset:         104
        .size:           8
        .value_kind:     by_value
      - .address_space:  global
        .offset:         112
        .size:           8
        .value_kind:     global_buffer
      - .offset:         120
        .size:           8
        .value_kind:     by_value
      - .offset:         128
        .size:           8
        .value_kind:     by_value
      - .offset:         136
        .size:           4
        .value_kind:     by_value
    .group_segment_fixed_size: 4096
    .kernarg_segment_align: 8
    .kernarg_segment_size: 140
    .language:       OpenCL C
    .language_version:
      - 2
      - 0
    .max_flat_workgroup_size: 256
    .name:           _ZN12_GLOBAL__N_127rocblas_gemm_batched_kernelIdLi16ELi16ELi32ELi32ELi8ELi32ELi8ELi8ELi32ELc84ELc78EKPKdS3_KPdEEvlllT_PT11_llS8_llS6_PT12_llPT13_lli
    .private_segment_fixed_size: 0
    .sgpr_count:     50
    .sgpr_spill_count: 0
    .symbol:         _ZN12_GLOBAL__N_127rocblas_gemm_batched_kernelIdLi16ELi16ELi32ELi32ELi8ELi32ELi8ELi8ELi32ELc84ELc78EKPKdS3_KPdEEvlllT_PT11_llS8_llS6_PT12_llPT13_lli.kd
    .uniform_work_group_size: 1
    .uses_dynamic_stack: false
    .vgpr_count:     62
    .vgpr_spill_count: 0
    .wavefront_size: 64
  - .agpr_count:     0
    .args:
      - .offset:         0
        .size:           8
        .value_kind:     by_value
      - .offset:         8
        .size:           8
        .value_kind:     by_value
      - .offset:         16
        .size:           8
        .value_kind:     by_value
      - .offset:         24
        .size:           8
        .value_kind:     by_value
      - .address_space:  global
        .offset:         32
        .size:           8
        .value_kind:     global_buffer
      - .offset:         40
        .size:           8
        .value_kind:     by_value
      - .offset:         48
        .size:           8
        .value_kind:     by_value
      - .address_space:  global
        .offset:         56
        .size:           8
        .value_kind:     global_buffer
      - .offset:         64
        .size:           8
        .value_kind:     by_value
      - .offset:         72
        .size:           8
        .value_kind:     by_value
      - .offset:         80
        .size:           8
        .value_kind:     by_value
      - .address_space:  global
        .offset:         88
        .size:           8
        .value_kind:     global_buffer
      - .offset:         96
        .size:           8
        .value_kind:     by_value
      - .offset:         104
        .size:           8
        .value_kind:     by_value
      - .address_space:  global
        .offset:         112
        .size:           8
        .value_kind:     global_buffer
      - .offset:         120
        .size:           8
        .value_kind:     by_value
      - .offset:         128
        .size:           8
        .value_kind:     by_value
      - .offset:         136
        .size:           4
        .value_kind:     by_value
    .group_segment_fixed_size: 4096
    .kernarg_segment_align: 8
    .kernarg_segment_size: 140
    .language:       OpenCL C
    .language_version:
      - 2
      - 0
    .max_flat_workgroup_size: 256
    .name:           _ZN12_GLOBAL__N_127rocblas_gemm_batched_kernelIdLi16ELi16ELi32ELi32ELi8ELi32ELi8ELi8ELi32ELc78ELc84EKPKdS3_KPdEEvlllT_PT11_llS8_llS6_PT12_llPT13_lli
    .private_segment_fixed_size: 0
    .sgpr_count:     50
    .sgpr_spill_count: 0
    .symbol:         _ZN12_GLOBAL__N_127rocblas_gemm_batched_kernelIdLi16ELi16ELi32ELi32ELi8ELi32ELi8ELi8ELi32ELc78ELc84EKPKdS3_KPdEEvlllT_PT11_llS8_llS6_PT12_llPT13_lli.kd
    .uniform_work_group_size: 1
    .uses_dynamic_stack: false
    .vgpr_count:     62
    .vgpr_spill_count: 0
    .wavefront_size: 64
  - .agpr_count:     0
    .args:
      - .offset:         0
        .size:           8
        .value_kind:     by_value
      - .offset:         8
        .size:           8
        .value_kind:     by_value
      - .offset:         16
        .size:           8
        .value_kind:     by_value
      - .offset:         24
        .size:           8
        .value_kind:     by_value
      - .address_space:  global
        .offset:         32
        .size:           8
        .value_kind:     global_buffer
      - .offset:         40
        .size:           8
        .value_kind:     by_value
      - .offset:         48
        .size:           8
        .value_kind:     by_value
      - .address_space:  global
        .offset:         56
        .size:           8
        .value_kind:     global_buffer
      - .offset:         64
        .size:           8
        .value_kind:     by_value
      - .offset:         72
        .size:           8
        .value_kind:     by_value
      - .offset:         80
        .size:           8
        .value_kind:     by_value
      - .address_space:  global
        .offset:         88
        .size:           8
        .value_kind:     global_buffer
      - .offset:         96
        .size:           8
        .value_kind:     by_value
      - .offset:         104
        .size:           8
        .value_kind:     by_value
      - .address_space:  global
        .offset:         112
        .size:           8
        .value_kind:     global_buffer
      - .offset:         120
        .size:           8
        .value_kind:     by_value
      - .offset:         128
        .size:           8
        .value_kind:     by_value
      - .offset:         136
        .size:           4
        .value_kind:     by_value
    .group_segment_fixed_size: 4096
    .kernarg_segment_align: 8
    .kernarg_segment_size: 140
    .language:       OpenCL C
    .language_version:
      - 2
      - 0
    .max_flat_workgroup_size: 256
    .name:           _ZN12_GLOBAL__N_127rocblas_gemm_batched_kernelIdLi16ELi16ELi32ELi32ELi8ELi32ELi8ELi8ELi32ELc84ELc84EKPKdS3_KPdEEvlllT_PT11_llS8_llS6_PT12_llPT13_lli
    .private_segment_fixed_size: 0
    .sgpr_count:     50
    .sgpr_spill_count: 0
    .symbol:         _ZN12_GLOBAL__N_127rocblas_gemm_batched_kernelIdLi16ELi16ELi32ELi32ELi8ELi32ELi8ELi8ELi32ELc84ELc84EKPKdS3_KPdEEvlllT_PT11_llS8_llS6_PT12_llPT13_lli.kd
    .uniform_work_group_size: 1
    .uses_dynamic_stack: false
    .vgpr_count:     62
    .vgpr_spill_count: 0
    .wavefront_size: 64
  - .agpr_count:     0
    .args:
      - .offset:         0
        .size:           8
        .value_kind:     by_value
      - .offset:         8
        .size:           8
        .value_kind:     by_value
      - .offset:         16
        .size:           8
        .value_kind:     by_value
      - .offset:         24
        .size:           8
        .value_kind:     by_value
      - .address_space:  global
        .offset:         32
        .size:           8
        .value_kind:     global_buffer
      - .offset:         40
        .size:           8
        .value_kind:     by_value
      - .offset:         48
        .size:           8
        .value_kind:     by_value
      - .address_space:  global
        .offset:         56
        .size:           8
        .value_kind:     global_buffer
      - .offset:         64
        .size:           8
        .value_kind:     by_value
      - .offset:         72
        .size:           8
        .value_kind:     by_value
      - .offset:         80
        .size:           8
        .value_kind:     by_value
      - .address_space:  global
        .offset:         88
        .size:           8
        .value_kind:     global_buffer
      - .offset:         96
        .size:           8
        .value_kind:     by_value
      - .offset:         104
        .size:           8
        .value_kind:     by_value
      - .address_space:  global
        .offset:         112
        .size:           8
        .value_kind:     global_buffer
      - .offset:         120
        .size:           8
        .value_kind:     by_value
      - .offset:         128
        .size:           8
        .value_kind:     by_value
      - .offset:         136
        .size:           4
        .value_kind:     by_value
    .group_segment_fixed_size: 4096
    .kernarg_segment_align: 8
    .kernarg_segment_size: 140
    .language:       OpenCL C
    .language_version:
      - 2
      - 0
    .max_flat_workgroup_size: 256
    .name:           _ZN12_GLOBAL__N_127rocblas_gemm_batched_kernelIdLi16ELi16ELi32ELi32ELi8ELi32ELi8ELi8ELi32ELc67ELc67EKPKdS3_KPdEEvlllT_PT11_llS8_llS6_PT12_llPT13_lli
    .private_segment_fixed_size: 0
    .sgpr_count:     50
    .sgpr_spill_count: 0
    .symbol:         _ZN12_GLOBAL__N_127rocblas_gemm_batched_kernelIdLi16ELi16ELi32ELi32ELi8ELi32ELi8ELi8ELi32ELc67ELc67EKPKdS3_KPdEEvlllT_PT11_llS8_llS6_PT12_llPT13_lli.kd
    .uniform_work_group_size: 1
    .uses_dynamic_stack: false
    .vgpr_count:     62
    .vgpr_spill_count: 0
    .wavefront_size: 64
  - .agpr_count:     0
    .args:
      - .offset:         0
        .size:           8
        .value_kind:     by_value
      - .offset:         8
        .size:           8
        .value_kind:     by_value
      - .offset:         16
        .size:           8
        .value_kind:     by_value
      - .offset:         24
        .size:           8
        .value_kind:     by_value
      - .address_space:  global
        .offset:         32
        .size:           8
        .value_kind:     global_buffer
      - .offset:         40
        .size:           8
        .value_kind:     by_value
      - .offset:         48
        .size:           8
        .value_kind:     by_value
      - .address_space:  global
        .offset:         56
        .size:           8
        .value_kind:     global_buffer
      - .offset:         64
        .size:           8
        .value_kind:     by_value
      - .offset:         72
        .size:           8
        .value_kind:     by_value
      - .offset:         80
        .size:           8
        .value_kind:     by_value
      - .address_space:  global
        .offset:         88
        .size:           8
        .value_kind:     global_buffer
      - .offset:         96
        .size:           8
        .value_kind:     by_value
      - .offset:         104
        .size:           8
        .value_kind:     by_value
      - .address_space:  global
        .offset:         112
        .size:           8
        .value_kind:     global_buffer
      - .offset:         120
        .size:           8
        .value_kind:     by_value
      - .offset:         128
        .size:           8
        .value_kind:     by_value
      - .offset:         136
        .size:           4
        .value_kind:     by_value
    .group_segment_fixed_size: 4096
    .kernarg_segment_align: 8
    .kernarg_segment_size: 140
    .language:       OpenCL C
    .language_version:
      - 2
      - 0
    .max_flat_workgroup_size: 256
    .name:           _ZN12_GLOBAL__N_127rocblas_gemm_batched_kernelIdLi16ELi16ELi32ELi32ELi8ELi32ELi8ELi8ELi32ELc67ELc78EKPKdS3_KPdEEvlllT_PT11_llS8_llS6_PT12_llPT13_lli
    .private_segment_fixed_size: 0
    .sgpr_count:     50
    .sgpr_spill_count: 0
    .symbol:         _ZN12_GLOBAL__N_127rocblas_gemm_batched_kernelIdLi16ELi16ELi32ELi32ELi8ELi32ELi8ELi8ELi32ELc67ELc78EKPKdS3_KPdEEvlllT_PT11_llS8_llS6_PT12_llPT13_lli.kd
    .uniform_work_group_size: 1
    .uses_dynamic_stack: false
    .vgpr_count:     62
    .vgpr_spill_count: 0
    .wavefront_size: 64
  - .agpr_count:     0
    .args:
      - .offset:         0
        .size:           8
        .value_kind:     by_value
      - .offset:         8
        .size:           8
        .value_kind:     by_value
      - .offset:         16
        .size:           8
        .value_kind:     by_value
      - .offset:         24
        .size:           8
        .value_kind:     by_value
      - .address_space:  global
        .offset:         32
        .size:           8
        .value_kind:     global_buffer
      - .offset:         40
        .size:           8
        .value_kind:     by_value
      - .offset:         48
        .size:           8
        .value_kind:     by_value
      - .address_space:  global
        .offset:         56
        .size:           8
        .value_kind:     global_buffer
      - .offset:         64
        .size:           8
        .value_kind:     by_value
      - .offset:         72
        .size:           8
        .value_kind:     by_value
      - .offset:         80
        .size:           8
        .value_kind:     by_value
      - .address_space:  global
        .offset:         88
        .size:           8
        .value_kind:     global_buffer
      - .offset:         96
        .size:           8
        .value_kind:     by_value
      - .offset:         104
        .size:           8
        .value_kind:     by_value
      - .address_space:  global
        .offset:         112
        .size:           8
        .value_kind:     global_buffer
      - .offset:         120
        .size:           8
        .value_kind:     by_value
      - .offset:         128
        .size:           8
        .value_kind:     by_value
      - .offset:         136
        .size:           4
        .value_kind:     by_value
    .group_segment_fixed_size: 4096
    .kernarg_segment_align: 8
    .kernarg_segment_size: 140
    .language:       OpenCL C
    .language_version:
      - 2
      - 0
    .max_flat_workgroup_size: 256
    .name:           _ZN12_GLOBAL__N_127rocblas_gemm_batched_kernelIdLi16ELi16ELi32ELi32ELi8ELi32ELi8ELi8ELi32ELc67ELc84EKPKdS3_KPdEEvlllT_PT11_llS8_llS6_PT12_llPT13_lli
    .private_segment_fixed_size: 0
    .sgpr_count:     50
    .sgpr_spill_count: 0
    .symbol:         _ZN12_GLOBAL__N_127rocblas_gemm_batched_kernelIdLi16ELi16ELi32ELi32ELi8ELi32ELi8ELi8ELi32ELc67ELc84EKPKdS3_KPdEEvlllT_PT11_llS8_llS6_PT12_llPT13_lli.kd
    .uniform_work_group_size: 1
    .uses_dynamic_stack: false
    .vgpr_count:     62
    .vgpr_spill_count: 0
    .wavefront_size: 64
  - .agpr_count:     0
    .args:
      - .offset:         0
        .size:           8
        .value_kind:     by_value
      - .offset:         8
        .size:           8
        .value_kind:     by_value
      - .offset:         16
        .size:           8
        .value_kind:     by_value
      - .offset:         24
        .size:           8
        .value_kind:     by_value
      - .address_space:  global
        .offset:         32
        .size:           8
        .value_kind:     global_buffer
      - .offset:         40
        .size:           8
        .value_kind:     by_value
      - .offset:         48
        .size:           8
        .value_kind:     by_value
      - .address_space:  global
        .offset:         56
        .size:           8
        .value_kind:     global_buffer
      - .offset:         64
        .size:           8
        .value_kind:     by_value
      - .offset:         72
        .size:           8
        .value_kind:     by_value
      - .offset:         80
        .size:           8
        .value_kind:     by_value
      - .address_space:  global
        .offset:         88
        .size:           8
        .value_kind:     global_buffer
      - .offset:         96
        .size:           8
        .value_kind:     by_value
      - .offset:         104
        .size:           8
        .value_kind:     by_value
      - .address_space:  global
        .offset:         112
        .size:           8
        .value_kind:     global_buffer
      - .offset:         120
        .size:           8
        .value_kind:     by_value
      - .offset:         128
        .size:           8
        .value_kind:     by_value
      - .offset:         136
        .size:           4
        .value_kind:     by_value
    .group_segment_fixed_size: 4096
    .kernarg_segment_align: 8
    .kernarg_segment_size: 140
    .language:       OpenCL C
    .language_version:
      - 2
      - 0
    .max_flat_workgroup_size: 256
    .name:           _ZN12_GLOBAL__N_127rocblas_gemm_batched_kernelIdLi16ELi16ELi32ELi32ELi8ELi32ELi8ELi8ELi32ELc78ELc67EKPKdS3_KPdEEvlllT_PT11_llS8_llS6_PT12_llPT13_lli
    .private_segment_fixed_size: 0
    .sgpr_count:     50
    .sgpr_spill_count: 0
    .symbol:         _ZN12_GLOBAL__N_127rocblas_gemm_batched_kernelIdLi16ELi16ELi32ELi32ELi8ELi32ELi8ELi8ELi32ELc78ELc67EKPKdS3_KPdEEvlllT_PT11_llS8_llS6_PT12_llPT13_lli.kd
    .uniform_work_group_size: 1
    .uses_dynamic_stack: false
    .vgpr_count:     62
    .vgpr_spill_count: 0
    .wavefront_size: 64
  - .agpr_count:     0
    .args:
      - .offset:         0
        .size:           8
        .value_kind:     by_value
      - .offset:         8
        .size:           8
        .value_kind:     by_value
      - .offset:         16
        .size:           8
        .value_kind:     by_value
      - .offset:         24
        .size:           8
        .value_kind:     by_value
      - .address_space:  global
        .offset:         32
        .size:           8
        .value_kind:     global_buffer
      - .offset:         40
        .size:           8
        .value_kind:     by_value
      - .offset:         48
        .size:           8
        .value_kind:     by_value
      - .address_space:  global
        .offset:         56
        .size:           8
        .value_kind:     global_buffer
      - .offset:         64
        .size:           8
        .value_kind:     by_value
      - .offset:         72
        .size:           8
        .value_kind:     by_value
      - .offset:         80
        .size:           8
        .value_kind:     by_value
      - .address_space:  global
        .offset:         88
        .size:           8
        .value_kind:     global_buffer
      - .offset:         96
        .size:           8
        .value_kind:     by_value
      - .offset:         104
        .size:           8
        .value_kind:     by_value
      - .address_space:  global
        .offset:         112
        .size:           8
        .value_kind:     global_buffer
      - .offset:         120
        .size:           8
        .value_kind:     by_value
      - .offset:         128
        .size:           8
        .value_kind:     by_value
      - .offset:         136
        .size:           4
        .value_kind:     by_value
    .group_segment_fixed_size: 4096
    .kernarg_segment_align: 8
    .kernarg_segment_size: 140
    .language:       OpenCL C
    .language_version:
      - 2
      - 0
    .max_flat_workgroup_size: 256
    .name:           _ZN12_GLOBAL__N_127rocblas_gemm_batched_kernelIdLi16ELi16ELi32ELi32ELi8ELi32ELi8ELi8ELi32ELc84ELc67EKPKdS3_KPdEEvlllT_PT11_llS8_llS6_PT12_llPT13_lli
    .private_segment_fixed_size: 0
    .sgpr_count:     50
    .sgpr_spill_count: 0
    .symbol:         _ZN12_GLOBAL__N_127rocblas_gemm_batched_kernelIdLi16ELi16ELi32ELi32ELi8ELi32ELi8ELi8ELi32ELc84ELc67EKPKdS3_KPdEEvlllT_PT11_llS8_llS6_PT12_llPT13_lli.kd
    .uniform_work_group_size: 1
    .uses_dynamic_stack: false
    .vgpr_count:     62
    .vgpr_spill_count: 0
    .wavefront_size: 64
  - .agpr_count:     0
    .args:
      - .offset:         0
        .size:           8
        .value_kind:     by_value
      - .offset:         8
        .size:           8
        .value_kind:     by_value
      - .offset:         16
        .size:           8
        .value_kind:     by_value
      - .offset:         24
        .size:           8
        .value_kind:     by_value
      - .address_space:  global
        .offset:         32
        .size:           8
        .value_kind:     global_buffer
      - .offset:         40
        .size:           8
        .value_kind:     by_value
      - .offset:         48
        .size:           8
        .value_kind:     by_value
      - .address_space:  global
        .offset:         56
        .size:           8
        .value_kind:     global_buffer
      - .offset:         64
        .size:           8
        .value_kind:     by_value
      - .offset:         72
        .size:           8
        .value_kind:     by_value
      - .offset:         80
        .size:           8
        .value_kind:     by_value
      - .address_space:  global
        .offset:         88
        .size:           8
        .value_kind:     global_buffer
      - .offset:         96
        .size:           8
        .value_kind:     by_value
      - .offset:         104
        .size:           8
        .value_kind:     by_value
      - .address_space:  global
        .offset:         112
        .size:           8
        .value_kind:     global_buffer
      - .offset:         120
        .size:           8
        .value_kind:     by_value
      - .offset:         128
        .size:           8
        .value_kind:     by_value
      - .offset:         136
        .size:           4
        .value_kind:     by_value
    .group_segment_fixed_size: 4096
    .kernarg_segment_align: 8
    .kernarg_segment_size: 140
    .language:       OpenCL C
    .language_version:
      - 2
      - 0
    .max_flat_workgroup_size: 256
    .name:           _ZN12_GLOBAL__N_135rocblas_gemm_batched_general_kernelIdLi16ELi16ELi32ELi32ELi8ELi32ELi8ELi8ELi32ELc78ELc78EKPKdS3_KPdEEvlllT_PT11_llS8_llS6_PT12_llPT13_lli
    .private_segment_fixed_size: 0
    .sgpr_count:     58
    .sgpr_spill_count: 0
    .symbol:         _ZN12_GLOBAL__N_135rocblas_gemm_batched_general_kernelIdLi16ELi16ELi32ELi32ELi8ELi32ELi8ELi8ELi32ELc78ELc78EKPKdS3_KPdEEvlllT_PT11_llS8_llS6_PT12_llPT13_lli.kd
    .uniform_work_group_size: 1
    .uses_dynamic_stack: false
    .vgpr_count:     58
    .vgpr_spill_count: 0
    .wavefront_size: 64
  - .agpr_count:     0
    .args:
      - .offset:         0
        .size:           8
        .value_kind:     by_value
      - .offset:         8
        .size:           8
        .value_kind:     by_value
      - .offset:         16
        .size:           8
        .value_kind:     by_value
      - .offset:         24
        .size:           8
        .value_kind:     by_value
      - .address_space:  global
        .offset:         32
        .size:           8
        .value_kind:     global_buffer
      - .offset:         40
        .size:           8
        .value_kind:     by_value
      - .offset:         48
        .size:           8
        .value_kind:     by_value
      - .address_space:  global
        .offset:         56
        .size:           8
        .value_kind:     global_buffer
      - .offset:         64
        .size:           8
        .value_kind:     by_value
      - .offset:         72
        .size:           8
        .value_kind:     by_value
      - .offset:         80
        .size:           8
        .value_kind:     by_value
      - .address_space:  global
        .offset:         88
        .size:           8
        .value_kind:     global_buffer
      - .offset:         96
        .size:           8
        .value_kind:     by_value
      - .offset:         104
        .size:           8
        .value_kind:     by_value
      - .address_space:  global
        .offset:         112
        .size:           8
        .value_kind:     global_buffer
      - .offset:         120
        .size:           8
        .value_kind:     by_value
      - .offset:         128
        .size:           8
        .value_kind:     by_value
      - .offset:         136
        .size:           4
        .value_kind:     by_value
    .group_segment_fixed_size: 4096
    .kernarg_segment_align: 8
    .kernarg_segment_size: 140
    .language:       OpenCL C
    .language_version:
      - 2
      - 0
    .max_flat_workgroup_size: 256
    .name:           _ZN12_GLOBAL__N_135rocblas_gemm_batched_general_kernelIdLi16ELi16ELi32ELi32ELi8ELi32ELi8ELi8ELi32ELc84ELc78EKPKdS3_KPdEEvlllT_PT11_llS8_llS6_PT12_llPT13_lli
    .private_segment_fixed_size: 0
    .sgpr_count:     58
    .sgpr_spill_count: 0
    .symbol:         _ZN12_GLOBAL__N_135rocblas_gemm_batched_general_kernelIdLi16ELi16ELi32ELi32ELi8ELi32ELi8ELi8ELi32ELc84ELc78EKPKdS3_KPdEEvlllT_PT11_llS8_llS6_PT12_llPT13_lli.kd
    .uniform_work_group_size: 1
    .uses_dynamic_stack: false
    .vgpr_count:     58
    .vgpr_spill_count: 0
    .wavefront_size: 64
  - .agpr_count:     0
    .args:
      - .offset:         0
        .size:           8
        .value_kind:     by_value
      - .offset:         8
        .size:           8
        .value_kind:     by_value
      - .offset:         16
        .size:           8
        .value_kind:     by_value
      - .offset:         24
        .size:           8
        .value_kind:     by_value
      - .address_space:  global
        .offset:         32
        .size:           8
        .value_kind:     global_buffer
      - .offset:         40
        .size:           8
        .value_kind:     by_value
      - .offset:         48
        .size:           8
        .value_kind:     by_value
      - .address_space:  global
        .offset:         56
        .size:           8
        .value_kind:     global_buffer
      - .offset:         64
        .size:           8
        .value_kind:     by_value
      - .offset:         72
        .size:           8
        .value_kind:     by_value
      - .offset:         80
        .size:           8
        .value_kind:     by_value
      - .address_space:  global
        .offset:         88
        .size:           8
        .value_kind:     global_buffer
      - .offset:         96
        .size:           8
        .value_kind:     by_value
      - .offset:         104
        .size:           8
        .value_kind:     by_value
      - .address_space:  global
        .offset:         112
        .size:           8
        .value_kind:     global_buffer
      - .offset:         120
        .size:           8
        .value_kind:     by_value
      - .offset:         128
        .size:           8
        .value_kind:     by_value
      - .offset:         136
        .size:           4
        .value_kind:     by_value
    .group_segment_fixed_size: 4096
    .kernarg_segment_align: 8
    .kernarg_segment_size: 140
    .language:       OpenCL C
    .language_version:
      - 2
      - 0
    .max_flat_workgroup_size: 256
    .name:           _ZN12_GLOBAL__N_135rocblas_gemm_batched_general_kernelIdLi16ELi16ELi32ELi32ELi8ELi32ELi8ELi8ELi32ELc78ELc84EKPKdS3_KPdEEvlllT_PT11_llS8_llS6_PT12_llPT13_lli
    .private_segment_fixed_size: 0
    .sgpr_count:     58
    .sgpr_spill_count: 0
    .symbol:         _ZN12_GLOBAL__N_135rocblas_gemm_batched_general_kernelIdLi16ELi16ELi32ELi32ELi8ELi32ELi8ELi8ELi32ELc78ELc84EKPKdS3_KPdEEvlllT_PT11_llS8_llS6_PT12_llPT13_lli.kd
    .uniform_work_group_size: 1
    .uses_dynamic_stack: false
    .vgpr_count:     58
    .vgpr_spill_count: 0
    .wavefront_size: 64
  - .agpr_count:     0
    .args:
      - .offset:         0
        .size:           8
        .value_kind:     by_value
      - .offset:         8
        .size:           8
        .value_kind:     by_value
      - .offset:         16
        .size:           8
        .value_kind:     by_value
      - .offset:         24
        .size:           8
        .value_kind:     by_value
      - .address_space:  global
        .offset:         32
        .size:           8
        .value_kind:     global_buffer
      - .offset:         40
        .size:           8
        .value_kind:     by_value
      - .offset:         48
        .size:           8
        .value_kind:     by_value
      - .address_space:  global
        .offset:         56
        .size:           8
        .value_kind:     global_buffer
      - .offset:         64
        .size:           8
        .value_kind:     by_value
      - .offset:         72
        .size:           8
        .value_kind:     by_value
      - .offset:         80
        .size:           8
        .value_kind:     by_value
      - .address_space:  global
        .offset:         88
        .size:           8
        .value_kind:     global_buffer
      - .offset:         96
        .size:           8
        .value_kind:     by_value
      - .offset:         104
        .size:           8
        .value_kind:     by_value
      - .address_space:  global
        .offset:         112
        .size:           8
        .value_kind:     global_buffer
      - .offset:         120
        .size:           8
        .value_kind:     by_value
      - .offset:         128
        .size:           8
        .value_kind:     by_value
      - .offset:         136
        .size:           4
        .value_kind:     by_value
    .group_segment_fixed_size: 4096
    .kernarg_segment_align: 8
    .kernarg_segment_size: 140
    .language:       OpenCL C
    .language_version:
      - 2
      - 0
    .max_flat_workgroup_size: 256
    .name:           _ZN12_GLOBAL__N_135rocblas_gemm_batched_general_kernelIdLi16ELi16ELi32ELi32ELi8ELi32ELi8ELi8ELi32ELc84ELc84EKPKdS3_KPdEEvlllT_PT11_llS8_llS6_PT12_llPT13_lli
    .private_segment_fixed_size: 0
    .sgpr_count:     58
    .sgpr_spill_count: 0
    .symbol:         _ZN12_GLOBAL__N_135rocblas_gemm_batched_general_kernelIdLi16ELi16ELi32ELi32ELi8ELi32ELi8ELi8ELi32ELc84ELc84EKPKdS3_KPdEEvlllT_PT11_llS8_llS6_PT12_llPT13_lli.kd
    .uniform_work_group_size: 1
    .uses_dynamic_stack: false
    .vgpr_count:     58
    .vgpr_spill_count: 0
    .wavefront_size: 64
  - .agpr_count:     0
    .args:
      - .offset:         0
        .size:           8
        .value_kind:     by_value
      - .offset:         8
        .size:           8
        .value_kind:     by_value
      - .offset:         16
        .size:           8
        .value_kind:     by_value
      - .offset:         24
        .size:           8
        .value_kind:     by_value
      - .address_space:  global
        .offset:         32
        .size:           8
        .value_kind:     global_buffer
      - .offset:         40
        .size:           8
        .value_kind:     by_value
      - .offset:         48
        .size:           8
        .value_kind:     by_value
      - .address_space:  global
        .offset:         56
        .size:           8
        .value_kind:     global_buffer
      - .offset:         64
        .size:           8
        .value_kind:     by_value
      - .offset:         72
        .size:           8
        .value_kind:     by_value
      - .offset:         80
        .size:           8
        .value_kind:     by_value
      - .address_space:  global
        .offset:         88
        .size:           8
        .value_kind:     global_buffer
      - .offset:         96
        .size:           8
        .value_kind:     by_value
      - .offset:         104
        .size:           8
        .value_kind:     by_value
      - .address_space:  global
        .offset:         112
        .size:           8
        .value_kind:     global_buffer
      - .offset:         120
        .size:           8
        .value_kind:     by_value
      - .offset:         128
        .size:           8
        .value_kind:     by_value
      - .offset:         136
        .size:           4
        .value_kind:     by_value
    .group_segment_fixed_size: 4096
    .kernarg_segment_align: 8
    .kernarg_segment_size: 140
    .language:       OpenCL C
    .language_version:
      - 2
      - 0
    .max_flat_workgroup_size: 256
    .name:           _ZN12_GLOBAL__N_135rocblas_gemm_batched_general_kernelIdLi16ELi16ELi32ELi32ELi8ELi32ELi8ELi8ELi32ELc67ELc67EKPKdS3_KPdEEvlllT_PT11_llS8_llS6_PT12_llPT13_lli
    .private_segment_fixed_size: 0
    .sgpr_count:     58
    .sgpr_spill_count: 0
    .symbol:         _ZN12_GLOBAL__N_135rocblas_gemm_batched_general_kernelIdLi16ELi16ELi32ELi32ELi8ELi32ELi8ELi8ELi32ELc67ELc67EKPKdS3_KPdEEvlllT_PT11_llS8_llS6_PT12_llPT13_lli.kd
    .uniform_work_group_size: 1
    .uses_dynamic_stack: false
    .vgpr_count:     58
    .vgpr_spill_count: 0
    .wavefront_size: 64
  - .agpr_count:     0
    .args:
      - .offset:         0
        .size:           8
        .value_kind:     by_value
      - .offset:         8
        .size:           8
        .value_kind:     by_value
      - .offset:         16
        .size:           8
        .value_kind:     by_value
      - .offset:         24
        .size:           8
        .value_kind:     by_value
      - .address_space:  global
        .offset:         32
        .size:           8
        .value_kind:     global_buffer
      - .offset:         40
        .size:           8
        .value_kind:     by_value
      - .offset:         48
        .size:           8
        .value_kind:     by_value
      - .address_space:  global
        .offset:         56
        .size:           8
        .value_kind:     global_buffer
      - .offset:         64
        .size:           8
        .value_kind:     by_value
      - .offset:         72
        .size:           8
        .value_kind:     by_value
      - .offset:         80
        .size:           8
        .value_kind:     by_value
      - .address_space:  global
        .offset:         88
        .size:           8
        .value_kind:     global_buffer
      - .offset:         96
        .size:           8
        .value_kind:     by_value
      - .offset:         104
        .size:           8
        .value_kind:     by_value
      - .address_space:  global
        .offset:         112
        .size:           8
        .value_kind:     global_buffer
      - .offset:         120
        .size:           8
        .value_kind:     by_value
      - .offset:         128
        .size:           8
        .value_kind:     by_value
      - .offset:         136
        .size:           4
        .value_kind:     by_value
    .group_segment_fixed_size: 4096
    .kernarg_segment_align: 8
    .kernarg_segment_size: 140
    .language:       OpenCL C
    .language_version:
      - 2
      - 0
    .max_flat_workgroup_size: 256
    .name:           _ZN12_GLOBAL__N_135rocblas_gemm_batched_general_kernelIdLi16ELi16ELi32ELi32ELi8ELi32ELi8ELi8ELi32ELc67ELc78EKPKdS3_KPdEEvlllT_PT11_llS8_llS6_PT12_llPT13_lli
    .private_segment_fixed_size: 0
    .sgpr_count:     58
    .sgpr_spill_count: 0
    .symbol:         _ZN12_GLOBAL__N_135rocblas_gemm_batched_general_kernelIdLi16ELi16ELi32ELi32ELi8ELi32ELi8ELi8ELi32ELc67ELc78EKPKdS3_KPdEEvlllT_PT11_llS8_llS6_PT12_llPT13_lli.kd
    .uniform_work_group_size: 1
    .uses_dynamic_stack: false
    .vgpr_count:     58
    .vgpr_spill_count: 0
    .wavefront_size: 64
  - .agpr_count:     0
    .args:
      - .offset:         0
        .size:           8
        .value_kind:     by_value
      - .offset:         8
        .size:           8
        .value_kind:     by_value
      - .offset:         16
        .size:           8
        .value_kind:     by_value
      - .offset:         24
        .size:           8
        .value_kind:     by_value
      - .address_space:  global
        .offset:         32
        .size:           8
        .value_kind:     global_buffer
      - .offset:         40
        .size:           8
        .value_kind:     by_value
      - .offset:         48
        .size:           8
        .value_kind:     by_value
      - .address_space:  global
        .offset:         56
        .size:           8
        .value_kind:     global_buffer
      - .offset:         64
        .size:           8
        .value_kind:     by_value
      - .offset:         72
        .size:           8
        .value_kind:     by_value
      - .offset:         80
        .size:           8
        .value_kind:     by_value
      - .address_space:  global
        .offset:         88
        .size:           8
        .value_kind:     global_buffer
      - .offset:         96
        .size:           8
        .value_kind:     by_value
      - .offset:         104
        .size:           8
        .value_kind:     by_value
      - .address_space:  global
        .offset:         112
        .size:           8
        .value_kind:     global_buffer
      - .offset:         120
        .size:           8
        .value_kind:     by_value
      - .offset:         128
        .size:           8
        .value_kind:     by_value
      - .offset:         136
        .size:           4
        .value_kind:     by_value
    .group_segment_fixed_size: 4096
    .kernarg_segment_align: 8
    .kernarg_segment_size: 140
    .language:       OpenCL C
    .language_version:
      - 2
      - 0
    .max_flat_workgroup_size: 256
    .name:           _ZN12_GLOBAL__N_135rocblas_gemm_batched_general_kernelIdLi16ELi16ELi32ELi32ELi8ELi32ELi8ELi8ELi32ELc67ELc84EKPKdS3_KPdEEvlllT_PT11_llS8_llS6_PT12_llPT13_lli
    .private_segment_fixed_size: 0
    .sgpr_count:     58
    .sgpr_spill_count: 0
    .symbol:         _ZN12_GLOBAL__N_135rocblas_gemm_batched_general_kernelIdLi16ELi16ELi32ELi32ELi8ELi32ELi8ELi8ELi32ELc67ELc84EKPKdS3_KPdEEvlllT_PT11_llS8_llS6_PT12_llPT13_lli.kd
    .uniform_work_group_size: 1
    .uses_dynamic_stack: false
    .vgpr_count:     58
    .vgpr_spill_count: 0
    .wavefront_size: 64
  - .agpr_count:     0
    .args:
      - .offset:         0
        .size:           8
        .value_kind:     by_value
      - .offset:         8
        .size:           8
        .value_kind:     by_value
      - .offset:         16
        .size:           8
        .value_kind:     by_value
      - .offset:         24
        .size:           8
        .value_kind:     by_value
      - .address_space:  global
        .offset:         32
        .size:           8
        .value_kind:     global_buffer
      - .offset:         40
        .size:           8
        .value_kind:     by_value
      - .offset:         48
        .size:           8
        .value_kind:     by_value
      - .address_space:  global
        .offset:         56
        .size:           8
        .value_kind:     global_buffer
      - .offset:         64
        .size:           8
        .value_kind:     by_value
      - .offset:         72
        .size:           8
        .value_kind:     by_value
      - .offset:         80
        .size:           8
        .value_kind:     by_value
      - .address_space:  global
        .offset:         88
        .size:           8
        .value_kind:     global_buffer
      - .offset:         96
        .size:           8
        .value_kind:     by_value
      - .offset:         104
        .size:           8
        .value_kind:     by_value
      - .address_space:  global
        .offset:         112
        .size:           8
        .value_kind:     global_buffer
      - .offset:         120
        .size:           8
        .value_kind:     by_value
      - .offset:         128
        .size:           8
        .value_kind:     by_value
      - .offset:         136
        .size:           4
        .value_kind:     by_value
    .group_segment_fixed_size: 4096
    .kernarg_segment_align: 8
    .kernarg_segment_size: 140
    .language:       OpenCL C
    .language_version:
      - 2
      - 0
    .max_flat_workgroup_size: 256
    .name:           _ZN12_GLOBAL__N_135rocblas_gemm_batched_general_kernelIdLi16ELi16ELi32ELi32ELi8ELi32ELi8ELi8ELi32ELc78ELc67EKPKdS3_KPdEEvlllT_PT11_llS8_llS6_PT12_llPT13_lli
    .private_segment_fixed_size: 0
    .sgpr_count:     58
    .sgpr_spill_count: 0
    .symbol:         _ZN12_GLOBAL__N_135rocblas_gemm_batched_general_kernelIdLi16ELi16ELi32ELi32ELi8ELi32ELi8ELi8ELi32ELc78ELc67EKPKdS3_KPdEEvlllT_PT11_llS8_llS6_PT12_llPT13_lli.kd
    .uniform_work_group_size: 1
    .uses_dynamic_stack: false
    .vgpr_count:     58
    .vgpr_spill_count: 0
    .wavefront_size: 64
  - .agpr_count:     0
    .args:
      - .offset:         0
        .size:           8
        .value_kind:     by_value
      - .offset:         8
        .size:           8
        .value_kind:     by_value
      - .offset:         16
        .size:           8
        .value_kind:     by_value
      - .offset:         24
        .size:           8
        .value_kind:     by_value
      - .address_space:  global
        .offset:         32
        .size:           8
        .value_kind:     global_buffer
      - .offset:         40
        .size:           8
        .value_kind:     by_value
      - .offset:         48
        .size:           8
        .value_kind:     by_value
      - .address_space:  global
        .offset:         56
        .size:           8
        .value_kind:     global_buffer
      - .offset:         64
        .size:           8
        .value_kind:     by_value
      - .offset:         72
        .size:           8
        .value_kind:     by_value
      - .offset:         80
        .size:           8
        .value_kind:     by_value
      - .address_space:  global
        .offset:         88
        .size:           8
        .value_kind:     global_buffer
      - .offset:         96
        .size:           8
        .value_kind:     by_value
      - .offset:         104
        .size:           8
        .value_kind:     by_value
      - .address_space:  global
        .offset:         112
        .size:           8
        .value_kind:     global_buffer
      - .offset:         120
        .size:           8
        .value_kind:     by_value
      - .offset:         128
        .size:           8
        .value_kind:     by_value
      - .offset:         136
        .size:           4
        .value_kind:     by_value
    .group_segment_fixed_size: 4096
    .kernarg_segment_align: 8
    .kernarg_segment_size: 140
    .language:       OpenCL C
    .language_version:
      - 2
      - 0
    .max_flat_workgroup_size: 256
    .name:           _ZN12_GLOBAL__N_135rocblas_gemm_batched_general_kernelIdLi16ELi16ELi32ELi32ELi8ELi32ELi8ELi8ELi32ELc84ELc67EKPKdS3_KPdEEvlllT_PT11_llS8_llS6_PT12_llPT13_lli
    .private_segment_fixed_size: 0
    .sgpr_count:     58
    .sgpr_spill_count: 0
    .symbol:         _ZN12_GLOBAL__N_135rocblas_gemm_batched_general_kernelIdLi16ELi16ELi32ELi32ELi8ELi32ELi8ELi8ELi32ELc84ELc67EKPKdS3_KPdEEvlllT_PT11_llS8_llS6_PT12_llPT13_lli.kd
    .uniform_work_group_size: 1
    .uses_dynamic_stack: false
    .vgpr_count:     58
    .vgpr_spill_count: 0
    .wavefront_size: 64
  - .agpr_count:     0
    .args:
      - .offset:         0
        .size:           4
        .value_kind:     by_value
      - .offset:         4
        .size:           4
        .value_kind:     by_value
      - .offset:         8
        .size:           8
        .value_kind:     by_value
      - .address_space:  global
        .offset:         16
        .size:           8
        .value_kind:     global_buffer
      - .offset:         24
        .size:           8
        .value_kind:     by_value
      - .offset:         32
        .size:           8
        .value_kind:     by_value
      - .offset:         40
        .size:           8
        .value_kind:     by_value
      - .offset:         48
        .size:           4
        .value_kind:     by_value
    .group_segment_fixed_size: 0
    .kernarg_segment_align: 8
    .kernarg_segment_size: 52
    .language:       OpenCL C
    .language_version:
      - 2
      - 0
    .max_flat_workgroup_size: 1024
    .name:           _ZN12_GLOBAL__N_125rocblas_gemm_scale_kernelILi32ELi32E19rocblas_complex_numIfEPKPS2_EEviiT1_T2_llli
    .private_segment_fixed_size: 0
    .sgpr_count:     22
    .sgpr_spill_count: 0
    .symbol:         _ZN12_GLOBAL__N_125rocblas_gemm_scale_kernelILi32ELi32E19rocblas_complex_numIfEPKPS2_EEviiT1_T2_llli.kd
    .uniform_work_group_size: 1
    .uses_dynamic_stack: false
    .vgpr_count:     10
    .vgpr_spill_count: 0
    .wavefront_size: 64
  - .agpr_count:     0
    .args:
      - .offset:         0
        .size:           4
        .value_kind:     by_value
      - .offset:         4
        .size:           4
        .value_kind:     by_value
      - .offset:         8
        .size:           8
        .value_kind:     by_value
      - .address_space:  global
        .offset:         16
        .size:           8
        .value_kind:     global_buffer
      - .offset:         24
        .size:           8
        .value_kind:     by_value
      - .offset:         32
        .size:           8
        .value_kind:     by_value
      - .offset:         40
        .size:           8
        .value_kind:     by_value
      - .address_space:  global
        .offset:         48
        .size:           8
        .value_kind:     global_buffer
      - .offset:         56
        .size:           8
        .value_kind:     by_value
      - .offset:         64
        .size:           8
        .value_kind:     by_value
      - .offset:         72
        .size:           8
        .value_kind:     by_value
      - .offset:         80
        .size:           4
        .value_kind:     by_value
    .group_segment_fixed_size: 0
    .kernarg_segment_align: 8
    .kernarg_segment_size: 84
    .language:       OpenCL C
    .language_version:
      - 2
      - 0
    .max_flat_workgroup_size: 1024
    .name:           _ZN12_GLOBAL__N_120gemm_ex_scale_kernelILi32ELi32E19rocblas_complex_numIfEPKPKS2_PKPS2_EEviiT1_T2_lllT3_llli
    .private_segment_fixed_size: 0
    .sgpr_count:     26
    .sgpr_spill_count: 0
    .symbol:         _ZN12_GLOBAL__N_120gemm_ex_scale_kernelILi32ELi32E19rocblas_complex_numIfEPKPKS2_PKPS2_EEviiT1_T2_lllT3_llli.kd
    .uniform_work_group_size: 1
    .uses_dynamic_stack: false
    .vgpr_count:     10
    .vgpr_spill_count: 0
    .wavefront_size: 64
  - .agpr_count:     0
    .args:
      - .offset:         0
        .size:           8
        .value_kind:     by_value
      - .offset:         8
        .size:           8
        .value_kind:     by_value
      - .offset:         16
        .size:           8
        .value_kind:     by_value
      - .offset:         24
        .size:           8
        .value_kind:     by_value
      - .address_space:  global
        .offset:         32
        .size:           8
        .value_kind:     global_buffer
      - .offset:         40
        .size:           8
        .value_kind:     by_value
      - .offset:         48
        .size:           8
        .value_kind:     by_value
      - .address_space:  global
        .offset:         56
        .size:           8
        .value_kind:     global_buffer
      - .offset:         64
        .size:           8
        .value_kind:     by_value
      - .offset:         72
        .size:           8
        .value_kind:     by_value
      - .offset:         80
        .size:           8
        .value_kind:     by_value
      - .address_space:  global
        .offset:         88
        .size:           8
        .value_kind:     global_buffer
      - .offset:         96
        .size:           8
        .value_kind:     by_value
      - .offset:         104
        .size:           8
        .value_kind:     by_value
      - .address_space:  global
        .offset:         112
        .size:           8
        .value_kind:     global_buffer
      - .offset:         120
        .size:           8
        .value_kind:     by_value
      - .offset:         128
        .size:           8
        .value_kind:     by_value
      - .offset:         136
        .size:           4
        .value_kind:     by_value
    .group_segment_fixed_size: 4096
    .kernarg_segment_align: 8
    .kernarg_segment_size: 140
    .language:       OpenCL C
    .language_version:
      - 2
      - 0
    .max_flat_workgroup_size: 256
    .name:           _ZN12_GLOBAL__N_127rocblas_gemm_batched_kernelI19rocblas_complex_numIfELi16ELi16ELi64ELi64ELi4ELi64ELi4ELi4ELi64ELc78ELc78EKPKS2_S5_KPS2_EEvlllT_PT11_llSA_llS8_PT12_llPT13_lli
    .private_segment_fixed_size: 0
    .sgpr_count:     48
    .sgpr_spill_count: 0
    .symbol:         _ZN12_GLOBAL__N_127rocblas_gemm_batched_kernelI19rocblas_complex_numIfELi16ELi16ELi64ELi64ELi4ELi64ELi4ELi4ELi64ELc78ELc78EKPKS2_S5_KPS2_EEvlllT_PT11_llSA_llS8_PT12_llPT13_lli.kd
    .uniform_work_group_size: 1
    .uses_dynamic_stack: false
    .vgpr_count:     108
    .vgpr_spill_count: 0
    .wavefront_size: 64
  - .agpr_count:     0
    .args:
      - .offset:         0
        .size:           8
        .value_kind:     by_value
      - .offset:         8
        .size:           8
        .value_kind:     by_value
      - .offset:         16
        .size:           8
        .value_kind:     by_value
      - .offset:         24
        .size:           8
        .value_kind:     by_value
      - .address_space:  global
        .offset:         32
        .size:           8
        .value_kind:     global_buffer
      - .offset:         40
        .size:           8
        .value_kind:     by_value
      - .offset:         48
        .size:           8
        .value_kind:     by_value
      - .address_space:  global
        .offset:         56
        .size:           8
        .value_kind:     global_buffer
      - .offset:         64
        .size:           8
        .value_kind:     by_value
      - .offset:         72
        .size:           8
        .value_kind:     by_value
      - .offset:         80
        .size:           8
        .value_kind:     by_value
      - .address_space:  global
        .offset:         88
        .size:           8
        .value_kind:     global_buffer
      - .offset:         96
        .size:           8
        .value_kind:     by_value
      - .offset:         104
        .size:           8
        .value_kind:     by_value
      - .address_space:  global
        .offset:         112
        .size:           8
        .value_kind:     global_buffer
      - .offset:         120
        .size:           8
        .value_kind:     by_value
      - .offset:         128
        .size:           8
        .value_kind:     by_value
      - .offset:         136
        .size:           4
        .value_kind:     by_value
    .group_segment_fixed_size: 4096
    .kernarg_segment_align: 8
    .kernarg_segment_size: 140
    .language:       OpenCL C
    .language_version:
      - 2
      - 0
    .max_flat_workgroup_size: 256
    .name:           _ZN12_GLOBAL__N_127rocblas_gemm_batched_kernelI19rocblas_complex_numIfELi16ELi16ELi64ELi64ELi4ELi64ELi4ELi4ELi64ELc84ELc78EKPKS2_S5_KPS2_EEvlllT_PT11_llSA_llS8_PT12_llPT13_lli
    .private_segment_fixed_size: 0
    .sgpr_count:     48
    .sgpr_spill_count: 0
    .symbol:         _ZN12_GLOBAL__N_127rocblas_gemm_batched_kernelI19rocblas_complex_numIfELi16ELi16ELi64ELi64ELi4ELi64ELi4ELi4ELi64ELc84ELc78EKPKS2_S5_KPS2_EEvlllT_PT11_llSA_llS8_PT12_llPT13_lli.kd
    .uniform_work_group_size: 1
    .uses_dynamic_stack: false
    .vgpr_count:     108
    .vgpr_spill_count: 0
    .wavefront_size: 64
  - .agpr_count:     0
    .args:
      - .offset:         0
        .size:           8
        .value_kind:     by_value
      - .offset:         8
        .size:           8
        .value_kind:     by_value
      - .offset:         16
        .size:           8
        .value_kind:     by_value
      - .offset:         24
        .size:           8
        .value_kind:     by_value
      - .address_space:  global
        .offset:         32
        .size:           8
        .value_kind:     global_buffer
      - .offset:         40
        .size:           8
        .value_kind:     by_value
      - .offset:         48
        .size:           8
        .value_kind:     by_value
      - .address_space:  global
        .offset:         56
        .size:           8
        .value_kind:     global_buffer
      - .offset:         64
        .size:           8
        .value_kind:     by_value
      - .offset:         72
        .size:           8
        .value_kind:     by_value
      - .offset:         80
        .size:           8
        .value_kind:     by_value
      - .address_space:  global
        .offset:         88
        .size:           8
        .value_kind:     global_buffer
      - .offset:         96
        .size:           8
        .value_kind:     by_value
      - .offset:         104
        .size:           8
        .value_kind:     by_value
      - .address_space:  global
        .offset:         112
        .size:           8
        .value_kind:     global_buffer
      - .offset:         120
        .size:           8
        .value_kind:     by_value
      - .offset:         128
        .size:           8
        .value_kind:     by_value
      - .offset:         136
        .size:           4
        .value_kind:     by_value
    .group_segment_fixed_size: 4096
    .kernarg_segment_align: 8
    .kernarg_segment_size: 140
    .language:       OpenCL C
    .language_version:
      - 2
      - 0
    .max_flat_workgroup_size: 256
    .name:           _ZN12_GLOBAL__N_127rocblas_gemm_batched_kernelI19rocblas_complex_numIfELi16ELi16ELi64ELi64ELi4ELi64ELi4ELi4ELi64ELc78ELc84EKPKS2_S5_KPS2_EEvlllT_PT11_llSA_llS8_PT12_llPT13_lli
    .private_segment_fixed_size: 0
    .sgpr_count:     48
    .sgpr_spill_count: 0
    .symbol:         _ZN12_GLOBAL__N_127rocblas_gemm_batched_kernelI19rocblas_complex_numIfELi16ELi16ELi64ELi64ELi4ELi64ELi4ELi4ELi64ELc78ELc84EKPKS2_S5_KPS2_EEvlllT_PT11_llSA_llS8_PT12_llPT13_lli.kd
    .uniform_work_group_size: 1
    .uses_dynamic_stack: false
    .vgpr_count:     108
    .vgpr_spill_count: 0
    .wavefront_size: 64
  - .agpr_count:     0
    .args:
      - .offset:         0
        .size:           8
        .value_kind:     by_value
      - .offset:         8
        .size:           8
        .value_kind:     by_value
      - .offset:         16
        .size:           8
        .value_kind:     by_value
      - .offset:         24
        .size:           8
        .value_kind:     by_value
      - .address_space:  global
        .offset:         32
        .size:           8
        .value_kind:     global_buffer
      - .offset:         40
        .size:           8
        .value_kind:     by_value
      - .offset:         48
        .size:           8
        .value_kind:     by_value
      - .address_space:  global
        .offset:         56
        .size:           8
        .value_kind:     global_buffer
      - .offset:         64
        .size:           8
        .value_kind:     by_value
      - .offset:         72
        .size:           8
        .value_kind:     by_value
      - .offset:         80
        .size:           8
        .value_kind:     by_value
      - .address_space:  global
        .offset:         88
        .size:           8
        .value_kind:     global_buffer
      - .offset:         96
        .size:           8
        .value_kind:     by_value
      - .offset:         104
        .size:           8
        .value_kind:     by_value
      - .address_space:  global
        .offset:         112
        .size:           8
        .value_kind:     global_buffer
      - .offset:         120
        .size:           8
        .value_kind:     by_value
      - .offset:         128
        .size:           8
        .value_kind:     by_value
      - .offset:         136
        .size:           4
        .value_kind:     by_value
    .group_segment_fixed_size: 4096
    .kernarg_segment_align: 8
    .kernarg_segment_size: 140
    .language:       OpenCL C
    .language_version:
      - 2
      - 0
    .max_flat_workgroup_size: 256
    .name:           _ZN12_GLOBAL__N_127rocblas_gemm_batched_kernelI19rocblas_complex_numIfELi16ELi16ELi64ELi64ELi4ELi64ELi4ELi4ELi64ELc84ELc84EKPKS2_S5_KPS2_EEvlllT_PT11_llSA_llS8_PT12_llPT13_lli
    .private_segment_fixed_size: 0
    .sgpr_count:     48
    .sgpr_spill_count: 0
    .symbol:         _ZN12_GLOBAL__N_127rocblas_gemm_batched_kernelI19rocblas_complex_numIfELi16ELi16ELi64ELi64ELi4ELi64ELi4ELi4ELi64ELc84ELc84EKPKS2_S5_KPS2_EEvlllT_PT11_llSA_llS8_PT12_llPT13_lli.kd
    .uniform_work_group_size: 1
    .uses_dynamic_stack: false
    .vgpr_count:     108
    .vgpr_spill_count: 0
    .wavefront_size: 64
  - .agpr_count:     0
    .args:
      - .offset:         0
        .size:           8
        .value_kind:     by_value
      - .offset:         8
        .size:           8
        .value_kind:     by_value
      - .offset:         16
        .size:           8
        .value_kind:     by_value
      - .offset:         24
        .size:           8
        .value_kind:     by_value
      - .address_space:  global
        .offset:         32
        .size:           8
        .value_kind:     global_buffer
      - .offset:         40
        .size:           8
        .value_kind:     by_value
      - .offset:         48
        .size:           8
        .value_kind:     by_value
      - .address_space:  global
        .offset:         56
        .size:           8
        .value_kind:     global_buffer
      - .offset:         64
        .size:           8
        .value_kind:     by_value
      - .offset:         72
        .size:           8
        .value_kind:     by_value
      - .offset:         80
        .size:           8
        .value_kind:     by_value
      - .address_space:  global
        .offset:         88
        .size:           8
        .value_kind:     global_buffer
      - .offset:         96
        .size:           8
        .value_kind:     by_value
      - .offset:         104
        .size:           8
        .value_kind:     by_value
      - .address_space:  global
        .offset:         112
        .size:           8
        .value_kind:     global_buffer
      - .offset:         120
        .size:           8
        .value_kind:     by_value
      - .offset:         128
        .size:           8
        .value_kind:     by_value
      - .offset:         136
        .size:           4
        .value_kind:     by_value
    .group_segment_fixed_size: 4096
    .kernarg_segment_align: 8
    .kernarg_segment_size: 140
    .language:       OpenCL C
    .language_version:
      - 2
      - 0
    .max_flat_workgroup_size: 256
    .name:           _ZN12_GLOBAL__N_127rocblas_gemm_batched_kernelI19rocblas_complex_numIfELi16ELi16ELi64ELi64ELi4ELi64ELi4ELi4ELi64ELc67ELc67EKPKS2_S5_KPS2_EEvlllT_PT11_llSA_llS8_PT12_llPT13_lli
    .private_segment_fixed_size: 0
    .sgpr_count:     48
    .sgpr_spill_count: 0
    .symbol:         _ZN12_GLOBAL__N_127rocblas_gemm_batched_kernelI19rocblas_complex_numIfELi16ELi16ELi64ELi64ELi4ELi64ELi4ELi4ELi64ELc67ELc67EKPKS2_S5_KPS2_EEvlllT_PT11_llSA_llS8_PT12_llPT13_lli.kd
    .uniform_work_group_size: 1
    .uses_dynamic_stack: false
    .vgpr_count:     108
    .vgpr_spill_count: 0
    .wavefront_size: 64
  - .agpr_count:     0
    .args:
      - .offset:         0
        .size:           8
        .value_kind:     by_value
      - .offset:         8
        .size:           8
        .value_kind:     by_value
      - .offset:         16
        .size:           8
        .value_kind:     by_value
      - .offset:         24
        .size:           8
        .value_kind:     by_value
      - .address_space:  global
        .offset:         32
        .size:           8
        .value_kind:     global_buffer
      - .offset:         40
        .size:           8
        .value_kind:     by_value
      - .offset:         48
        .size:           8
        .value_kind:     by_value
      - .address_space:  global
        .offset:         56
        .size:           8
        .value_kind:     global_buffer
      - .offset:         64
        .size:           8
        .value_kind:     by_value
      - .offset:         72
        .size:           8
        .value_kind:     by_value
      - .offset:         80
        .size:           8
        .value_kind:     by_value
      - .address_space:  global
        .offset:         88
        .size:           8
        .value_kind:     global_buffer
      - .offset:         96
        .size:           8
        .value_kind:     by_value
      - .offset:         104
        .size:           8
        .value_kind:     by_value
      - .address_space:  global
        .offset:         112
        .size:           8
        .value_kind:     global_buffer
      - .offset:         120
        .size:           8
        .value_kind:     by_value
      - .offset:         128
        .size:           8
        .value_kind:     by_value
      - .offset:         136
        .size:           4
        .value_kind:     by_value
    .group_segment_fixed_size: 4096
    .kernarg_segment_align: 8
    .kernarg_segment_size: 140
    .language:       OpenCL C
    .language_version:
      - 2
      - 0
    .max_flat_workgroup_size: 256
    .name:           _ZN12_GLOBAL__N_127rocblas_gemm_batched_kernelI19rocblas_complex_numIfELi16ELi16ELi64ELi64ELi4ELi64ELi4ELi4ELi64ELc67ELc78EKPKS2_S5_KPS2_EEvlllT_PT11_llSA_llS8_PT12_llPT13_lli
    .private_segment_fixed_size: 0
    .sgpr_count:     48
    .sgpr_spill_count: 0
    .symbol:         _ZN12_GLOBAL__N_127rocblas_gemm_batched_kernelI19rocblas_complex_numIfELi16ELi16ELi64ELi64ELi4ELi64ELi4ELi4ELi64ELc67ELc78EKPKS2_S5_KPS2_EEvlllT_PT11_llSA_llS8_PT12_llPT13_lli.kd
    .uniform_work_group_size: 1
    .uses_dynamic_stack: false
    .vgpr_count:     108
    .vgpr_spill_count: 0
    .wavefront_size: 64
  - .agpr_count:     0
    .args:
      - .offset:         0
        .size:           8
        .value_kind:     by_value
      - .offset:         8
        .size:           8
        .value_kind:     by_value
      - .offset:         16
        .size:           8
        .value_kind:     by_value
      - .offset:         24
        .size:           8
        .value_kind:     by_value
      - .address_space:  global
        .offset:         32
        .size:           8
        .value_kind:     global_buffer
      - .offset:         40
        .size:           8
        .value_kind:     by_value
      - .offset:         48
        .size:           8
        .value_kind:     by_value
      - .address_space:  global
        .offset:         56
        .size:           8
        .value_kind:     global_buffer
      - .offset:         64
        .size:           8
        .value_kind:     by_value
      - .offset:         72
        .size:           8
        .value_kind:     by_value
      - .offset:         80
        .size:           8
        .value_kind:     by_value
      - .address_space:  global
        .offset:         88
        .size:           8
        .value_kind:     global_buffer
      - .offset:         96
        .size:           8
        .value_kind:     by_value
      - .offset:         104
        .size:           8
        .value_kind:     by_value
      - .address_space:  global
        .offset:         112
        .size:           8
        .value_kind:     global_buffer
      - .offset:         120
        .size:           8
        .value_kind:     by_value
      - .offset:         128
        .size:           8
        .value_kind:     by_value
      - .offset:         136
        .size:           4
        .value_kind:     by_value
    .group_segment_fixed_size: 4096
    .kernarg_segment_align: 8
    .kernarg_segment_size: 140
    .language:       OpenCL C
    .language_version:
      - 2
      - 0
    .max_flat_workgroup_size: 256
    .name:           _ZN12_GLOBAL__N_127rocblas_gemm_batched_kernelI19rocblas_complex_numIfELi16ELi16ELi64ELi64ELi4ELi64ELi4ELi4ELi64ELc67ELc84EKPKS2_S5_KPS2_EEvlllT_PT11_llSA_llS8_PT12_llPT13_lli
    .private_segment_fixed_size: 0
    .sgpr_count:     48
    .sgpr_spill_count: 0
    .symbol:         _ZN12_GLOBAL__N_127rocblas_gemm_batched_kernelI19rocblas_complex_numIfELi16ELi16ELi64ELi64ELi4ELi64ELi4ELi4ELi64ELc67ELc84EKPKS2_S5_KPS2_EEvlllT_PT11_llSA_llS8_PT12_llPT13_lli.kd
    .uniform_work_group_size: 1
    .uses_dynamic_stack: false
    .vgpr_count:     108
    .vgpr_spill_count: 0
    .wavefront_size: 64
  - .agpr_count:     0
    .args:
      - .offset:         0
        .size:           8
        .value_kind:     by_value
      - .offset:         8
        .size:           8
        .value_kind:     by_value
      - .offset:         16
        .size:           8
        .value_kind:     by_value
      - .offset:         24
        .size:           8
        .value_kind:     by_value
      - .address_space:  global
        .offset:         32
        .size:           8
        .value_kind:     global_buffer
      - .offset:         40
        .size:           8
        .value_kind:     by_value
      - .offset:         48
        .size:           8
        .value_kind:     by_value
      - .address_space:  global
        .offset:         56
        .size:           8
        .value_kind:     global_buffer
      - .offset:         64
        .size:           8
        .value_kind:     by_value
      - .offset:         72
        .size:           8
        .value_kind:     by_value
      - .offset:         80
        .size:           8
        .value_kind:     by_value
      - .address_space:  global
        .offset:         88
        .size:           8
        .value_kind:     global_buffer
      - .offset:         96
        .size:           8
        .value_kind:     by_value
      - .offset:         104
        .size:           8
        .value_kind:     by_value
      - .address_space:  global
        .offset:         112
        .size:           8
        .value_kind:     global_buffer
      - .offset:         120
        .size:           8
        .value_kind:     by_value
      - .offset:         128
        .size:           8
        .value_kind:     by_value
      - .offset:         136
        .size:           4
        .value_kind:     by_value
    .group_segment_fixed_size: 4096
    .kernarg_segment_align: 8
    .kernarg_segment_size: 140
    .language:       OpenCL C
    .language_version:
      - 2
      - 0
    .max_flat_workgroup_size: 256
    .name:           _ZN12_GLOBAL__N_127rocblas_gemm_batched_kernelI19rocblas_complex_numIfELi16ELi16ELi64ELi64ELi4ELi64ELi4ELi4ELi64ELc78ELc67EKPKS2_S5_KPS2_EEvlllT_PT11_llSA_llS8_PT12_llPT13_lli
    .private_segment_fixed_size: 0
    .sgpr_count:     48
    .sgpr_spill_count: 0
    .symbol:         _ZN12_GLOBAL__N_127rocblas_gemm_batched_kernelI19rocblas_complex_numIfELi16ELi16ELi64ELi64ELi4ELi64ELi4ELi4ELi64ELc78ELc67EKPKS2_S5_KPS2_EEvlllT_PT11_llSA_llS8_PT12_llPT13_lli.kd
    .uniform_work_group_size: 1
    .uses_dynamic_stack: false
    .vgpr_count:     108
    .vgpr_spill_count: 0
    .wavefront_size: 64
  - .agpr_count:     0
    .args:
      - .offset:         0
        .size:           8
        .value_kind:     by_value
      - .offset:         8
        .size:           8
        .value_kind:     by_value
      - .offset:         16
        .size:           8
        .value_kind:     by_value
      - .offset:         24
        .size:           8
        .value_kind:     by_value
      - .address_space:  global
        .offset:         32
        .size:           8
        .value_kind:     global_buffer
      - .offset:         40
        .size:           8
        .value_kind:     by_value
      - .offset:         48
        .size:           8
        .value_kind:     by_value
      - .address_space:  global
        .offset:         56
        .size:           8
        .value_kind:     global_buffer
      - .offset:         64
        .size:           8
        .value_kind:     by_value
      - .offset:         72
        .size:           8
        .value_kind:     by_value
      - .offset:         80
        .size:           8
        .value_kind:     by_value
      - .address_space:  global
        .offset:         88
        .size:           8
        .value_kind:     global_buffer
      - .offset:         96
        .size:           8
        .value_kind:     by_value
      - .offset:         104
        .size:           8
        .value_kind:     by_value
      - .address_space:  global
        .offset:         112
        .size:           8
        .value_kind:     global_buffer
      - .offset:         120
        .size:           8
        .value_kind:     by_value
      - .offset:         128
        .size:           8
        .value_kind:     by_value
      - .offset:         136
        .size:           4
        .value_kind:     by_value
    .group_segment_fixed_size: 4096
    .kernarg_segment_align: 8
    .kernarg_segment_size: 140
    .language:       OpenCL C
    .language_version:
      - 2
      - 0
    .max_flat_workgroup_size: 256
    .name:           _ZN12_GLOBAL__N_127rocblas_gemm_batched_kernelI19rocblas_complex_numIfELi16ELi16ELi64ELi64ELi4ELi64ELi4ELi4ELi64ELc84ELc67EKPKS2_S5_KPS2_EEvlllT_PT11_llSA_llS8_PT12_llPT13_lli
    .private_segment_fixed_size: 0
    .sgpr_count:     48
    .sgpr_spill_count: 0
    .symbol:         _ZN12_GLOBAL__N_127rocblas_gemm_batched_kernelI19rocblas_complex_numIfELi16ELi16ELi64ELi64ELi4ELi64ELi4ELi4ELi64ELc84ELc67EKPKS2_S5_KPS2_EEvlllT_PT11_llSA_llS8_PT12_llPT13_lli.kd
    .uniform_work_group_size: 1
    .uses_dynamic_stack: false
    .vgpr_count:     108
    .vgpr_spill_count: 0
    .wavefront_size: 64
  - .agpr_count:     0
    .args:
      - .offset:         0
        .size:           8
        .value_kind:     by_value
      - .offset:         8
        .size:           8
        .value_kind:     by_value
      - .offset:         16
        .size:           8
        .value_kind:     by_value
      - .offset:         24
        .size:           8
        .value_kind:     by_value
      - .address_space:  global
        .offset:         32
        .size:           8
        .value_kind:     global_buffer
      - .offset:         40
        .size:           8
        .value_kind:     by_value
      - .offset:         48
        .size:           8
        .value_kind:     by_value
      - .address_space:  global
        .offset:         56
        .size:           8
        .value_kind:     global_buffer
      - .offset:         64
        .size:           8
        .value_kind:     by_value
      - .offset:         72
        .size:           8
        .value_kind:     by_value
      - .offset:         80
        .size:           8
        .value_kind:     by_value
      - .address_space:  global
        .offset:         88
        .size:           8
        .value_kind:     global_buffer
      - .offset:         96
        .size:           8
        .value_kind:     by_value
      - .offset:         104
        .size:           8
        .value_kind:     by_value
      - .address_space:  global
        .offset:         112
        .size:           8
        .value_kind:     global_buffer
      - .offset:         120
        .size:           8
        .value_kind:     by_value
      - .offset:         128
        .size:           8
        .value_kind:     by_value
      - .offset:         136
        .size:           4
        .value_kind:     by_value
    .group_segment_fixed_size: 4096
    .kernarg_segment_align: 8
    .kernarg_segment_size: 140
    .language:       OpenCL C
    .language_version:
      - 2
      - 0
    .max_flat_workgroup_size: 256
    .name:           _ZN12_GLOBAL__N_127rocblas_gemm_batched_kernelI19rocblas_complex_numIfELi16ELi16ELi32ELi32ELi8ELi32ELi8ELi8ELi32ELc78ELc78EKPKS2_S5_KPS2_EEvlllT_PT11_llSA_llS8_PT12_llPT13_lli
    .private_segment_fixed_size: 0
    .sgpr_count:     48
    .sgpr_spill_count: 0
    .symbol:         _ZN12_GLOBAL__N_127rocblas_gemm_batched_kernelI19rocblas_complex_numIfELi16ELi16ELi32ELi32ELi8ELi32ELi8ELi8ELi32ELc78ELc78EKPKS2_S5_KPS2_EEvlllT_PT11_llSA_llS8_PT12_llPT13_lli.kd
    .uniform_work_group_size: 1
    .uses_dynamic_stack: false
    .vgpr_count:     102
    .vgpr_spill_count: 0
    .wavefront_size: 64
  - .agpr_count:     0
    .args:
      - .offset:         0
        .size:           8
        .value_kind:     by_value
      - .offset:         8
        .size:           8
        .value_kind:     by_value
      - .offset:         16
        .size:           8
        .value_kind:     by_value
      - .offset:         24
        .size:           8
        .value_kind:     by_value
      - .address_space:  global
        .offset:         32
        .size:           8
        .value_kind:     global_buffer
      - .offset:         40
        .size:           8
        .value_kind:     by_value
      - .offset:         48
        .size:           8
        .value_kind:     by_value
      - .address_space:  global
        .offset:         56
        .size:           8
        .value_kind:     global_buffer
      - .offset:         64
        .size:           8
        .value_kind:     by_value
      - .offset:         72
        .size:           8
        .value_kind:     by_value
      - .offset:         80
        .size:           8
        .value_kind:     by_value
      - .address_space:  global
        .offset:         88
        .size:           8
        .value_kind:     global_buffer
      - .offset:         96
        .size:           8
        .value_kind:     by_value
      - .offset:         104
        .size:           8
        .value_kind:     by_value
      - .address_space:  global
        .offset:         112
        .size:           8
        .value_kind:     global_buffer
      - .offset:         120
        .size:           8
        .value_kind:     by_value
      - .offset:         128
        .size:           8
        .value_kind:     by_value
      - .offset:         136
        .size:           4
        .value_kind:     by_value
    .group_segment_fixed_size: 4096
    .kernarg_segment_align: 8
    .kernarg_segment_size: 140
    .language:       OpenCL C
    .language_version:
      - 2
      - 0
    .max_flat_workgroup_size: 256
    .name:           _ZN12_GLOBAL__N_127rocblas_gemm_batched_kernelI19rocblas_complex_numIfELi16ELi16ELi32ELi32ELi8ELi32ELi8ELi8ELi32ELc84ELc78EKPKS2_S5_KPS2_EEvlllT_PT11_llSA_llS8_PT12_llPT13_lli
    .private_segment_fixed_size: 0
    .sgpr_count:     48
    .sgpr_spill_count: 0
    .symbol:         _ZN12_GLOBAL__N_127rocblas_gemm_batched_kernelI19rocblas_complex_numIfELi16ELi16ELi32ELi32ELi8ELi32ELi8ELi8ELi32ELc84ELc78EKPKS2_S5_KPS2_EEvlllT_PT11_llSA_llS8_PT12_llPT13_lli.kd
    .uniform_work_group_size: 1
    .uses_dynamic_stack: false
    .vgpr_count:     102
    .vgpr_spill_count: 0
    .wavefront_size: 64
  - .agpr_count:     0
    .args:
      - .offset:         0
        .size:           8
        .value_kind:     by_value
      - .offset:         8
        .size:           8
        .value_kind:     by_value
      - .offset:         16
        .size:           8
        .value_kind:     by_value
      - .offset:         24
        .size:           8
        .value_kind:     by_value
      - .address_space:  global
        .offset:         32
        .size:           8
        .value_kind:     global_buffer
      - .offset:         40
        .size:           8
        .value_kind:     by_value
      - .offset:         48
        .size:           8
        .value_kind:     by_value
      - .address_space:  global
        .offset:         56
        .size:           8
        .value_kind:     global_buffer
      - .offset:         64
        .size:           8
        .value_kind:     by_value
      - .offset:         72
        .size:           8
        .value_kind:     by_value
      - .offset:         80
        .size:           8
        .value_kind:     by_value
      - .address_space:  global
        .offset:         88
        .size:           8
        .value_kind:     global_buffer
      - .offset:         96
        .size:           8
        .value_kind:     by_value
      - .offset:         104
        .size:           8
        .value_kind:     by_value
      - .address_space:  global
        .offset:         112
        .size:           8
        .value_kind:     global_buffer
      - .offset:         120
        .size:           8
        .value_kind:     by_value
      - .offset:         128
        .size:           8
        .value_kind:     by_value
      - .offset:         136
        .size:           4
        .value_kind:     by_value
    .group_segment_fixed_size: 4096
    .kernarg_segment_align: 8
    .kernarg_segment_size: 140
    .language:       OpenCL C
    .language_version:
      - 2
      - 0
    .max_flat_workgroup_size: 256
    .name:           _ZN12_GLOBAL__N_127rocblas_gemm_batched_kernelI19rocblas_complex_numIfELi16ELi16ELi32ELi32ELi8ELi32ELi8ELi8ELi32ELc78ELc84EKPKS2_S5_KPS2_EEvlllT_PT11_llSA_llS8_PT12_llPT13_lli
    .private_segment_fixed_size: 0
    .sgpr_count:     48
    .sgpr_spill_count: 0
    .symbol:         _ZN12_GLOBAL__N_127rocblas_gemm_batched_kernelI19rocblas_complex_numIfELi16ELi16ELi32ELi32ELi8ELi32ELi8ELi8ELi32ELc78ELc84EKPKS2_S5_KPS2_EEvlllT_PT11_llSA_llS8_PT12_llPT13_lli.kd
    .uniform_work_group_size: 1
    .uses_dynamic_stack: false
    .vgpr_count:     102
    .vgpr_spill_count: 0
    .wavefront_size: 64
  - .agpr_count:     0
    .args:
      - .offset:         0
        .size:           8
        .value_kind:     by_value
      - .offset:         8
        .size:           8
        .value_kind:     by_value
      - .offset:         16
        .size:           8
        .value_kind:     by_value
      - .offset:         24
        .size:           8
        .value_kind:     by_value
      - .address_space:  global
        .offset:         32
        .size:           8
        .value_kind:     global_buffer
      - .offset:         40
        .size:           8
        .value_kind:     by_value
      - .offset:         48
        .size:           8
        .value_kind:     by_value
      - .address_space:  global
        .offset:         56
        .size:           8
        .value_kind:     global_buffer
      - .offset:         64
        .size:           8
        .value_kind:     by_value
      - .offset:         72
        .size:           8
        .value_kind:     by_value
      - .offset:         80
        .size:           8
        .value_kind:     by_value
      - .address_space:  global
        .offset:         88
        .size:           8
        .value_kind:     global_buffer
      - .offset:         96
        .size:           8
        .value_kind:     by_value
      - .offset:         104
        .size:           8
        .value_kind:     by_value
      - .address_space:  global
        .offset:         112
        .size:           8
        .value_kind:     global_buffer
      - .offset:         120
        .size:           8
        .value_kind:     by_value
      - .offset:         128
        .size:           8
        .value_kind:     by_value
      - .offset:         136
        .size:           4
        .value_kind:     by_value
    .group_segment_fixed_size: 4096
    .kernarg_segment_align: 8
    .kernarg_segment_size: 140
    .language:       OpenCL C
    .language_version:
      - 2
      - 0
    .max_flat_workgroup_size: 256
    .name:           _ZN12_GLOBAL__N_127rocblas_gemm_batched_kernelI19rocblas_complex_numIfELi16ELi16ELi32ELi32ELi8ELi32ELi8ELi8ELi32ELc84ELc84EKPKS2_S5_KPS2_EEvlllT_PT11_llSA_llS8_PT12_llPT13_lli
    .private_segment_fixed_size: 0
    .sgpr_count:     48
    .sgpr_spill_count: 0
    .symbol:         _ZN12_GLOBAL__N_127rocblas_gemm_batched_kernelI19rocblas_complex_numIfELi16ELi16ELi32ELi32ELi8ELi32ELi8ELi8ELi32ELc84ELc84EKPKS2_S5_KPS2_EEvlllT_PT11_llSA_llS8_PT12_llPT13_lli.kd
    .uniform_work_group_size: 1
    .uses_dynamic_stack: false
    .vgpr_count:     102
    .vgpr_spill_count: 0
    .wavefront_size: 64
  - .agpr_count:     0
    .args:
      - .offset:         0
        .size:           8
        .value_kind:     by_value
      - .offset:         8
        .size:           8
        .value_kind:     by_value
      - .offset:         16
        .size:           8
        .value_kind:     by_value
      - .offset:         24
        .size:           8
        .value_kind:     by_value
      - .address_space:  global
        .offset:         32
        .size:           8
        .value_kind:     global_buffer
      - .offset:         40
        .size:           8
        .value_kind:     by_value
      - .offset:         48
        .size:           8
        .value_kind:     by_value
      - .address_space:  global
        .offset:         56
        .size:           8
        .value_kind:     global_buffer
      - .offset:         64
        .size:           8
        .value_kind:     by_value
      - .offset:         72
        .size:           8
        .value_kind:     by_value
      - .offset:         80
        .size:           8
        .value_kind:     by_value
      - .address_space:  global
        .offset:         88
        .size:           8
        .value_kind:     global_buffer
      - .offset:         96
        .size:           8
        .value_kind:     by_value
      - .offset:         104
        .size:           8
        .value_kind:     by_value
      - .address_space:  global
        .offset:         112
        .size:           8
        .value_kind:     global_buffer
      - .offset:         120
        .size:           8
        .value_kind:     by_value
      - .offset:         128
        .size:           8
        .value_kind:     by_value
      - .offset:         136
        .size:           4
        .value_kind:     by_value
    .group_segment_fixed_size: 4096
    .kernarg_segment_align: 8
    .kernarg_segment_size: 140
    .language:       OpenCL C
    .language_version:
      - 2
      - 0
    .max_flat_workgroup_size: 256
    .name:           _ZN12_GLOBAL__N_127rocblas_gemm_batched_kernelI19rocblas_complex_numIfELi16ELi16ELi32ELi32ELi8ELi32ELi8ELi8ELi32ELc67ELc67EKPKS2_S5_KPS2_EEvlllT_PT11_llSA_llS8_PT12_llPT13_lli
    .private_segment_fixed_size: 0
    .sgpr_count:     48
    .sgpr_spill_count: 0
    .symbol:         _ZN12_GLOBAL__N_127rocblas_gemm_batched_kernelI19rocblas_complex_numIfELi16ELi16ELi32ELi32ELi8ELi32ELi8ELi8ELi32ELc67ELc67EKPKS2_S5_KPS2_EEvlllT_PT11_llSA_llS8_PT12_llPT13_lli.kd
    .uniform_work_group_size: 1
    .uses_dynamic_stack: false
    .vgpr_count:     102
    .vgpr_spill_count: 0
    .wavefront_size: 64
  - .agpr_count:     0
    .args:
      - .offset:         0
        .size:           8
        .value_kind:     by_value
      - .offset:         8
        .size:           8
        .value_kind:     by_value
      - .offset:         16
        .size:           8
        .value_kind:     by_value
      - .offset:         24
        .size:           8
        .value_kind:     by_value
      - .address_space:  global
        .offset:         32
        .size:           8
        .value_kind:     global_buffer
      - .offset:         40
        .size:           8
        .value_kind:     by_value
      - .offset:         48
        .size:           8
        .value_kind:     by_value
      - .address_space:  global
        .offset:         56
        .size:           8
        .value_kind:     global_buffer
      - .offset:         64
        .size:           8
        .value_kind:     by_value
      - .offset:         72
        .size:           8
        .value_kind:     by_value
      - .offset:         80
        .size:           8
        .value_kind:     by_value
      - .address_space:  global
        .offset:         88
        .size:           8
        .value_kind:     global_buffer
      - .offset:         96
        .size:           8
        .value_kind:     by_value
      - .offset:         104
        .size:           8
        .value_kind:     by_value
      - .address_space:  global
        .offset:         112
        .size:           8
        .value_kind:     global_buffer
      - .offset:         120
        .size:           8
        .value_kind:     by_value
      - .offset:         128
        .size:           8
        .value_kind:     by_value
      - .offset:         136
        .size:           4
        .value_kind:     by_value
    .group_segment_fixed_size: 4096
    .kernarg_segment_align: 8
    .kernarg_segment_size: 140
    .language:       OpenCL C
    .language_version:
      - 2
      - 0
    .max_flat_workgroup_size: 256
    .name:           _ZN12_GLOBAL__N_127rocblas_gemm_batched_kernelI19rocblas_complex_numIfELi16ELi16ELi32ELi32ELi8ELi32ELi8ELi8ELi32ELc67ELc78EKPKS2_S5_KPS2_EEvlllT_PT11_llSA_llS8_PT12_llPT13_lli
    .private_segment_fixed_size: 0
    .sgpr_count:     48
    .sgpr_spill_count: 0
    .symbol:         _ZN12_GLOBAL__N_127rocblas_gemm_batched_kernelI19rocblas_complex_numIfELi16ELi16ELi32ELi32ELi8ELi32ELi8ELi8ELi32ELc67ELc78EKPKS2_S5_KPS2_EEvlllT_PT11_llSA_llS8_PT12_llPT13_lli.kd
    .uniform_work_group_size: 1
    .uses_dynamic_stack: false
    .vgpr_count:     102
    .vgpr_spill_count: 0
    .wavefront_size: 64
  - .agpr_count:     0
    .args:
      - .offset:         0
        .size:           8
        .value_kind:     by_value
      - .offset:         8
        .size:           8
        .value_kind:     by_value
      - .offset:         16
        .size:           8
        .value_kind:     by_value
      - .offset:         24
        .size:           8
        .value_kind:     by_value
      - .address_space:  global
        .offset:         32
        .size:           8
        .value_kind:     global_buffer
      - .offset:         40
        .size:           8
        .value_kind:     by_value
      - .offset:         48
        .size:           8
        .value_kind:     by_value
      - .address_space:  global
        .offset:         56
        .size:           8
        .value_kind:     global_buffer
      - .offset:         64
        .size:           8
        .value_kind:     by_value
      - .offset:         72
        .size:           8
        .value_kind:     by_value
      - .offset:         80
        .size:           8
        .value_kind:     by_value
      - .address_space:  global
        .offset:         88
        .size:           8
        .value_kind:     global_buffer
      - .offset:         96
        .size:           8
        .value_kind:     by_value
      - .offset:         104
        .size:           8
        .value_kind:     by_value
      - .address_space:  global
        .offset:         112
        .size:           8
        .value_kind:     global_buffer
      - .offset:         120
        .size:           8
        .value_kind:     by_value
      - .offset:         128
        .size:           8
        .value_kind:     by_value
      - .offset:         136
        .size:           4
        .value_kind:     by_value
    .group_segment_fixed_size: 4096
    .kernarg_segment_align: 8
    .kernarg_segment_size: 140
    .language:       OpenCL C
    .language_version:
      - 2
      - 0
    .max_flat_workgroup_size: 256
    .name:           _ZN12_GLOBAL__N_127rocblas_gemm_batched_kernelI19rocblas_complex_numIfELi16ELi16ELi32ELi32ELi8ELi32ELi8ELi8ELi32ELc67ELc84EKPKS2_S5_KPS2_EEvlllT_PT11_llSA_llS8_PT12_llPT13_lli
    .private_segment_fixed_size: 0
    .sgpr_count:     48
    .sgpr_spill_count: 0
    .symbol:         _ZN12_GLOBAL__N_127rocblas_gemm_batched_kernelI19rocblas_complex_numIfELi16ELi16ELi32ELi32ELi8ELi32ELi8ELi8ELi32ELc67ELc84EKPKS2_S5_KPS2_EEvlllT_PT11_llSA_llS8_PT12_llPT13_lli.kd
    .uniform_work_group_size: 1
    .uses_dynamic_stack: false
    .vgpr_count:     102
    .vgpr_spill_count: 0
    .wavefront_size: 64
  - .agpr_count:     0
    .args:
      - .offset:         0
        .size:           8
        .value_kind:     by_value
      - .offset:         8
        .size:           8
        .value_kind:     by_value
      - .offset:         16
        .size:           8
        .value_kind:     by_value
      - .offset:         24
        .size:           8
        .value_kind:     by_value
      - .address_space:  global
        .offset:         32
        .size:           8
        .value_kind:     global_buffer
      - .offset:         40
        .size:           8
        .value_kind:     by_value
      - .offset:         48
        .size:           8
        .value_kind:     by_value
      - .address_space:  global
        .offset:         56
        .size:           8
        .value_kind:     global_buffer
      - .offset:         64
        .size:           8
        .value_kind:     by_value
      - .offset:         72
        .size:           8
        .value_kind:     by_value
      - .offset:         80
        .size:           8
        .value_kind:     by_value
      - .address_space:  global
        .offset:         88
        .size:           8
        .value_kind:     global_buffer
      - .offset:         96
        .size:           8
        .value_kind:     by_value
      - .offset:         104
        .size:           8
        .value_kind:     by_value
      - .address_space:  global
        .offset:         112
        .size:           8
        .value_kind:     global_buffer
      - .offset:         120
        .size:           8
        .value_kind:     by_value
      - .offset:         128
        .size:           8
        .value_kind:     by_value
      - .offset:         136
        .size:           4
        .value_kind:     by_value
    .group_segment_fixed_size: 4096
    .kernarg_segment_align: 8
    .kernarg_segment_size: 140
    .language:       OpenCL C
    .language_version:
      - 2
      - 0
    .max_flat_workgroup_size: 256
    .name:           _ZN12_GLOBAL__N_127rocblas_gemm_batched_kernelI19rocblas_complex_numIfELi16ELi16ELi32ELi32ELi8ELi32ELi8ELi8ELi32ELc78ELc67EKPKS2_S5_KPS2_EEvlllT_PT11_llSA_llS8_PT12_llPT13_lli
    .private_segment_fixed_size: 0
    .sgpr_count:     48
    .sgpr_spill_count: 0
    .symbol:         _ZN12_GLOBAL__N_127rocblas_gemm_batched_kernelI19rocblas_complex_numIfELi16ELi16ELi32ELi32ELi8ELi32ELi8ELi8ELi32ELc78ELc67EKPKS2_S5_KPS2_EEvlllT_PT11_llSA_llS8_PT12_llPT13_lli.kd
    .uniform_work_group_size: 1
    .uses_dynamic_stack: false
    .vgpr_count:     102
    .vgpr_spill_count: 0
    .wavefront_size: 64
  - .agpr_count:     0
    .args:
      - .offset:         0
        .size:           8
        .value_kind:     by_value
      - .offset:         8
        .size:           8
        .value_kind:     by_value
      - .offset:         16
        .size:           8
        .value_kind:     by_value
      - .offset:         24
        .size:           8
        .value_kind:     by_value
      - .address_space:  global
        .offset:         32
        .size:           8
        .value_kind:     global_buffer
      - .offset:         40
        .size:           8
        .value_kind:     by_value
      - .offset:         48
        .size:           8
        .value_kind:     by_value
      - .address_space:  global
        .offset:         56
        .size:           8
        .value_kind:     global_buffer
      - .offset:         64
        .size:           8
        .value_kind:     by_value
      - .offset:         72
        .size:           8
        .value_kind:     by_value
      - .offset:         80
        .size:           8
        .value_kind:     by_value
      - .address_space:  global
        .offset:         88
        .size:           8
        .value_kind:     global_buffer
      - .offset:         96
        .size:           8
        .value_kind:     by_value
      - .offset:         104
        .size:           8
        .value_kind:     by_value
      - .address_space:  global
        .offset:         112
        .size:           8
        .value_kind:     global_buffer
      - .offset:         120
        .size:           8
        .value_kind:     by_value
      - .offset:         128
        .size:           8
        .value_kind:     by_value
      - .offset:         136
        .size:           4
        .value_kind:     by_value
    .group_segment_fixed_size: 4096
    .kernarg_segment_align: 8
    .kernarg_segment_size: 140
    .language:       OpenCL C
    .language_version:
      - 2
      - 0
    .max_flat_workgroup_size: 256
    .name:           _ZN12_GLOBAL__N_127rocblas_gemm_batched_kernelI19rocblas_complex_numIfELi16ELi16ELi32ELi32ELi8ELi32ELi8ELi8ELi32ELc84ELc67EKPKS2_S5_KPS2_EEvlllT_PT11_llSA_llS8_PT12_llPT13_lli
    .private_segment_fixed_size: 0
    .sgpr_count:     48
    .sgpr_spill_count: 0
    .symbol:         _ZN12_GLOBAL__N_127rocblas_gemm_batched_kernelI19rocblas_complex_numIfELi16ELi16ELi32ELi32ELi8ELi32ELi8ELi8ELi32ELc84ELc67EKPKS2_S5_KPS2_EEvlllT_PT11_llSA_llS8_PT12_llPT13_lli.kd
    .uniform_work_group_size: 1
    .uses_dynamic_stack: false
    .vgpr_count:     102
    .vgpr_spill_count: 0
    .wavefront_size: 64
  - .agpr_count:     0
    .args:
      - .offset:         0
        .size:           8
        .value_kind:     by_value
      - .offset:         8
        .size:           8
        .value_kind:     by_value
      - .offset:         16
        .size:           8
        .value_kind:     by_value
      - .offset:         24
        .size:           8
        .value_kind:     by_value
      - .address_space:  global
        .offset:         32
        .size:           8
        .value_kind:     global_buffer
      - .offset:         40
        .size:           8
        .value_kind:     by_value
      - .offset:         48
        .size:           8
        .value_kind:     by_value
      - .address_space:  global
        .offset:         56
        .size:           8
        .value_kind:     global_buffer
      - .offset:         64
        .size:           8
        .value_kind:     by_value
      - .offset:         72
        .size:           8
        .value_kind:     by_value
      - .offset:         80
        .size:           8
        .value_kind:     by_value
      - .address_space:  global
        .offset:         88
        .size:           8
        .value_kind:     global_buffer
      - .offset:         96
        .size:           8
        .value_kind:     by_value
      - .offset:         104
        .size:           8
        .value_kind:     by_value
      - .address_space:  global
        .offset:         112
        .size:           8
        .value_kind:     global_buffer
      - .offset:         120
        .size:           8
        .value_kind:     by_value
      - .offset:         128
        .size:           8
        .value_kind:     by_value
      - .offset:         136
        .size:           4
        .value_kind:     by_value
    .group_segment_fixed_size: 4096
    .kernarg_segment_align: 8
    .kernarg_segment_size: 140
    .language:       OpenCL C
    .language_version:
      - 2
      - 0
    .max_flat_workgroup_size: 256
    .name:           _ZN12_GLOBAL__N_135rocblas_gemm_batched_general_kernelI19rocblas_complex_numIfELi16ELi16ELi32ELi32ELi8ELi32ELi8ELi8ELi32ELc78ELc78EKPKS2_S5_KPS2_EEvlllT_PT11_llSA_llS8_PT12_llPT13_lli
    .private_segment_fixed_size: 0
    .sgpr_count:     54
    .sgpr_spill_count: 0
    .symbol:         _ZN12_GLOBAL__N_135rocblas_gemm_batched_general_kernelI19rocblas_complex_numIfELi16ELi16ELi32ELi32ELi8ELi32ELi8ELi8ELi32ELc78ELc78EKPKS2_S5_KPS2_EEvlllT_PT11_llSA_llS8_PT12_llPT13_lli.kd
    .uniform_work_group_size: 1
    .uses_dynamic_stack: false
    .vgpr_count:     136
    .vgpr_spill_count: 0
    .wavefront_size: 64
  - .agpr_count:     0
    .args:
      - .offset:         0
        .size:           8
        .value_kind:     by_value
      - .offset:         8
        .size:           8
        .value_kind:     by_value
      - .offset:         16
        .size:           8
        .value_kind:     by_value
      - .offset:         24
        .size:           8
        .value_kind:     by_value
      - .address_space:  global
        .offset:         32
        .size:           8
        .value_kind:     global_buffer
      - .offset:         40
        .size:           8
        .value_kind:     by_value
      - .offset:         48
        .size:           8
        .value_kind:     by_value
      - .address_space:  global
        .offset:         56
        .size:           8
        .value_kind:     global_buffer
      - .offset:         64
        .size:           8
        .value_kind:     by_value
      - .offset:         72
        .size:           8
        .value_kind:     by_value
      - .offset:         80
        .size:           8
        .value_kind:     by_value
      - .address_space:  global
        .offset:         88
        .size:           8
        .value_kind:     global_buffer
      - .offset:         96
        .size:           8
        .value_kind:     by_value
      - .offset:         104
        .size:           8
        .value_kind:     by_value
      - .address_space:  global
        .offset:         112
        .size:           8
        .value_kind:     global_buffer
      - .offset:         120
        .size:           8
        .value_kind:     by_value
      - .offset:         128
        .size:           8
        .value_kind:     by_value
      - .offset:         136
        .size:           4
        .value_kind:     by_value
    .group_segment_fixed_size: 4096
    .kernarg_segment_align: 8
    .kernarg_segment_size: 140
    .language:       OpenCL C
    .language_version:
      - 2
      - 0
    .max_flat_workgroup_size: 256
    .name:           _ZN12_GLOBAL__N_135rocblas_gemm_batched_general_kernelI19rocblas_complex_numIfELi16ELi16ELi32ELi32ELi8ELi32ELi8ELi8ELi32ELc84ELc78EKPKS2_S5_KPS2_EEvlllT_PT11_llSA_llS8_PT12_llPT13_lli
    .private_segment_fixed_size: 0
    .sgpr_count:     54
    .sgpr_spill_count: 0
    .symbol:         _ZN12_GLOBAL__N_135rocblas_gemm_batched_general_kernelI19rocblas_complex_numIfELi16ELi16ELi32ELi32ELi8ELi32ELi8ELi8ELi32ELc84ELc78EKPKS2_S5_KPS2_EEvlllT_PT11_llSA_llS8_PT12_llPT13_lli.kd
    .uniform_work_group_size: 1
    .uses_dynamic_stack: false
    .vgpr_count:     136
    .vgpr_spill_count: 0
    .wavefront_size: 64
  - .agpr_count:     0
    .args:
      - .offset:         0
        .size:           8
        .value_kind:     by_value
      - .offset:         8
        .size:           8
        .value_kind:     by_value
      - .offset:         16
        .size:           8
        .value_kind:     by_value
      - .offset:         24
        .size:           8
        .value_kind:     by_value
      - .address_space:  global
        .offset:         32
        .size:           8
        .value_kind:     global_buffer
      - .offset:         40
        .size:           8
        .value_kind:     by_value
      - .offset:         48
        .size:           8
        .value_kind:     by_value
      - .address_space:  global
        .offset:         56
        .size:           8
        .value_kind:     global_buffer
      - .offset:         64
        .size:           8
        .value_kind:     by_value
      - .offset:         72
        .size:           8
        .value_kind:     by_value
      - .offset:         80
        .size:           8
        .value_kind:     by_value
      - .address_space:  global
        .offset:         88
        .size:           8
        .value_kind:     global_buffer
      - .offset:         96
        .size:           8
        .value_kind:     by_value
      - .offset:         104
        .size:           8
        .value_kind:     by_value
      - .address_space:  global
        .offset:         112
        .size:           8
        .value_kind:     global_buffer
      - .offset:         120
        .size:           8
        .value_kind:     by_value
      - .offset:         128
        .size:           8
        .value_kind:     by_value
      - .offset:         136
        .size:           4
        .value_kind:     by_value
    .group_segment_fixed_size: 4096
    .kernarg_segment_align: 8
    .kernarg_segment_size: 140
    .language:       OpenCL C
    .language_version:
      - 2
      - 0
    .max_flat_workgroup_size: 256
    .name:           _ZN12_GLOBAL__N_135rocblas_gemm_batched_general_kernelI19rocblas_complex_numIfELi16ELi16ELi32ELi32ELi8ELi32ELi8ELi8ELi32ELc78ELc84EKPKS2_S5_KPS2_EEvlllT_PT11_llSA_llS8_PT12_llPT13_lli
    .private_segment_fixed_size: 0
    .sgpr_count:     56
    .sgpr_spill_count: 0
    .symbol:         _ZN12_GLOBAL__N_135rocblas_gemm_batched_general_kernelI19rocblas_complex_numIfELi16ELi16ELi32ELi32ELi8ELi32ELi8ELi8ELi32ELc78ELc84EKPKS2_S5_KPS2_EEvlllT_PT11_llSA_llS8_PT12_llPT13_lli.kd
    .uniform_work_group_size: 1
    .uses_dynamic_stack: false
    .vgpr_count:     136
    .vgpr_spill_count: 0
    .wavefront_size: 64
  - .agpr_count:     0
    .args:
      - .offset:         0
        .size:           8
        .value_kind:     by_value
      - .offset:         8
        .size:           8
        .value_kind:     by_value
      - .offset:         16
        .size:           8
        .value_kind:     by_value
      - .offset:         24
        .size:           8
        .value_kind:     by_value
      - .address_space:  global
        .offset:         32
        .size:           8
        .value_kind:     global_buffer
      - .offset:         40
        .size:           8
        .value_kind:     by_value
      - .offset:         48
        .size:           8
        .value_kind:     by_value
      - .address_space:  global
        .offset:         56
        .size:           8
        .value_kind:     global_buffer
      - .offset:         64
        .size:           8
        .value_kind:     by_value
      - .offset:         72
        .size:           8
        .value_kind:     by_value
      - .offset:         80
        .size:           8
        .value_kind:     by_value
      - .address_space:  global
        .offset:         88
        .size:           8
        .value_kind:     global_buffer
      - .offset:         96
        .size:           8
        .value_kind:     by_value
      - .offset:         104
        .size:           8
        .value_kind:     by_value
      - .address_space:  global
        .offset:         112
        .size:           8
        .value_kind:     global_buffer
      - .offset:         120
        .size:           8
        .value_kind:     by_value
      - .offset:         128
        .size:           8
        .value_kind:     by_value
      - .offset:         136
        .size:           4
        .value_kind:     by_value
    .group_segment_fixed_size: 4096
    .kernarg_segment_align: 8
    .kernarg_segment_size: 140
    .language:       OpenCL C
    .language_version:
      - 2
      - 0
    .max_flat_workgroup_size: 256
    .name:           _ZN12_GLOBAL__N_135rocblas_gemm_batched_general_kernelI19rocblas_complex_numIfELi16ELi16ELi32ELi32ELi8ELi32ELi8ELi8ELi32ELc84ELc84EKPKS2_S5_KPS2_EEvlllT_PT11_llSA_llS8_PT12_llPT13_lli
    .private_segment_fixed_size: 0
    .sgpr_count:     54
    .sgpr_spill_count: 0
    .symbol:         _ZN12_GLOBAL__N_135rocblas_gemm_batched_general_kernelI19rocblas_complex_numIfELi16ELi16ELi32ELi32ELi8ELi32ELi8ELi8ELi32ELc84ELc84EKPKS2_S5_KPS2_EEvlllT_PT11_llSA_llS8_PT12_llPT13_lli.kd
    .uniform_work_group_size: 1
    .uses_dynamic_stack: false
    .vgpr_count:     136
    .vgpr_spill_count: 0
    .wavefront_size: 64
  - .agpr_count:     0
    .args:
      - .offset:         0
        .size:           8
        .value_kind:     by_value
      - .offset:         8
        .size:           8
        .value_kind:     by_value
      - .offset:         16
        .size:           8
        .value_kind:     by_value
      - .offset:         24
        .size:           8
        .value_kind:     by_value
      - .address_space:  global
        .offset:         32
        .size:           8
        .value_kind:     global_buffer
      - .offset:         40
        .size:           8
        .value_kind:     by_value
      - .offset:         48
        .size:           8
        .value_kind:     by_value
      - .address_space:  global
        .offset:         56
        .size:           8
        .value_kind:     global_buffer
      - .offset:         64
        .size:           8
        .value_kind:     by_value
      - .offset:         72
        .size:           8
        .value_kind:     by_value
      - .offset:         80
        .size:           8
        .value_kind:     by_value
      - .address_space:  global
        .offset:         88
        .size:           8
        .value_kind:     global_buffer
      - .offset:         96
        .size:           8
        .value_kind:     by_value
      - .offset:         104
        .size:           8
        .value_kind:     by_value
      - .address_space:  global
        .offset:         112
        .size:           8
        .value_kind:     global_buffer
      - .offset:         120
        .size:           8
        .value_kind:     by_value
      - .offset:         128
        .size:           8
        .value_kind:     by_value
      - .offset:         136
        .size:           4
        .value_kind:     by_value
    .group_segment_fixed_size: 4096
    .kernarg_segment_align: 8
    .kernarg_segment_size: 140
    .language:       OpenCL C
    .language_version:
      - 2
      - 0
    .max_flat_workgroup_size: 256
    .name:           _ZN12_GLOBAL__N_135rocblas_gemm_batched_general_kernelI19rocblas_complex_numIfELi16ELi16ELi32ELi32ELi8ELi32ELi8ELi8ELi32ELc67ELc67EKPKS2_S5_KPS2_EEvlllT_PT11_llSA_llS8_PT12_llPT13_lli
    .private_segment_fixed_size: 0
    .sgpr_count:     52
    .sgpr_spill_count: 0
    .symbol:         _ZN12_GLOBAL__N_135rocblas_gemm_batched_general_kernelI19rocblas_complex_numIfELi16ELi16ELi32ELi32ELi8ELi32ELi8ELi8ELi32ELc67ELc67EKPKS2_S5_KPS2_EEvlllT_PT11_llSA_llS8_PT12_llPT13_lli.kd
    .uniform_work_group_size: 1
    .uses_dynamic_stack: false
    .vgpr_count:     136
    .vgpr_spill_count: 0
    .wavefront_size: 64
  - .agpr_count:     0
    .args:
      - .offset:         0
        .size:           8
        .value_kind:     by_value
      - .offset:         8
        .size:           8
        .value_kind:     by_value
      - .offset:         16
        .size:           8
        .value_kind:     by_value
      - .offset:         24
        .size:           8
        .value_kind:     by_value
      - .address_space:  global
        .offset:         32
        .size:           8
        .value_kind:     global_buffer
      - .offset:         40
        .size:           8
        .value_kind:     by_value
      - .offset:         48
        .size:           8
        .value_kind:     by_value
      - .address_space:  global
        .offset:         56
        .size:           8
        .value_kind:     global_buffer
      - .offset:         64
        .size:           8
        .value_kind:     by_value
      - .offset:         72
        .size:           8
        .value_kind:     by_value
      - .offset:         80
        .size:           8
        .value_kind:     by_value
      - .address_space:  global
        .offset:         88
        .size:           8
        .value_kind:     global_buffer
      - .offset:         96
        .size:           8
        .value_kind:     by_value
      - .offset:         104
        .size:           8
        .value_kind:     by_value
      - .address_space:  global
        .offset:         112
        .size:           8
        .value_kind:     global_buffer
      - .offset:         120
        .size:           8
        .value_kind:     by_value
      - .offset:         128
        .size:           8
        .value_kind:     by_value
      - .offset:         136
        .size:           4
        .value_kind:     by_value
    .group_segment_fixed_size: 4096
    .kernarg_segment_align: 8
    .kernarg_segment_size: 140
    .language:       OpenCL C
    .language_version:
      - 2
      - 0
    .max_flat_workgroup_size: 256
    .name:           _ZN12_GLOBAL__N_135rocblas_gemm_batched_general_kernelI19rocblas_complex_numIfELi16ELi16ELi32ELi32ELi8ELi32ELi8ELi8ELi32ELc67ELc78EKPKS2_S5_KPS2_EEvlllT_PT11_llSA_llS8_PT12_llPT13_lli
    .private_segment_fixed_size: 0
    .sgpr_count:     50
    .sgpr_spill_count: 0
    .symbol:         _ZN12_GLOBAL__N_135rocblas_gemm_batched_general_kernelI19rocblas_complex_numIfELi16ELi16ELi32ELi32ELi8ELi32ELi8ELi8ELi32ELc67ELc78EKPKS2_S5_KPS2_EEvlllT_PT11_llSA_llS8_PT12_llPT13_lli.kd
    .uniform_work_group_size: 1
    .uses_dynamic_stack: false
    .vgpr_count:     136
    .vgpr_spill_count: 0
    .wavefront_size: 64
  - .agpr_count:     0
    .args:
      - .offset:         0
        .size:           8
        .value_kind:     by_value
      - .offset:         8
        .size:           8
        .value_kind:     by_value
      - .offset:         16
        .size:           8
        .value_kind:     by_value
      - .offset:         24
        .size:           8
        .value_kind:     by_value
      - .address_space:  global
        .offset:         32
        .size:           8
        .value_kind:     global_buffer
      - .offset:         40
        .size:           8
        .value_kind:     by_value
      - .offset:         48
        .size:           8
        .value_kind:     by_value
      - .address_space:  global
        .offset:         56
        .size:           8
        .value_kind:     global_buffer
      - .offset:         64
        .size:           8
        .value_kind:     by_value
      - .offset:         72
        .size:           8
        .value_kind:     by_value
      - .offset:         80
        .size:           8
        .value_kind:     by_value
      - .address_space:  global
        .offset:         88
        .size:           8
        .value_kind:     global_buffer
      - .offset:         96
        .size:           8
        .value_kind:     by_value
      - .offset:         104
        .size:           8
        .value_kind:     by_value
      - .address_space:  global
        .offset:         112
        .size:           8
        .value_kind:     global_buffer
      - .offset:         120
        .size:           8
        .value_kind:     by_value
      - .offset:         128
        .size:           8
        .value_kind:     by_value
      - .offset:         136
        .size:           4
        .value_kind:     by_value
    .group_segment_fixed_size: 4096
    .kernarg_segment_align: 8
    .kernarg_segment_size: 140
    .language:       OpenCL C
    .language_version:
      - 2
      - 0
    .max_flat_workgroup_size: 256
    .name:           _ZN12_GLOBAL__N_135rocblas_gemm_batched_general_kernelI19rocblas_complex_numIfELi16ELi16ELi32ELi32ELi8ELi32ELi8ELi8ELi32ELc67ELc84EKPKS2_S5_KPS2_EEvlllT_PT11_llSA_llS8_PT12_llPT13_lli
    .private_segment_fixed_size: 0
    .sgpr_count:     52
    .sgpr_spill_count: 0
    .symbol:         _ZN12_GLOBAL__N_135rocblas_gemm_batched_general_kernelI19rocblas_complex_numIfELi16ELi16ELi32ELi32ELi8ELi32ELi8ELi8ELi32ELc67ELc84EKPKS2_S5_KPS2_EEvlllT_PT11_llSA_llS8_PT12_llPT13_lli.kd
    .uniform_work_group_size: 1
    .uses_dynamic_stack: false
    .vgpr_count:     136
    .vgpr_spill_count: 0
    .wavefront_size: 64
  - .agpr_count:     0
    .args:
      - .offset:         0
        .size:           8
        .value_kind:     by_value
      - .offset:         8
        .size:           8
        .value_kind:     by_value
      - .offset:         16
        .size:           8
        .value_kind:     by_value
      - .offset:         24
        .size:           8
        .value_kind:     by_value
      - .address_space:  global
        .offset:         32
        .size:           8
        .value_kind:     global_buffer
      - .offset:         40
        .size:           8
        .value_kind:     by_value
      - .offset:         48
        .size:           8
        .value_kind:     by_value
      - .address_space:  global
        .offset:         56
        .size:           8
        .value_kind:     global_buffer
      - .offset:         64
        .size:           8
        .value_kind:     by_value
      - .offset:         72
        .size:           8
        .value_kind:     by_value
      - .offset:         80
        .size:           8
        .value_kind:     by_value
      - .address_space:  global
        .offset:         88
        .size:           8
        .value_kind:     global_buffer
      - .offset:         96
        .size:           8
        .value_kind:     by_value
      - .offset:         104
        .size:           8
        .value_kind:     by_value
      - .address_space:  global
        .offset:         112
        .size:           8
        .value_kind:     global_buffer
      - .offset:         120
        .size:           8
        .value_kind:     by_value
      - .offset:         128
        .size:           8
        .value_kind:     by_value
      - .offset:         136
        .size:           4
        .value_kind:     by_value
    .group_segment_fixed_size: 4096
    .kernarg_segment_align: 8
    .kernarg_segment_size: 140
    .language:       OpenCL C
    .language_version:
      - 2
      - 0
    .max_flat_workgroup_size: 256
    .name:           _ZN12_GLOBAL__N_135rocblas_gemm_batched_general_kernelI19rocblas_complex_numIfELi16ELi16ELi32ELi32ELi8ELi32ELi8ELi8ELi32ELc78ELc67EKPKS2_S5_KPS2_EEvlllT_PT11_llSA_llS8_PT12_llPT13_lli
    .private_segment_fixed_size: 0
    .sgpr_count:     54
    .sgpr_spill_count: 0
    .symbol:         _ZN12_GLOBAL__N_135rocblas_gemm_batched_general_kernelI19rocblas_complex_numIfELi16ELi16ELi32ELi32ELi8ELi32ELi8ELi8ELi32ELc78ELc67EKPKS2_S5_KPS2_EEvlllT_PT11_llSA_llS8_PT12_llPT13_lli.kd
    .uniform_work_group_size: 1
    .uses_dynamic_stack: false
    .vgpr_count:     136
    .vgpr_spill_count: 0
    .wavefront_size: 64
  - .agpr_count:     0
    .args:
      - .offset:         0
        .size:           8
        .value_kind:     by_value
      - .offset:         8
        .size:           8
        .value_kind:     by_value
      - .offset:         16
        .size:           8
        .value_kind:     by_value
      - .offset:         24
        .size:           8
        .value_kind:     by_value
      - .address_space:  global
        .offset:         32
        .size:           8
        .value_kind:     global_buffer
      - .offset:         40
        .size:           8
        .value_kind:     by_value
      - .offset:         48
        .size:           8
        .value_kind:     by_value
      - .address_space:  global
        .offset:         56
        .size:           8
        .value_kind:     global_buffer
      - .offset:         64
        .size:           8
        .value_kind:     by_value
      - .offset:         72
        .size:           8
        .value_kind:     by_value
      - .offset:         80
        .size:           8
        .value_kind:     by_value
      - .address_space:  global
        .offset:         88
        .size:           8
        .value_kind:     global_buffer
      - .offset:         96
        .size:           8
        .value_kind:     by_value
      - .offset:         104
        .size:           8
        .value_kind:     by_value
      - .address_space:  global
        .offset:         112
        .size:           8
        .value_kind:     global_buffer
      - .offset:         120
        .size:           8
        .value_kind:     by_value
      - .offset:         128
        .size:           8
        .value_kind:     by_value
      - .offset:         136
        .size:           4
        .value_kind:     by_value
    .group_segment_fixed_size: 4096
    .kernarg_segment_align: 8
    .kernarg_segment_size: 140
    .language:       OpenCL C
    .language_version:
      - 2
      - 0
    .max_flat_workgroup_size: 256
    .name:           _ZN12_GLOBAL__N_135rocblas_gemm_batched_general_kernelI19rocblas_complex_numIfELi16ELi16ELi32ELi32ELi8ELi32ELi8ELi8ELi32ELc84ELc67EKPKS2_S5_KPS2_EEvlllT_PT11_llSA_llS8_PT12_llPT13_lli
    .private_segment_fixed_size: 0
    .sgpr_count:     52
    .sgpr_spill_count: 0
    .symbol:         _ZN12_GLOBAL__N_135rocblas_gemm_batched_general_kernelI19rocblas_complex_numIfELi16ELi16ELi32ELi32ELi8ELi32ELi8ELi8ELi32ELc84ELc67EKPKS2_S5_KPS2_EEvlllT_PT11_llSA_llS8_PT12_llPT13_lli.kd
    .uniform_work_group_size: 1
    .uses_dynamic_stack: false
    .vgpr_count:     136
    .vgpr_spill_count: 0
    .wavefront_size: 64
  - .agpr_count:     0
    .args:
      - .offset:         0
        .size:           4
        .value_kind:     by_value
      - .offset:         4
        .size:           4
        .value_kind:     by_value
      - .offset:         8
        .size:           16
        .value_kind:     by_value
      - .address_space:  global
        .offset:         24
        .size:           8
        .value_kind:     global_buffer
      - .offset:         32
        .size:           8
        .value_kind:     by_value
      - .offset:         40
        .size:           8
        .value_kind:     by_value
      - .offset:         48
        .size:           8
        .value_kind:     by_value
      - .offset:         56
        .size:           4
        .value_kind:     by_value
    .group_segment_fixed_size: 0
    .kernarg_segment_align: 8
    .kernarg_segment_size: 60
    .language:       OpenCL C
    .language_version:
      - 2
      - 0
    .max_flat_workgroup_size: 1024
    .name:           _ZN12_GLOBAL__N_125rocblas_gemm_scale_kernelILi32ELi32E19rocblas_complex_numIdEPKPS2_EEviiT1_T2_llli
    .private_segment_fixed_size: 0
    .sgpr_count:     22
    .sgpr_spill_count: 0
    .symbol:         _ZN12_GLOBAL__N_125rocblas_gemm_scale_kernelILi32ELi32E19rocblas_complex_numIdEPKPS2_EEviiT1_T2_llli.kd
    .uniform_work_group_size: 1
    .uses_dynamic_stack: false
    .vgpr_count:     12
    .vgpr_spill_count: 0
    .wavefront_size: 64
  - .agpr_count:     0
    .args:
      - .offset:         0
        .size:           4
        .value_kind:     by_value
      - .offset:         4
        .size:           4
        .value_kind:     by_value
      - .offset:         8
        .size:           16
        .value_kind:     by_value
      - .address_space:  global
        .offset:         24
        .size:           8
        .value_kind:     global_buffer
      - .offset:         32
        .size:           8
        .value_kind:     by_value
      - .offset:         40
        .size:           8
        .value_kind:     by_value
      - .offset:         48
        .size:           8
        .value_kind:     by_value
      - .address_space:  global
        .offset:         56
        .size:           8
        .value_kind:     global_buffer
      - .offset:         64
        .size:           8
        .value_kind:     by_value
      - .offset:         72
        .size:           8
        .value_kind:     by_value
      - .offset:         80
        .size:           8
        .value_kind:     by_value
      - .offset:         88
        .size:           4
        .value_kind:     by_value
    .group_segment_fixed_size: 0
    .kernarg_segment_align: 8
    .kernarg_segment_size: 92
    .language:       OpenCL C
    .language_version:
      - 2
      - 0
    .max_flat_workgroup_size: 1024
    .name:           _ZN12_GLOBAL__N_120gemm_ex_scale_kernelILi32ELi32E19rocblas_complex_numIdEPKPKS2_PKPS2_EEviiT1_T2_lllT3_llli
    .private_segment_fixed_size: 0
    .sgpr_count:     28
    .sgpr_spill_count: 0
    .symbol:         _ZN12_GLOBAL__N_120gemm_ex_scale_kernelILi32ELi32E19rocblas_complex_numIdEPKPKS2_PKPS2_EEviiT1_T2_lllT3_llli.kd
    .uniform_work_group_size: 1
    .uses_dynamic_stack: false
    .vgpr_count:     12
    .vgpr_spill_count: 0
    .wavefront_size: 64
  - .agpr_count:     0
    .args:
      - .offset:         0
        .size:           8
        .value_kind:     by_value
      - .offset:         8
        .size:           8
        .value_kind:     by_value
      - .offset:         16
        .size:           8
        .value_kind:     by_value
      - .offset:         24
        .size:           16
        .value_kind:     by_value
      - .address_space:  global
        .offset:         40
        .size:           8
        .value_kind:     global_buffer
      - .offset:         48
        .size:           8
        .value_kind:     by_value
      - .offset:         56
        .size:           8
        .value_kind:     by_value
      - .address_space:  global
        .offset:         64
        .size:           8
        .value_kind:     global_buffer
      - .offset:         72
        .size:           8
        .value_kind:     by_value
      - .offset:         80
        .size:           8
        .value_kind:     by_value
      - .offset:         88
        .size:           16
        .value_kind:     by_value
      - .address_space:  global
        .offset:         104
        .size:           8
        .value_kind:     global_buffer
      - .offset:         112
        .size:           8
        .value_kind:     by_value
      - .offset:         120
        .size:           8
        .value_kind:     by_value
      - .address_space:  global
        .offset:         128
        .size:           8
        .value_kind:     global_buffer
      - .offset:         136
        .size:           8
        .value_kind:     by_value
      - .offset:         144
        .size:           8
        .value_kind:     by_value
      - .offset:         152
        .size:           4
        .value_kind:     by_value
    .group_segment_fixed_size: 8192
    .kernarg_segment_align: 8
    .kernarg_segment_size: 156
    .language:       OpenCL C
    .language_version:
      - 2
      - 0
    .max_flat_workgroup_size: 256
    .name:           _ZN12_GLOBAL__N_127rocblas_gemm_batched_kernelI19rocblas_complex_numIdELi16ELi16ELi64ELi64ELi4ELi64ELi4ELi4ELi64ELc78ELc78EKPKS2_S5_KPS2_EEvlllT_PT11_llSA_llS8_PT12_llPT13_lli
    .private_segment_fixed_size: 0
    .sgpr_count:     58
    .sgpr_spill_count: 0
    .symbol:         _ZN12_GLOBAL__N_127rocblas_gemm_batched_kernelI19rocblas_complex_numIdELi16ELi16ELi64ELi64ELi4ELi64ELi4ELi4ELi64ELc78ELc78EKPKS2_S5_KPS2_EEvlllT_PT11_llSA_llS8_PT12_llPT13_lli.kd
    .uniform_work_group_size: 1
    .uses_dynamic_stack: false
    .vgpr_count:     138
    .vgpr_spill_count: 0
    .wavefront_size: 64
  - .agpr_count:     0
    .args:
      - .offset:         0
        .size:           8
        .value_kind:     by_value
      - .offset:         8
        .size:           8
        .value_kind:     by_value
      - .offset:         16
        .size:           8
        .value_kind:     by_value
      - .offset:         24
        .size:           16
        .value_kind:     by_value
      - .address_space:  global
        .offset:         40
        .size:           8
        .value_kind:     global_buffer
      - .offset:         48
        .size:           8
        .value_kind:     by_value
      - .offset:         56
        .size:           8
        .value_kind:     by_value
      - .address_space:  global
        .offset:         64
        .size:           8
        .value_kind:     global_buffer
      - .offset:         72
        .size:           8
        .value_kind:     by_value
      - .offset:         80
        .size:           8
        .value_kind:     by_value
      - .offset:         88
        .size:           16
        .value_kind:     by_value
      - .address_space:  global
        .offset:         104
        .size:           8
        .value_kind:     global_buffer
      - .offset:         112
        .size:           8
        .value_kind:     by_value
      - .offset:         120
        .size:           8
        .value_kind:     by_value
      - .address_space:  global
        .offset:         128
        .size:           8
        .value_kind:     global_buffer
      - .offset:         136
        .size:           8
        .value_kind:     by_value
      - .offset:         144
        .size:           8
        .value_kind:     by_value
      - .offset:         152
        .size:           4
        .value_kind:     by_value
    .group_segment_fixed_size: 8192
    .kernarg_segment_align: 8
    .kernarg_segment_size: 156
    .language:       OpenCL C
    .language_version:
      - 2
      - 0
    .max_flat_workgroup_size: 256
    .name:           _ZN12_GLOBAL__N_127rocblas_gemm_batched_kernelI19rocblas_complex_numIdELi16ELi16ELi64ELi64ELi4ELi64ELi4ELi4ELi64ELc84ELc78EKPKS2_S5_KPS2_EEvlllT_PT11_llSA_llS8_PT12_llPT13_lli
    .private_segment_fixed_size: 0
    .sgpr_count:     58
    .sgpr_spill_count: 0
    .symbol:         _ZN12_GLOBAL__N_127rocblas_gemm_batched_kernelI19rocblas_complex_numIdELi16ELi16ELi64ELi64ELi4ELi64ELi4ELi4ELi64ELc84ELc78EKPKS2_S5_KPS2_EEvlllT_PT11_llSA_llS8_PT12_llPT13_lli.kd
    .uniform_work_group_size: 1
    .uses_dynamic_stack: false
    .vgpr_count:     138
    .vgpr_spill_count: 0
    .wavefront_size: 64
  - .agpr_count:     0
    .args:
      - .offset:         0
        .size:           8
        .value_kind:     by_value
      - .offset:         8
        .size:           8
        .value_kind:     by_value
      - .offset:         16
        .size:           8
        .value_kind:     by_value
      - .offset:         24
        .size:           16
        .value_kind:     by_value
      - .address_space:  global
        .offset:         40
        .size:           8
        .value_kind:     global_buffer
      - .offset:         48
        .size:           8
        .value_kind:     by_value
      - .offset:         56
        .size:           8
        .value_kind:     by_value
      - .address_space:  global
        .offset:         64
        .size:           8
        .value_kind:     global_buffer
      - .offset:         72
        .size:           8
        .value_kind:     by_value
      - .offset:         80
        .size:           8
        .value_kind:     by_value
      - .offset:         88
        .size:           16
        .value_kind:     by_value
      - .address_space:  global
        .offset:         104
        .size:           8
        .value_kind:     global_buffer
      - .offset:         112
        .size:           8
        .value_kind:     by_value
      - .offset:         120
        .size:           8
        .value_kind:     by_value
      - .address_space:  global
        .offset:         128
        .size:           8
        .value_kind:     global_buffer
      - .offset:         136
        .size:           8
        .value_kind:     by_value
      - .offset:         144
        .size:           8
        .value_kind:     by_value
      - .offset:         152
        .size:           4
        .value_kind:     by_value
    .group_segment_fixed_size: 8192
    .kernarg_segment_align: 8
    .kernarg_segment_size: 156
    .language:       OpenCL C
    .language_version:
      - 2
      - 0
    .max_flat_workgroup_size: 256
    .name:           _ZN12_GLOBAL__N_127rocblas_gemm_batched_kernelI19rocblas_complex_numIdELi16ELi16ELi64ELi64ELi4ELi64ELi4ELi4ELi64ELc78ELc84EKPKS2_S5_KPS2_EEvlllT_PT11_llSA_llS8_PT12_llPT13_lli
    .private_segment_fixed_size: 0
    .sgpr_count:     58
    .sgpr_spill_count: 0
    .symbol:         _ZN12_GLOBAL__N_127rocblas_gemm_batched_kernelI19rocblas_complex_numIdELi16ELi16ELi64ELi64ELi4ELi64ELi4ELi4ELi64ELc78ELc84EKPKS2_S5_KPS2_EEvlllT_PT11_llSA_llS8_PT12_llPT13_lli.kd
    .uniform_work_group_size: 1
    .uses_dynamic_stack: false
    .vgpr_count:     138
    .vgpr_spill_count: 0
    .wavefront_size: 64
  - .agpr_count:     0
    .args:
      - .offset:         0
        .size:           8
        .value_kind:     by_value
      - .offset:         8
        .size:           8
        .value_kind:     by_value
      - .offset:         16
        .size:           8
        .value_kind:     by_value
      - .offset:         24
        .size:           16
        .value_kind:     by_value
      - .address_space:  global
        .offset:         40
        .size:           8
        .value_kind:     global_buffer
      - .offset:         48
        .size:           8
        .value_kind:     by_value
      - .offset:         56
        .size:           8
        .value_kind:     by_value
      - .address_space:  global
        .offset:         64
        .size:           8
        .value_kind:     global_buffer
      - .offset:         72
        .size:           8
        .value_kind:     by_value
      - .offset:         80
        .size:           8
        .value_kind:     by_value
      - .offset:         88
        .size:           16
        .value_kind:     by_value
      - .address_space:  global
        .offset:         104
        .size:           8
        .value_kind:     global_buffer
      - .offset:         112
        .size:           8
        .value_kind:     by_value
      - .offset:         120
        .size:           8
        .value_kind:     by_value
      - .address_space:  global
        .offset:         128
        .size:           8
        .value_kind:     global_buffer
      - .offset:         136
        .size:           8
        .value_kind:     by_value
      - .offset:         144
        .size:           8
        .value_kind:     by_value
      - .offset:         152
        .size:           4
        .value_kind:     by_value
    .group_segment_fixed_size: 8192
    .kernarg_segment_align: 8
    .kernarg_segment_size: 156
    .language:       OpenCL C
    .language_version:
      - 2
      - 0
    .max_flat_workgroup_size: 256
    .name:           _ZN12_GLOBAL__N_127rocblas_gemm_batched_kernelI19rocblas_complex_numIdELi16ELi16ELi64ELi64ELi4ELi64ELi4ELi4ELi64ELc84ELc84EKPKS2_S5_KPS2_EEvlllT_PT11_llSA_llS8_PT12_llPT13_lli
    .private_segment_fixed_size: 0
    .sgpr_count:     58
    .sgpr_spill_count: 0
    .symbol:         _ZN12_GLOBAL__N_127rocblas_gemm_batched_kernelI19rocblas_complex_numIdELi16ELi16ELi64ELi64ELi4ELi64ELi4ELi4ELi64ELc84ELc84EKPKS2_S5_KPS2_EEvlllT_PT11_llSA_llS8_PT12_llPT13_lli.kd
    .uniform_work_group_size: 1
    .uses_dynamic_stack: false
    .vgpr_count:     138
    .vgpr_spill_count: 0
    .wavefront_size: 64
  - .agpr_count:     0
    .args:
      - .offset:         0
        .size:           8
        .value_kind:     by_value
      - .offset:         8
        .size:           8
        .value_kind:     by_value
      - .offset:         16
        .size:           8
        .value_kind:     by_value
      - .offset:         24
        .size:           16
        .value_kind:     by_value
      - .address_space:  global
        .offset:         40
        .size:           8
        .value_kind:     global_buffer
      - .offset:         48
        .size:           8
        .value_kind:     by_value
      - .offset:         56
        .size:           8
        .value_kind:     by_value
      - .address_space:  global
        .offset:         64
        .size:           8
        .value_kind:     global_buffer
      - .offset:         72
        .size:           8
        .value_kind:     by_value
      - .offset:         80
        .size:           8
        .value_kind:     by_value
      - .offset:         88
        .size:           16
        .value_kind:     by_value
      - .address_space:  global
        .offset:         104
        .size:           8
        .value_kind:     global_buffer
      - .offset:         112
        .size:           8
        .value_kind:     by_value
      - .offset:         120
        .size:           8
        .value_kind:     by_value
      - .address_space:  global
        .offset:         128
        .size:           8
        .value_kind:     global_buffer
      - .offset:         136
        .size:           8
        .value_kind:     by_value
      - .offset:         144
        .size:           8
        .value_kind:     by_value
      - .offset:         152
        .size:           4
        .value_kind:     by_value
    .group_segment_fixed_size: 8192
    .kernarg_segment_align: 8
    .kernarg_segment_size: 156
    .language:       OpenCL C
    .language_version:
      - 2
      - 0
    .max_flat_workgroup_size: 256
    .name:           _ZN12_GLOBAL__N_127rocblas_gemm_batched_kernelI19rocblas_complex_numIdELi16ELi16ELi64ELi64ELi4ELi64ELi4ELi4ELi64ELc67ELc67EKPKS2_S5_KPS2_EEvlllT_PT11_llSA_llS8_PT12_llPT13_lli
    .private_segment_fixed_size: 0
    .sgpr_count:     58
    .sgpr_spill_count: 0
    .symbol:         _ZN12_GLOBAL__N_127rocblas_gemm_batched_kernelI19rocblas_complex_numIdELi16ELi16ELi64ELi64ELi4ELi64ELi4ELi4ELi64ELc67ELc67EKPKS2_S5_KPS2_EEvlllT_PT11_llSA_llS8_PT12_llPT13_lli.kd
    .uniform_work_group_size: 1
    .uses_dynamic_stack: false
    .vgpr_count:     138
    .vgpr_spill_count: 0
    .wavefront_size: 64
  - .agpr_count:     0
    .args:
      - .offset:         0
        .size:           8
        .value_kind:     by_value
      - .offset:         8
        .size:           8
        .value_kind:     by_value
      - .offset:         16
        .size:           8
        .value_kind:     by_value
      - .offset:         24
        .size:           16
        .value_kind:     by_value
      - .address_space:  global
        .offset:         40
        .size:           8
        .value_kind:     global_buffer
      - .offset:         48
        .size:           8
        .value_kind:     by_value
      - .offset:         56
        .size:           8
        .value_kind:     by_value
      - .address_space:  global
        .offset:         64
        .size:           8
        .value_kind:     global_buffer
      - .offset:         72
        .size:           8
        .value_kind:     by_value
      - .offset:         80
        .size:           8
        .value_kind:     by_value
      - .offset:         88
        .size:           16
        .value_kind:     by_value
      - .address_space:  global
        .offset:         104
        .size:           8
        .value_kind:     global_buffer
      - .offset:         112
        .size:           8
        .value_kind:     by_value
      - .offset:         120
        .size:           8
        .value_kind:     by_value
      - .address_space:  global
        .offset:         128
        .size:           8
        .value_kind:     global_buffer
      - .offset:         136
        .size:           8
        .value_kind:     by_value
      - .offset:         144
        .size:           8
        .value_kind:     by_value
      - .offset:         152
        .size:           4
        .value_kind:     by_value
    .group_segment_fixed_size: 8192
    .kernarg_segment_align: 8
    .kernarg_segment_size: 156
    .language:       OpenCL C
    .language_version:
      - 2
      - 0
    .max_flat_workgroup_size: 256
    .name:           _ZN12_GLOBAL__N_127rocblas_gemm_batched_kernelI19rocblas_complex_numIdELi16ELi16ELi64ELi64ELi4ELi64ELi4ELi4ELi64ELc67ELc78EKPKS2_S5_KPS2_EEvlllT_PT11_llSA_llS8_PT12_llPT13_lli
    .private_segment_fixed_size: 0
    .sgpr_count:     58
    .sgpr_spill_count: 0
    .symbol:         _ZN12_GLOBAL__N_127rocblas_gemm_batched_kernelI19rocblas_complex_numIdELi16ELi16ELi64ELi64ELi4ELi64ELi4ELi4ELi64ELc67ELc78EKPKS2_S5_KPS2_EEvlllT_PT11_llSA_llS8_PT12_llPT13_lli.kd
    .uniform_work_group_size: 1
    .uses_dynamic_stack: false
    .vgpr_count:     138
    .vgpr_spill_count: 0
    .wavefront_size: 64
  - .agpr_count:     0
    .args:
      - .offset:         0
        .size:           8
        .value_kind:     by_value
      - .offset:         8
        .size:           8
        .value_kind:     by_value
      - .offset:         16
        .size:           8
        .value_kind:     by_value
      - .offset:         24
        .size:           16
        .value_kind:     by_value
      - .address_space:  global
        .offset:         40
        .size:           8
        .value_kind:     global_buffer
      - .offset:         48
        .size:           8
        .value_kind:     by_value
      - .offset:         56
        .size:           8
        .value_kind:     by_value
      - .address_space:  global
        .offset:         64
        .size:           8
        .value_kind:     global_buffer
      - .offset:         72
        .size:           8
        .value_kind:     by_value
      - .offset:         80
        .size:           8
        .value_kind:     by_value
      - .offset:         88
        .size:           16
        .value_kind:     by_value
      - .address_space:  global
        .offset:         104
        .size:           8
        .value_kind:     global_buffer
      - .offset:         112
        .size:           8
        .value_kind:     by_value
      - .offset:         120
        .size:           8
        .value_kind:     by_value
      - .address_space:  global
        .offset:         128
        .size:           8
        .value_kind:     global_buffer
      - .offset:         136
        .size:           8
        .value_kind:     by_value
      - .offset:         144
        .size:           8
        .value_kind:     by_value
      - .offset:         152
        .size:           4
        .value_kind:     by_value
    .group_segment_fixed_size: 8192
    .kernarg_segment_align: 8
    .kernarg_segment_size: 156
    .language:       OpenCL C
    .language_version:
      - 2
      - 0
    .max_flat_workgroup_size: 256
    .name:           _ZN12_GLOBAL__N_127rocblas_gemm_batched_kernelI19rocblas_complex_numIdELi16ELi16ELi64ELi64ELi4ELi64ELi4ELi4ELi64ELc67ELc84EKPKS2_S5_KPS2_EEvlllT_PT11_llSA_llS8_PT12_llPT13_lli
    .private_segment_fixed_size: 0
    .sgpr_count:     58
    .sgpr_spill_count: 0
    .symbol:         _ZN12_GLOBAL__N_127rocblas_gemm_batched_kernelI19rocblas_complex_numIdELi16ELi16ELi64ELi64ELi4ELi64ELi4ELi4ELi64ELc67ELc84EKPKS2_S5_KPS2_EEvlllT_PT11_llSA_llS8_PT12_llPT13_lli.kd
    .uniform_work_group_size: 1
    .uses_dynamic_stack: false
    .vgpr_count:     138
    .vgpr_spill_count: 0
    .wavefront_size: 64
  - .agpr_count:     0
    .args:
      - .offset:         0
        .size:           8
        .value_kind:     by_value
      - .offset:         8
        .size:           8
        .value_kind:     by_value
      - .offset:         16
        .size:           8
        .value_kind:     by_value
      - .offset:         24
        .size:           16
        .value_kind:     by_value
      - .address_space:  global
        .offset:         40
        .size:           8
        .value_kind:     global_buffer
      - .offset:         48
        .size:           8
        .value_kind:     by_value
      - .offset:         56
        .size:           8
        .value_kind:     by_value
      - .address_space:  global
        .offset:         64
        .size:           8
        .value_kind:     global_buffer
      - .offset:         72
        .size:           8
        .value_kind:     by_value
      - .offset:         80
        .size:           8
        .value_kind:     by_value
      - .offset:         88
        .size:           16
        .value_kind:     by_value
      - .address_space:  global
        .offset:         104
        .size:           8
        .value_kind:     global_buffer
      - .offset:         112
        .size:           8
        .value_kind:     by_value
      - .offset:         120
        .size:           8
        .value_kind:     by_value
      - .address_space:  global
        .offset:         128
        .size:           8
        .value_kind:     global_buffer
      - .offset:         136
        .size:           8
        .value_kind:     by_value
      - .offset:         144
        .size:           8
        .value_kind:     by_value
      - .offset:         152
        .size:           4
        .value_kind:     by_value
    .group_segment_fixed_size: 8192
    .kernarg_segment_align: 8
    .kernarg_segment_size: 156
    .language:       OpenCL C
    .language_version:
      - 2
      - 0
    .max_flat_workgroup_size: 256
    .name:           _ZN12_GLOBAL__N_127rocblas_gemm_batched_kernelI19rocblas_complex_numIdELi16ELi16ELi64ELi64ELi4ELi64ELi4ELi4ELi64ELc78ELc67EKPKS2_S5_KPS2_EEvlllT_PT11_llSA_llS8_PT12_llPT13_lli
    .private_segment_fixed_size: 0
    .sgpr_count:     58
    .sgpr_spill_count: 0
    .symbol:         _ZN12_GLOBAL__N_127rocblas_gemm_batched_kernelI19rocblas_complex_numIdELi16ELi16ELi64ELi64ELi4ELi64ELi4ELi4ELi64ELc78ELc67EKPKS2_S5_KPS2_EEvlllT_PT11_llSA_llS8_PT12_llPT13_lli.kd
    .uniform_work_group_size: 1
    .uses_dynamic_stack: false
    .vgpr_count:     138
    .vgpr_spill_count: 0
    .wavefront_size: 64
  - .agpr_count:     0
    .args:
      - .offset:         0
        .size:           8
        .value_kind:     by_value
      - .offset:         8
        .size:           8
        .value_kind:     by_value
      - .offset:         16
        .size:           8
        .value_kind:     by_value
      - .offset:         24
        .size:           16
        .value_kind:     by_value
      - .address_space:  global
        .offset:         40
        .size:           8
        .value_kind:     global_buffer
      - .offset:         48
        .size:           8
        .value_kind:     by_value
      - .offset:         56
        .size:           8
        .value_kind:     by_value
      - .address_space:  global
        .offset:         64
        .size:           8
        .value_kind:     global_buffer
      - .offset:         72
        .size:           8
        .value_kind:     by_value
      - .offset:         80
        .size:           8
        .value_kind:     by_value
      - .offset:         88
        .size:           16
        .value_kind:     by_value
      - .address_space:  global
        .offset:         104
        .size:           8
        .value_kind:     global_buffer
      - .offset:         112
        .size:           8
        .value_kind:     by_value
      - .offset:         120
        .size:           8
        .value_kind:     by_value
      - .address_space:  global
        .offset:         128
        .size:           8
        .value_kind:     global_buffer
      - .offset:         136
        .size:           8
        .value_kind:     by_value
      - .offset:         144
        .size:           8
        .value_kind:     by_value
      - .offset:         152
        .size:           4
        .value_kind:     by_value
    .group_segment_fixed_size: 8192
    .kernarg_segment_align: 8
    .kernarg_segment_size: 156
    .language:       OpenCL C
    .language_version:
      - 2
      - 0
    .max_flat_workgroup_size: 256
    .name:           _ZN12_GLOBAL__N_127rocblas_gemm_batched_kernelI19rocblas_complex_numIdELi16ELi16ELi64ELi64ELi4ELi64ELi4ELi4ELi64ELc84ELc67EKPKS2_S5_KPS2_EEvlllT_PT11_llSA_llS8_PT12_llPT13_lli
    .private_segment_fixed_size: 0
    .sgpr_count:     58
    .sgpr_spill_count: 0
    .symbol:         _ZN12_GLOBAL__N_127rocblas_gemm_batched_kernelI19rocblas_complex_numIdELi16ELi16ELi64ELi64ELi4ELi64ELi4ELi4ELi64ELc84ELc67EKPKS2_S5_KPS2_EEvlllT_PT11_llSA_llS8_PT12_llPT13_lli.kd
    .uniform_work_group_size: 1
    .uses_dynamic_stack: false
    .vgpr_count:     138
    .vgpr_spill_count: 0
    .wavefront_size: 64
  - .agpr_count:     0
    .args:
      - .offset:         0
        .size:           8
        .value_kind:     by_value
      - .offset:         8
        .size:           8
        .value_kind:     by_value
      - .offset:         16
        .size:           8
        .value_kind:     by_value
      - .offset:         24
        .size:           16
        .value_kind:     by_value
      - .address_space:  global
        .offset:         40
        .size:           8
        .value_kind:     global_buffer
      - .offset:         48
        .size:           8
        .value_kind:     by_value
      - .offset:         56
        .size:           8
        .value_kind:     by_value
      - .address_space:  global
        .offset:         64
        .size:           8
        .value_kind:     global_buffer
      - .offset:         72
        .size:           8
        .value_kind:     by_value
      - .offset:         80
        .size:           8
        .value_kind:     by_value
      - .offset:         88
        .size:           16
        .value_kind:     by_value
      - .address_space:  global
        .offset:         104
        .size:           8
        .value_kind:     global_buffer
      - .offset:         112
        .size:           8
        .value_kind:     by_value
      - .offset:         120
        .size:           8
        .value_kind:     by_value
      - .address_space:  global
        .offset:         128
        .size:           8
        .value_kind:     global_buffer
      - .offset:         136
        .size:           8
        .value_kind:     by_value
      - .offset:         144
        .size:           8
        .value_kind:     by_value
      - .offset:         152
        .size:           4
        .value_kind:     by_value
    .group_segment_fixed_size: 8192
    .kernarg_segment_align: 8
    .kernarg_segment_size: 156
    .language:       OpenCL C
    .language_version:
      - 2
      - 0
    .max_flat_workgroup_size: 256
    .name:           _ZN12_GLOBAL__N_127rocblas_gemm_batched_kernelI19rocblas_complex_numIdELi16ELi16ELi32ELi32ELi8ELi32ELi8ELi8ELi32ELc78ELc78EKPKS2_S5_KPS2_EEvlllT_PT11_llSA_llS8_PT12_llPT13_lli
    .private_segment_fixed_size: 0
    .sgpr_count:     58
    .sgpr_spill_count: 0
    .symbol:         _ZN12_GLOBAL__N_127rocblas_gemm_batched_kernelI19rocblas_complex_numIdELi16ELi16ELi32ELi32ELi8ELi32ELi8ELi8ELi32ELc78ELc78EKPKS2_S5_KPS2_EEvlllT_PT11_llSA_llS8_PT12_llPT13_lli.kd
    .uniform_work_group_size: 1
    .uses_dynamic_stack: false
    .vgpr_count:     56
    .vgpr_spill_count: 0
    .wavefront_size: 64
  - .agpr_count:     0
    .args:
      - .offset:         0
        .size:           8
        .value_kind:     by_value
      - .offset:         8
        .size:           8
        .value_kind:     by_value
      - .offset:         16
        .size:           8
        .value_kind:     by_value
      - .offset:         24
        .size:           16
        .value_kind:     by_value
      - .address_space:  global
        .offset:         40
        .size:           8
        .value_kind:     global_buffer
      - .offset:         48
        .size:           8
        .value_kind:     by_value
      - .offset:         56
        .size:           8
        .value_kind:     by_value
      - .address_space:  global
        .offset:         64
        .size:           8
        .value_kind:     global_buffer
      - .offset:         72
        .size:           8
        .value_kind:     by_value
      - .offset:         80
        .size:           8
        .value_kind:     by_value
      - .offset:         88
        .size:           16
        .value_kind:     by_value
      - .address_space:  global
        .offset:         104
        .size:           8
        .value_kind:     global_buffer
      - .offset:         112
        .size:           8
        .value_kind:     by_value
      - .offset:         120
        .size:           8
        .value_kind:     by_value
      - .address_space:  global
        .offset:         128
        .size:           8
        .value_kind:     global_buffer
      - .offset:         136
        .size:           8
        .value_kind:     by_value
      - .offset:         144
        .size:           8
        .value_kind:     by_value
      - .offset:         152
        .size:           4
        .value_kind:     by_value
    .group_segment_fixed_size: 8192
    .kernarg_segment_align: 8
    .kernarg_segment_size: 156
    .language:       OpenCL C
    .language_version:
      - 2
      - 0
    .max_flat_workgroup_size: 256
    .name:           _ZN12_GLOBAL__N_127rocblas_gemm_batched_kernelI19rocblas_complex_numIdELi16ELi16ELi32ELi32ELi8ELi32ELi8ELi8ELi32ELc84ELc78EKPKS2_S5_KPS2_EEvlllT_PT11_llSA_llS8_PT12_llPT13_lli
    .private_segment_fixed_size: 0
    .sgpr_count:     58
    .sgpr_spill_count: 0
    .symbol:         _ZN12_GLOBAL__N_127rocblas_gemm_batched_kernelI19rocblas_complex_numIdELi16ELi16ELi32ELi32ELi8ELi32ELi8ELi8ELi32ELc84ELc78EKPKS2_S5_KPS2_EEvlllT_PT11_llSA_llS8_PT12_llPT13_lli.kd
    .uniform_work_group_size: 1
    .uses_dynamic_stack: false
    .vgpr_count:     56
    .vgpr_spill_count: 0
    .wavefront_size: 64
  - .agpr_count:     0
    .args:
      - .offset:         0
        .size:           8
        .value_kind:     by_value
      - .offset:         8
        .size:           8
        .value_kind:     by_value
      - .offset:         16
        .size:           8
        .value_kind:     by_value
      - .offset:         24
        .size:           16
        .value_kind:     by_value
      - .address_space:  global
        .offset:         40
        .size:           8
        .value_kind:     global_buffer
      - .offset:         48
        .size:           8
        .value_kind:     by_value
      - .offset:         56
        .size:           8
        .value_kind:     by_value
      - .address_space:  global
        .offset:         64
        .size:           8
        .value_kind:     global_buffer
      - .offset:         72
        .size:           8
        .value_kind:     by_value
      - .offset:         80
        .size:           8
        .value_kind:     by_value
      - .offset:         88
        .size:           16
        .value_kind:     by_value
      - .address_space:  global
        .offset:         104
        .size:           8
        .value_kind:     global_buffer
      - .offset:         112
        .size:           8
        .value_kind:     by_value
      - .offset:         120
        .size:           8
        .value_kind:     by_value
      - .address_space:  global
        .offset:         128
        .size:           8
        .value_kind:     global_buffer
      - .offset:         136
        .size:           8
        .value_kind:     by_value
      - .offset:         144
        .size:           8
        .value_kind:     by_value
      - .offset:         152
        .size:           4
        .value_kind:     by_value
    .group_segment_fixed_size: 8192
    .kernarg_segment_align: 8
    .kernarg_segment_size: 156
    .language:       OpenCL C
    .language_version:
      - 2
      - 0
    .max_flat_workgroup_size: 256
    .name:           _ZN12_GLOBAL__N_127rocblas_gemm_batched_kernelI19rocblas_complex_numIdELi16ELi16ELi32ELi32ELi8ELi32ELi8ELi8ELi32ELc78ELc84EKPKS2_S5_KPS2_EEvlllT_PT11_llSA_llS8_PT12_llPT13_lli
    .private_segment_fixed_size: 0
    .sgpr_count:     58
    .sgpr_spill_count: 0
    .symbol:         _ZN12_GLOBAL__N_127rocblas_gemm_batched_kernelI19rocblas_complex_numIdELi16ELi16ELi32ELi32ELi8ELi32ELi8ELi8ELi32ELc78ELc84EKPKS2_S5_KPS2_EEvlllT_PT11_llSA_llS8_PT12_llPT13_lli.kd
    .uniform_work_group_size: 1
    .uses_dynamic_stack: false
    .vgpr_count:     56
    .vgpr_spill_count: 0
    .wavefront_size: 64
  - .agpr_count:     0
    .args:
      - .offset:         0
        .size:           8
        .value_kind:     by_value
      - .offset:         8
        .size:           8
        .value_kind:     by_value
      - .offset:         16
        .size:           8
        .value_kind:     by_value
      - .offset:         24
        .size:           16
        .value_kind:     by_value
      - .address_space:  global
        .offset:         40
        .size:           8
        .value_kind:     global_buffer
      - .offset:         48
        .size:           8
        .value_kind:     by_value
      - .offset:         56
        .size:           8
        .value_kind:     by_value
      - .address_space:  global
        .offset:         64
        .size:           8
        .value_kind:     global_buffer
      - .offset:         72
        .size:           8
        .value_kind:     by_value
      - .offset:         80
        .size:           8
        .value_kind:     by_value
      - .offset:         88
        .size:           16
        .value_kind:     by_value
      - .address_space:  global
        .offset:         104
        .size:           8
        .value_kind:     global_buffer
      - .offset:         112
        .size:           8
        .value_kind:     by_value
      - .offset:         120
        .size:           8
        .value_kind:     by_value
      - .address_space:  global
        .offset:         128
        .size:           8
        .value_kind:     global_buffer
      - .offset:         136
        .size:           8
        .value_kind:     by_value
      - .offset:         144
        .size:           8
        .value_kind:     by_value
      - .offset:         152
        .size:           4
        .value_kind:     by_value
    .group_segment_fixed_size: 8192
    .kernarg_segment_align: 8
    .kernarg_segment_size: 156
    .language:       OpenCL C
    .language_version:
      - 2
      - 0
    .max_flat_workgroup_size: 256
    .name:           _ZN12_GLOBAL__N_127rocblas_gemm_batched_kernelI19rocblas_complex_numIdELi16ELi16ELi32ELi32ELi8ELi32ELi8ELi8ELi32ELc84ELc84EKPKS2_S5_KPS2_EEvlllT_PT11_llSA_llS8_PT12_llPT13_lli
    .private_segment_fixed_size: 0
    .sgpr_count:     58
    .sgpr_spill_count: 0
    .symbol:         _ZN12_GLOBAL__N_127rocblas_gemm_batched_kernelI19rocblas_complex_numIdELi16ELi16ELi32ELi32ELi8ELi32ELi8ELi8ELi32ELc84ELc84EKPKS2_S5_KPS2_EEvlllT_PT11_llSA_llS8_PT12_llPT13_lli.kd
    .uniform_work_group_size: 1
    .uses_dynamic_stack: false
    .vgpr_count:     56
    .vgpr_spill_count: 0
    .wavefront_size: 64
  - .agpr_count:     0
    .args:
      - .offset:         0
        .size:           8
        .value_kind:     by_value
      - .offset:         8
        .size:           8
        .value_kind:     by_value
      - .offset:         16
        .size:           8
        .value_kind:     by_value
      - .offset:         24
        .size:           16
        .value_kind:     by_value
      - .address_space:  global
        .offset:         40
        .size:           8
        .value_kind:     global_buffer
      - .offset:         48
        .size:           8
        .value_kind:     by_value
      - .offset:         56
        .size:           8
        .value_kind:     by_value
      - .address_space:  global
        .offset:         64
        .size:           8
        .value_kind:     global_buffer
      - .offset:         72
        .size:           8
        .value_kind:     by_value
      - .offset:         80
        .size:           8
        .value_kind:     by_value
      - .offset:         88
        .size:           16
        .value_kind:     by_value
      - .address_space:  global
        .offset:         104
        .size:           8
        .value_kind:     global_buffer
      - .offset:         112
        .size:           8
        .value_kind:     by_value
      - .offset:         120
        .size:           8
        .value_kind:     by_value
      - .address_space:  global
        .offset:         128
        .size:           8
        .value_kind:     global_buffer
      - .offset:         136
        .size:           8
        .value_kind:     by_value
      - .offset:         144
        .size:           8
        .value_kind:     by_value
      - .offset:         152
        .size:           4
        .value_kind:     by_value
    .group_segment_fixed_size: 8192
    .kernarg_segment_align: 8
    .kernarg_segment_size: 156
    .language:       OpenCL C
    .language_version:
      - 2
      - 0
    .max_flat_workgroup_size: 256
    .name:           _ZN12_GLOBAL__N_127rocblas_gemm_batched_kernelI19rocblas_complex_numIdELi16ELi16ELi32ELi32ELi8ELi32ELi8ELi8ELi32ELc67ELc67EKPKS2_S5_KPS2_EEvlllT_PT11_llSA_llS8_PT12_llPT13_lli
    .private_segment_fixed_size: 0
    .sgpr_count:     58
    .sgpr_spill_count: 0
    .symbol:         _ZN12_GLOBAL__N_127rocblas_gemm_batched_kernelI19rocblas_complex_numIdELi16ELi16ELi32ELi32ELi8ELi32ELi8ELi8ELi32ELc67ELc67EKPKS2_S5_KPS2_EEvlllT_PT11_llSA_llS8_PT12_llPT13_lli.kd
    .uniform_work_group_size: 1
    .uses_dynamic_stack: false
    .vgpr_count:     56
    .vgpr_spill_count: 0
    .wavefront_size: 64
  - .agpr_count:     0
    .args:
      - .offset:         0
        .size:           8
        .value_kind:     by_value
      - .offset:         8
        .size:           8
        .value_kind:     by_value
      - .offset:         16
        .size:           8
        .value_kind:     by_value
      - .offset:         24
        .size:           16
        .value_kind:     by_value
      - .address_space:  global
        .offset:         40
        .size:           8
        .value_kind:     global_buffer
      - .offset:         48
        .size:           8
        .value_kind:     by_value
      - .offset:         56
        .size:           8
        .value_kind:     by_value
      - .address_space:  global
        .offset:         64
        .size:           8
        .value_kind:     global_buffer
      - .offset:         72
        .size:           8
        .value_kind:     by_value
      - .offset:         80
        .size:           8
        .value_kind:     by_value
      - .offset:         88
        .size:           16
        .value_kind:     by_value
      - .address_space:  global
        .offset:         104
        .size:           8
        .value_kind:     global_buffer
      - .offset:         112
        .size:           8
        .value_kind:     by_value
      - .offset:         120
        .size:           8
        .value_kind:     by_value
      - .address_space:  global
        .offset:         128
        .size:           8
        .value_kind:     global_buffer
      - .offset:         136
        .size:           8
        .value_kind:     by_value
      - .offset:         144
        .size:           8
        .value_kind:     by_value
      - .offset:         152
        .size:           4
        .value_kind:     by_value
    .group_segment_fixed_size: 8192
    .kernarg_segment_align: 8
    .kernarg_segment_size: 156
    .language:       OpenCL C
    .language_version:
      - 2
      - 0
    .max_flat_workgroup_size: 256
    .name:           _ZN12_GLOBAL__N_127rocblas_gemm_batched_kernelI19rocblas_complex_numIdELi16ELi16ELi32ELi32ELi8ELi32ELi8ELi8ELi32ELc67ELc78EKPKS2_S5_KPS2_EEvlllT_PT11_llSA_llS8_PT12_llPT13_lli
    .private_segment_fixed_size: 0
    .sgpr_count:     58
    .sgpr_spill_count: 0
    .symbol:         _ZN12_GLOBAL__N_127rocblas_gemm_batched_kernelI19rocblas_complex_numIdELi16ELi16ELi32ELi32ELi8ELi32ELi8ELi8ELi32ELc67ELc78EKPKS2_S5_KPS2_EEvlllT_PT11_llSA_llS8_PT12_llPT13_lli.kd
    .uniform_work_group_size: 1
    .uses_dynamic_stack: false
    .vgpr_count:     56
    .vgpr_spill_count: 0
    .wavefront_size: 64
  - .agpr_count:     0
    .args:
      - .offset:         0
        .size:           8
        .value_kind:     by_value
      - .offset:         8
        .size:           8
        .value_kind:     by_value
      - .offset:         16
        .size:           8
        .value_kind:     by_value
      - .offset:         24
        .size:           16
        .value_kind:     by_value
      - .address_space:  global
        .offset:         40
        .size:           8
        .value_kind:     global_buffer
      - .offset:         48
        .size:           8
        .value_kind:     by_value
      - .offset:         56
        .size:           8
        .value_kind:     by_value
      - .address_space:  global
        .offset:         64
        .size:           8
        .value_kind:     global_buffer
      - .offset:         72
        .size:           8
        .value_kind:     by_value
      - .offset:         80
        .size:           8
        .value_kind:     by_value
      - .offset:         88
        .size:           16
        .value_kind:     by_value
      - .address_space:  global
        .offset:         104
        .size:           8
        .value_kind:     global_buffer
      - .offset:         112
        .size:           8
        .value_kind:     by_value
      - .offset:         120
        .size:           8
        .value_kind:     by_value
      - .address_space:  global
        .offset:         128
        .size:           8
        .value_kind:     global_buffer
      - .offset:         136
        .size:           8
        .value_kind:     by_value
      - .offset:         144
        .size:           8
        .value_kind:     by_value
      - .offset:         152
        .size:           4
        .value_kind:     by_value
    .group_segment_fixed_size: 8192
    .kernarg_segment_align: 8
    .kernarg_segment_size: 156
    .language:       OpenCL C
    .language_version:
      - 2
      - 0
    .max_flat_workgroup_size: 256
    .name:           _ZN12_GLOBAL__N_127rocblas_gemm_batched_kernelI19rocblas_complex_numIdELi16ELi16ELi32ELi32ELi8ELi32ELi8ELi8ELi32ELc67ELc84EKPKS2_S5_KPS2_EEvlllT_PT11_llSA_llS8_PT12_llPT13_lli
    .private_segment_fixed_size: 0
    .sgpr_count:     58
    .sgpr_spill_count: 0
    .symbol:         _ZN12_GLOBAL__N_127rocblas_gemm_batched_kernelI19rocblas_complex_numIdELi16ELi16ELi32ELi32ELi8ELi32ELi8ELi8ELi32ELc67ELc84EKPKS2_S5_KPS2_EEvlllT_PT11_llSA_llS8_PT12_llPT13_lli.kd
    .uniform_work_group_size: 1
    .uses_dynamic_stack: false
    .vgpr_count:     56
    .vgpr_spill_count: 0
    .wavefront_size: 64
  - .agpr_count:     0
    .args:
      - .offset:         0
        .size:           8
        .value_kind:     by_value
      - .offset:         8
        .size:           8
        .value_kind:     by_value
      - .offset:         16
        .size:           8
        .value_kind:     by_value
      - .offset:         24
        .size:           16
        .value_kind:     by_value
      - .address_space:  global
        .offset:         40
        .size:           8
        .value_kind:     global_buffer
      - .offset:         48
        .size:           8
        .value_kind:     by_value
      - .offset:         56
        .size:           8
        .value_kind:     by_value
      - .address_space:  global
        .offset:         64
        .size:           8
        .value_kind:     global_buffer
      - .offset:         72
        .size:           8
        .value_kind:     by_value
      - .offset:         80
        .size:           8
        .value_kind:     by_value
      - .offset:         88
        .size:           16
        .value_kind:     by_value
      - .address_space:  global
        .offset:         104
        .size:           8
        .value_kind:     global_buffer
      - .offset:         112
        .size:           8
        .value_kind:     by_value
      - .offset:         120
        .size:           8
        .value_kind:     by_value
      - .address_space:  global
        .offset:         128
        .size:           8
        .value_kind:     global_buffer
      - .offset:         136
        .size:           8
        .value_kind:     by_value
      - .offset:         144
        .size:           8
        .value_kind:     by_value
      - .offset:         152
        .size:           4
        .value_kind:     by_value
    .group_segment_fixed_size: 8192
    .kernarg_segment_align: 8
    .kernarg_segment_size: 156
    .language:       OpenCL C
    .language_version:
      - 2
      - 0
    .max_flat_workgroup_size: 256
    .name:           _ZN12_GLOBAL__N_127rocblas_gemm_batched_kernelI19rocblas_complex_numIdELi16ELi16ELi32ELi32ELi8ELi32ELi8ELi8ELi32ELc78ELc67EKPKS2_S5_KPS2_EEvlllT_PT11_llSA_llS8_PT12_llPT13_lli
    .private_segment_fixed_size: 0
    .sgpr_count:     58
    .sgpr_spill_count: 0
    .symbol:         _ZN12_GLOBAL__N_127rocblas_gemm_batched_kernelI19rocblas_complex_numIdELi16ELi16ELi32ELi32ELi8ELi32ELi8ELi8ELi32ELc78ELc67EKPKS2_S5_KPS2_EEvlllT_PT11_llSA_llS8_PT12_llPT13_lli.kd
    .uniform_work_group_size: 1
    .uses_dynamic_stack: false
    .vgpr_count:     56
    .vgpr_spill_count: 0
    .wavefront_size: 64
  - .agpr_count:     0
    .args:
      - .offset:         0
        .size:           8
        .value_kind:     by_value
      - .offset:         8
        .size:           8
        .value_kind:     by_value
      - .offset:         16
        .size:           8
        .value_kind:     by_value
      - .offset:         24
        .size:           16
        .value_kind:     by_value
      - .address_space:  global
        .offset:         40
        .size:           8
        .value_kind:     global_buffer
      - .offset:         48
        .size:           8
        .value_kind:     by_value
      - .offset:         56
        .size:           8
        .value_kind:     by_value
      - .address_space:  global
        .offset:         64
        .size:           8
        .value_kind:     global_buffer
      - .offset:         72
        .size:           8
        .value_kind:     by_value
      - .offset:         80
        .size:           8
        .value_kind:     by_value
      - .offset:         88
        .size:           16
        .value_kind:     by_value
      - .address_space:  global
        .offset:         104
        .size:           8
        .value_kind:     global_buffer
      - .offset:         112
        .size:           8
        .value_kind:     by_value
      - .offset:         120
        .size:           8
        .value_kind:     by_value
      - .address_space:  global
        .offset:         128
        .size:           8
        .value_kind:     global_buffer
      - .offset:         136
        .size:           8
        .value_kind:     by_value
      - .offset:         144
        .size:           8
        .value_kind:     by_value
      - .offset:         152
        .size:           4
        .value_kind:     by_value
    .group_segment_fixed_size: 8192
    .kernarg_segment_align: 8
    .kernarg_segment_size: 156
    .language:       OpenCL C
    .language_version:
      - 2
      - 0
    .max_flat_workgroup_size: 256
    .name:           _ZN12_GLOBAL__N_127rocblas_gemm_batched_kernelI19rocblas_complex_numIdELi16ELi16ELi32ELi32ELi8ELi32ELi8ELi8ELi32ELc84ELc67EKPKS2_S5_KPS2_EEvlllT_PT11_llSA_llS8_PT12_llPT13_lli
    .private_segment_fixed_size: 0
    .sgpr_count:     58
    .sgpr_spill_count: 0
    .symbol:         _ZN12_GLOBAL__N_127rocblas_gemm_batched_kernelI19rocblas_complex_numIdELi16ELi16ELi32ELi32ELi8ELi32ELi8ELi8ELi32ELc84ELc67EKPKS2_S5_KPS2_EEvlllT_PT11_llSA_llS8_PT12_llPT13_lli.kd
    .uniform_work_group_size: 1
    .uses_dynamic_stack: false
    .vgpr_count:     56
    .vgpr_spill_count: 0
    .wavefront_size: 64
  - .agpr_count:     0
    .args:
      - .offset:         0
        .size:           8
        .value_kind:     by_value
      - .offset:         8
        .size:           8
        .value_kind:     by_value
      - .offset:         16
        .size:           8
        .value_kind:     by_value
      - .offset:         24
        .size:           16
        .value_kind:     by_value
      - .address_space:  global
        .offset:         40
        .size:           8
        .value_kind:     global_buffer
      - .offset:         48
        .size:           8
        .value_kind:     by_value
      - .offset:         56
        .size:           8
        .value_kind:     by_value
      - .address_space:  global
        .offset:         64
        .size:           8
        .value_kind:     global_buffer
      - .offset:         72
        .size:           8
        .value_kind:     by_value
      - .offset:         80
        .size:           8
        .value_kind:     by_value
      - .offset:         88
        .size:           16
        .value_kind:     by_value
      - .address_space:  global
        .offset:         104
        .size:           8
        .value_kind:     global_buffer
      - .offset:         112
        .size:           8
        .value_kind:     by_value
      - .offset:         120
        .size:           8
        .value_kind:     by_value
      - .address_space:  global
        .offset:         128
        .size:           8
        .value_kind:     global_buffer
      - .offset:         136
        .size:           8
        .value_kind:     by_value
      - .offset:         144
        .size:           8
        .value_kind:     by_value
      - .offset:         152
        .size:           4
        .value_kind:     by_value
    .group_segment_fixed_size: 8192
    .kernarg_segment_align: 8
    .kernarg_segment_size: 156
    .language:       OpenCL C
    .language_version:
      - 2
      - 0
    .max_flat_workgroup_size: 256
    .name:           _ZN12_GLOBAL__N_135rocblas_gemm_batched_general_kernelI19rocblas_complex_numIdELi16ELi16ELi32ELi32ELi8ELi32ELi8ELi8ELi32ELc78ELc78EKPKS2_S5_KPS2_EEvlllT_PT11_llSA_llS8_PT12_llPT13_lli
    .private_segment_fixed_size: 0
    .sgpr_count:     58
    .sgpr_spill_count: 0
    .symbol:         _ZN12_GLOBAL__N_135rocblas_gemm_batched_general_kernelI19rocblas_complex_numIdELi16ELi16ELi32ELi32ELi8ELi32ELi8ELi8ELi32ELc78ELc78EKPKS2_S5_KPS2_EEvlllT_PT11_llSA_llS8_PT12_llPT13_lli.kd
    .uniform_work_group_size: 1
    .uses_dynamic_stack: false
    .vgpr_count:     68
    .vgpr_spill_count: 0
    .wavefront_size: 64
  - .agpr_count:     0
    .args:
      - .offset:         0
        .size:           8
        .value_kind:     by_value
      - .offset:         8
        .size:           8
        .value_kind:     by_value
      - .offset:         16
        .size:           8
        .value_kind:     by_value
      - .offset:         24
        .size:           16
        .value_kind:     by_value
      - .address_space:  global
        .offset:         40
        .size:           8
        .value_kind:     global_buffer
      - .offset:         48
        .size:           8
        .value_kind:     by_value
      - .offset:         56
        .size:           8
        .value_kind:     by_value
      - .address_space:  global
        .offset:         64
        .size:           8
        .value_kind:     global_buffer
      - .offset:         72
        .size:           8
        .value_kind:     by_value
      - .offset:         80
        .size:           8
        .value_kind:     by_value
      - .offset:         88
        .size:           16
        .value_kind:     by_value
      - .address_space:  global
        .offset:         104
        .size:           8
        .value_kind:     global_buffer
      - .offset:         112
        .size:           8
        .value_kind:     by_value
      - .offset:         120
        .size:           8
        .value_kind:     by_value
      - .address_space:  global
        .offset:         128
        .size:           8
        .value_kind:     global_buffer
      - .offset:         136
        .size:           8
        .value_kind:     by_value
      - .offset:         144
        .size:           8
        .value_kind:     by_value
      - .offset:         152
        .size:           4
        .value_kind:     by_value
    .group_segment_fixed_size: 8192
    .kernarg_segment_align: 8
    .kernarg_segment_size: 156
    .language:       OpenCL C
    .language_version:
      - 2
      - 0
    .max_flat_workgroup_size: 256
    .name:           _ZN12_GLOBAL__N_135rocblas_gemm_batched_general_kernelI19rocblas_complex_numIdELi16ELi16ELi32ELi32ELi8ELi32ELi8ELi8ELi32ELc84ELc78EKPKS2_S5_KPS2_EEvlllT_PT11_llSA_llS8_PT12_llPT13_lli
    .private_segment_fixed_size: 0
    .sgpr_count:     58
    .sgpr_spill_count: 0
    .symbol:         _ZN12_GLOBAL__N_135rocblas_gemm_batched_general_kernelI19rocblas_complex_numIdELi16ELi16ELi32ELi32ELi8ELi32ELi8ELi8ELi32ELc84ELc78EKPKS2_S5_KPS2_EEvlllT_PT11_llSA_llS8_PT12_llPT13_lli.kd
    .uniform_work_group_size: 1
    .uses_dynamic_stack: false
    .vgpr_count:     68
    .vgpr_spill_count: 0
    .wavefront_size: 64
  - .agpr_count:     0
    .args:
      - .offset:         0
        .size:           8
        .value_kind:     by_value
      - .offset:         8
        .size:           8
        .value_kind:     by_value
      - .offset:         16
        .size:           8
        .value_kind:     by_value
      - .offset:         24
        .size:           16
        .value_kind:     by_value
      - .address_space:  global
        .offset:         40
        .size:           8
        .value_kind:     global_buffer
      - .offset:         48
        .size:           8
        .value_kind:     by_value
      - .offset:         56
        .size:           8
        .value_kind:     by_value
      - .address_space:  global
        .offset:         64
        .size:           8
        .value_kind:     global_buffer
      - .offset:         72
        .size:           8
        .value_kind:     by_value
      - .offset:         80
        .size:           8
        .value_kind:     by_value
      - .offset:         88
        .size:           16
        .value_kind:     by_value
      - .address_space:  global
        .offset:         104
        .size:           8
        .value_kind:     global_buffer
      - .offset:         112
        .size:           8
        .value_kind:     by_value
      - .offset:         120
        .size:           8
        .value_kind:     by_value
      - .address_space:  global
        .offset:         128
        .size:           8
        .value_kind:     global_buffer
      - .offset:         136
        .size:           8
        .value_kind:     by_value
      - .offset:         144
        .size:           8
        .value_kind:     by_value
      - .offset:         152
        .size:           4
        .value_kind:     by_value
    .group_segment_fixed_size: 8192
    .kernarg_segment_align: 8
    .kernarg_segment_size: 156
    .language:       OpenCL C
    .language_version:
      - 2
      - 0
    .max_flat_workgroup_size: 256
    .name:           _ZN12_GLOBAL__N_135rocblas_gemm_batched_general_kernelI19rocblas_complex_numIdELi16ELi16ELi32ELi32ELi8ELi32ELi8ELi8ELi32ELc78ELc84EKPKS2_S5_KPS2_EEvlllT_PT11_llSA_llS8_PT12_llPT13_lli
    .private_segment_fixed_size: 0
    .sgpr_count:     58
    .sgpr_spill_count: 0
    .symbol:         _ZN12_GLOBAL__N_135rocblas_gemm_batched_general_kernelI19rocblas_complex_numIdELi16ELi16ELi32ELi32ELi8ELi32ELi8ELi8ELi32ELc78ELc84EKPKS2_S5_KPS2_EEvlllT_PT11_llSA_llS8_PT12_llPT13_lli.kd
    .uniform_work_group_size: 1
    .uses_dynamic_stack: false
    .vgpr_count:     68
    .vgpr_spill_count: 0
    .wavefront_size: 64
  - .agpr_count:     0
    .args:
      - .offset:         0
        .size:           8
        .value_kind:     by_value
      - .offset:         8
        .size:           8
        .value_kind:     by_value
      - .offset:         16
        .size:           8
        .value_kind:     by_value
      - .offset:         24
        .size:           16
        .value_kind:     by_value
      - .address_space:  global
        .offset:         40
        .size:           8
        .value_kind:     global_buffer
      - .offset:         48
        .size:           8
        .value_kind:     by_value
      - .offset:         56
        .size:           8
        .value_kind:     by_value
      - .address_space:  global
        .offset:         64
        .size:           8
        .value_kind:     global_buffer
      - .offset:         72
        .size:           8
        .value_kind:     by_value
      - .offset:         80
        .size:           8
        .value_kind:     by_value
      - .offset:         88
        .size:           16
        .value_kind:     by_value
      - .address_space:  global
        .offset:         104
        .size:           8
        .value_kind:     global_buffer
      - .offset:         112
        .size:           8
        .value_kind:     by_value
      - .offset:         120
        .size:           8
        .value_kind:     by_value
      - .address_space:  global
        .offset:         128
        .size:           8
        .value_kind:     global_buffer
      - .offset:         136
        .size:           8
        .value_kind:     by_value
      - .offset:         144
        .size:           8
        .value_kind:     by_value
      - .offset:         152
        .size:           4
        .value_kind:     by_value
    .group_segment_fixed_size: 8192
    .kernarg_segment_align: 8
    .kernarg_segment_size: 156
    .language:       OpenCL C
    .language_version:
      - 2
      - 0
    .max_flat_workgroup_size: 256
    .name:           _ZN12_GLOBAL__N_135rocblas_gemm_batched_general_kernelI19rocblas_complex_numIdELi16ELi16ELi32ELi32ELi8ELi32ELi8ELi8ELi32ELc84ELc84EKPKS2_S5_KPS2_EEvlllT_PT11_llSA_llS8_PT12_llPT13_lli
    .private_segment_fixed_size: 0
    .sgpr_count:     58
    .sgpr_spill_count: 0
    .symbol:         _ZN12_GLOBAL__N_135rocblas_gemm_batched_general_kernelI19rocblas_complex_numIdELi16ELi16ELi32ELi32ELi8ELi32ELi8ELi8ELi32ELc84ELc84EKPKS2_S5_KPS2_EEvlllT_PT11_llSA_llS8_PT12_llPT13_lli.kd
    .uniform_work_group_size: 1
    .uses_dynamic_stack: false
    .vgpr_count:     68
    .vgpr_spill_count: 0
    .wavefront_size: 64
  - .agpr_count:     0
    .args:
      - .offset:         0
        .size:           8
        .value_kind:     by_value
      - .offset:         8
        .size:           8
        .value_kind:     by_value
      - .offset:         16
        .size:           8
        .value_kind:     by_value
      - .offset:         24
        .size:           16
        .value_kind:     by_value
      - .address_space:  global
        .offset:         40
        .size:           8
        .value_kind:     global_buffer
      - .offset:         48
        .size:           8
        .value_kind:     by_value
      - .offset:         56
        .size:           8
        .value_kind:     by_value
      - .address_space:  global
        .offset:         64
        .size:           8
        .value_kind:     global_buffer
      - .offset:         72
        .size:           8
        .value_kind:     by_value
      - .offset:         80
        .size:           8
        .value_kind:     by_value
      - .offset:         88
        .size:           16
        .value_kind:     by_value
      - .address_space:  global
        .offset:         104
        .size:           8
        .value_kind:     global_buffer
      - .offset:         112
        .size:           8
        .value_kind:     by_value
      - .offset:         120
        .size:           8
        .value_kind:     by_value
      - .address_space:  global
        .offset:         128
        .size:           8
        .value_kind:     global_buffer
      - .offset:         136
        .size:           8
        .value_kind:     by_value
      - .offset:         144
        .size:           8
        .value_kind:     by_value
      - .offset:         152
        .size:           4
        .value_kind:     by_value
    .group_segment_fixed_size: 8192
    .kernarg_segment_align: 8
    .kernarg_segment_size: 156
    .language:       OpenCL C
    .language_version:
      - 2
      - 0
    .max_flat_workgroup_size: 256
    .name:           _ZN12_GLOBAL__N_135rocblas_gemm_batched_general_kernelI19rocblas_complex_numIdELi16ELi16ELi32ELi32ELi8ELi32ELi8ELi8ELi32ELc67ELc67EKPKS2_S5_KPS2_EEvlllT_PT11_llSA_llS8_PT12_llPT13_lli
    .private_segment_fixed_size: 0
    .sgpr_count:     58
    .sgpr_spill_count: 0
    .symbol:         _ZN12_GLOBAL__N_135rocblas_gemm_batched_general_kernelI19rocblas_complex_numIdELi16ELi16ELi32ELi32ELi8ELi32ELi8ELi8ELi32ELc67ELc67EKPKS2_S5_KPS2_EEvlllT_PT11_llSA_llS8_PT12_llPT13_lli.kd
    .uniform_work_group_size: 1
    .uses_dynamic_stack: false
    .vgpr_count:     64
    .vgpr_spill_count: 0
    .wavefront_size: 64
  - .agpr_count:     0
    .args:
      - .offset:         0
        .size:           8
        .value_kind:     by_value
      - .offset:         8
        .size:           8
        .value_kind:     by_value
      - .offset:         16
        .size:           8
        .value_kind:     by_value
      - .offset:         24
        .size:           16
        .value_kind:     by_value
      - .address_space:  global
        .offset:         40
        .size:           8
        .value_kind:     global_buffer
      - .offset:         48
        .size:           8
        .value_kind:     by_value
      - .offset:         56
        .size:           8
        .value_kind:     by_value
      - .address_space:  global
        .offset:         64
        .size:           8
        .value_kind:     global_buffer
      - .offset:         72
        .size:           8
        .value_kind:     by_value
      - .offset:         80
        .size:           8
        .value_kind:     by_value
      - .offset:         88
        .size:           16
        .value_kind:     by_value
      - .address_space:  global
        .offset:         104
        .size:           8
        .value_kind:     global_buffer
      - .offset:         112
        .size:           8
        .value_kind:     by_value
      - .offset:         120
        .size:           8
        .value_kind:     by_value
      - .address_space:  global
        .offset:         128
        .size:           8
        .value_kind:     global_buffer
      - .offset:         136
        .size:           8
        .value_kind:     by_value
      - .offset:         144
        .size:           8
        .value_kind:     by_value
      - .offset:         152
        .size:           4
        .value_kind:     by_value
    .group_segment_fixed_size: 8192
    .kernarg_segment_align: 8
    .kernarg_segment_size: 156
    .language:       OpenCL C
    .language_version:
      - 2
      - 0
    .max_flat_workgroup_size: 256
    .name:           _ZN12_GLOBAL__N_135rocblas_gemm_batched_general_kernelI19rocblas_complex_numIdELi16ELi16ELi32ELi32ELi8ELi32ELi8ELi8ELi32ELc67ELc78EKPKS2_S5_KPS2_EEvlllT_PT11_llSA_llS8_PT12_llPT13_lli
    .private_segment_fixed_size: 0
    .sgpr_count:     58
    .sgpr_spill_count: 0
    .symbol:         _ZN12_GLOBAL__N_135rocblas_gemm_batched_general_kernelI19rocblas_complex_numIdELi16ELi16ELi32ELi32ELi8ELi32ELi8ELi8ELi32ELc67ELc78EKPKS2_S5_KPS2_EEvlllT_PT11_llSA_llS8_PT12_llPT13_lli.kd
    .uniform_work_group_size: 1
    .uses_dynamic_stack: false
    .vgpr_count:     68
    .vgpr_spill_count: 0
    .wavefront_size: 64
  - .agpr_count:     0
    .args:
      - .offset:         0
        .size:           8
        .value_kind:     by_value
      - .offset:         8
        .size:           8
        .value_kind:     by_value
      - .offset:         16
        .size:           8
        .value_kind:     by_value
      - .offset:         24
        .size:           16
        .value_kind:     by_value
      - .address_space:  global
        .offset:         40
        .size:           8
        .value_kind:     global_buffer
      - .offset:         48
        .size:           8
        .value_kind:     by_value
      - .offset:         56
        .size:           8
        .value_kind:     by_value
      - .address_space:  global
        .offset:         64
        .size:           8
        .value_kind:     global_buffer
      - .offset:         72
        .size:           8
        .value_kind:     by_value
      - .offset:         80
        .size:           8
        .value_kind:     by_value
      - .offset:         88
        .size:           16
        .value_kind:     by_value
      - .address_space:  global
        .offset:         104
        .size:           8
        .value_kind:     global_buffer
      - .offset:         112
        .size:           8
        .value_kind:     by_value
      - .offset:         120
        .size:           8
        .value_kind:     by_value
      - .address_space:  global
        .offset:         128
        .size:           8
        .value_kind:     global_buffer
      - .offset:         136
        .size:           8
        .value_kind:     by_value
      - .offset:         144
        .size:           8
        .value_kind:     by_value
      - .offset:         152
        .size:           4
        .value_kind:     by_value
    .group_segment_fixed_size: 8192
    .kernarg_segment_align: 8
    .kernarg_segment_size: 156
    .language:       OpenCL C
    .language_version:
      - 2
      - 0
    .max_flat_workgroup_size: 256
    .name:           _ZN12_GLOBAL__N_135rocblas_gemm_batched_general_kernelI19rocblas_complex_numIdELi16ELi16ELi32ELi32ELi8ELi32ELi8ELi8ELi32ELc67ELc84EKPKS2_S5_KPS2_EEvlllT_PT11_llSA_llS8_PT12_llPT13_lli
    .private_segment_fixed_size: 0
    .sgpr_count:     58
    .sgpr_spill_count: 0
    .symbol:         _ZN12_GLOBAL__N_135rocblas_gemm_batched_general_kernelI19rocblas_complex_numIdELi16ELi16ELi32ELi32ELi8ELi32ELi8ELi8ELi32ELc67ELc84EKPKS2_S5_KPS2_EEvlllT_PT11_llSA_llS8_PT12_llPT13_lli.kd
    .uniform_work_group_size: 1
    .uses_dynamic_stack: false
    .vgpr_count:     68
    .vgpr_spill_count: 0
    .wavefront_size: 64
  - .agpr_count:     0
    .args:
      - .offset:         0
        .size:           8
        .value_kind:     by_value
      - .offset:         8
        .size:           8
        .value_kind:     by_value
      - .offset:         16
        .size:           8
        .value_kind:     by_value
      - .offset:         24
        .size:           16
        .value_kind:     by_value
      - .address_space:  global
        .offset:         40
        .size:           8
        .value_kind:     global_buffer
      - .offset:         48
        .size:           8
        .value_kind:     by_value
      - .offset:         56
        .size:           8
        .value_kind:     by_value
      - .address_space:  global
        .offset:         64
        .size:           8
        .value_kind:     global_buffer
      - .offset:         72
        .size:           8
        .value_kind:     by_value
      - .offset:         80
        .size:           8
        .value_kind:     by_value
      - .offset:         88
        .size:           16
        .value_kind:     by_value
      - .address_space:  global
        .offset:         104
        .size:           8
        .value_kind:     global_buffer
      - .offset:         112
        .size:           8
        .value_kind:     by_value
      - .offset:         120
        .size:           8
        .value_kind:     by_value
      - .address_space:  global
        .offset:         128
        .size:           8
        .value_kind:     global_buffer
      - .offset:         136
        .size:           8
        .value_kind:     by_value
      - .offset:         144
        .size:           8
        .value_kind:     by_value
      - .offset:         152
        .size:           4
        .value_kind:     by_value
    .group_segment_fixed_size: 8192
    .kernarg_segment_align: 8
    .kernarg_segment_size: 156
    .language:       OpenCL C
    .language_version:
      - 2
      - 0
    .max_flat_workgroup_size: 256
    .name:           _ZN12_GLOBAL__N_135rocblas_gemm_batched_general_kernelI19rocblas_complex_numIdELi16ELi16ELi32ELi32ELi8ELi32ELi8ELi8ELi32ELc78ELc67EKPKS2_S5_KPS2_EEvlllT_PT11_llSA_llS8_PT12_llPT13_lli
    .private_segment_fixed_size: 0
    .sgpr_count:     58
    .sgpr_spill_count: 0
    .symbol:         _ZN12_GLOBAL__N_135rocblas_gemm_batched_general_kernelI19rocblas_complex_numIdELi16ELi16ELi32ELi32ELi8ELi32ELi8ELi8ELi32ELc78ELc67EKPKS2_S5_KPS2_EEvlllT_PT11_llSA_llS8_PT12_llPT13_lli.kd
    .uniform_work_group_size: 1
    .uses_dynamic_stack: false
    .vgpr_count:     68
    .vgpr_spill_count: 0
    .wavefront_size: 64
  - .agpr_count:     0
    .args:
      - .offset:         0
        .size:           8
        .value_kind:     by_value
      - .offset:         8
        .size:           8
        .value_kind:     by_value
      - .offset:         16
        .size:           8
        .value_kind:     by_value
      - .offset:         24
        .size:           16
        .value_kind:     by_value
      - .address_space:  global
        .offset:         40
        .size:           8
        .value_kind:     global_buffer
      - .offset:         48
        .size:           8
        .value_kind:     by_value
      - .offset:         56
        .size:           8
        .value_kind:     by_value
      - .address_space:  global
        .offset:         64
        .size:           8
        .value_kind:     global_buffer
      - .offset:         72
        .size:           8
        .value_kind:     by_value
      - .offset:         80
        .size:           8
        .value_kind:     by_value
      - .offset:         88
        .size:           16
        .value_kind:     by_value
      - .address_space:  global
        .offset:         104
        .size:           8
        .value_kind:     global_buffer
      - .offset:         112
        .size:           8
        .value_kind:     by_value
      - .offset:         120
        .size:           8
        .value_kind:     by_value
      - .address_space:  global
        .offset:         128
        .size:           8
        .value_kind:     global_buffer
      - .offset:         136
        .size:           8
        .value_kind:     by_value
      - .offset:         144
        .size:           8
        .value_kind:     by_value
      - .offset:         152
        .size:           4
        .value_kind:     by_value
    .group_segment_fixed_size: 8192
    .kernarg_segment_align: 8
    .kernarg_segment_size: 156
    .language:       OpenCL C
    .language_version:
      - 2
      - 0
    .max_flat_workgroup_size: 256
    .name:           _ZN12_GLOBAL__N_135rocblas_gemm_batched_general_kernelI19rocblas_complex_numIdELi16ELi16ELi32ELi32ELi8ELi32ELi8ELi8ELi32ELc84ELc67EKPKS2_S5_KPS2_EEvlllT_PT11_llSA_llS8_PT12_llPT13_lli
    .private_segment_fixed_size: 0
    .sgpr_count:     58
    .sgpr_spill_count: 0
    .symbol:         _ZN12_GLOBAL__N_135rocblas_gemm_batched_general_kernelI19rocblas_complex_numIdELi16ELi16ELi32ELi32ELi8ELi32ELi8ELi8ELi32ELc84ELc67EKPKS2_S5_KPS2_EEvlllT_PT11_llSA_llS8_PT12_llPT13_lli.kd
    .uniform_work_group_size: 1
    .uses_dynamic_stack: false
    .vgpr_count:     68
    .vgpr_spill_count: 0
    .wavefront_size: 64
amdhsa.target:   amdgcn-amd-amdhsa--gfx950
amdhsa.version:
  - 1
  - 2
...

	.end_amdgpu_metadata
